;; amdgpu-corpus repo=ROCm/rocBLAS kind=compiled arch=gfx1250 opt=O3
	.amdgcn_target "amdgcn-amd-amdhsa--gfx1250"
	.amdhsa_code_object_version 6
	.section	.text._ZL30rocblas_trmm_outofplace_kernelIfLi32ELi2ELb1ELb0ELb0ELb0EPKfS0_fEv17rocblas_diagonal_iiT6_lPT7_lllS5_lllPT8_llli,"axG",@progbits,_ZL30rocblas_trmm_outofplace_kernelIfLi32ELi2ELb1ELb0ELb0ELb0EPKfS0_fEv17rocblas_diagonal_iiT6_lPT7_lllS5_lllPT8_llli,comdat
	.globl	_ZL30rocblas_trmm_outofplace_kernelIfLi32ELi2ELb1ELb0ELb0ELb0EPKfS0_fEv17rocblas_diagonal_iiT6_lPT7_lllS5_lllPT8_llli ; -- Begin function _ZL30rocblas_trmm_outofplace_kernelIfLi32ELi2ELb1ELb0ELb0ELb0EPKfS0_fEv17rocblas_diagonal_iiT6_lPT7_lllS5_lllPT8_llli
	.p2align	8
	.type	_ZL30rocblas_trmm_outofplace_kernelIfLi32ELi2ELb1ELb0ELb0ELb0EPKfS0_fEv17rocblas_diagonal_iiT6_lPT7_lllS5_lllPT8_llli,@function
_ZL30rocblas_trmm_outofplace_kernelIfLi32ELi2ELb1ELb0ELb0ELb0EPKfS0_fEv17rocblas_diagonal_iiT6_lPT7_lllS5_lllPT8_llli: ; @_ZL30rocblas_trmm_outofplace_kernelIfLi32ELi2ELb1ELb0ELb0ELb0EPKfS0_fEv17rocblas_diagonal_iiT6_lPT7_lllS5_lllPT8_llli
; %bb.0:
	s_load_b32 s11, s[0:1], 0x80
	s_bfe_u32 s2, ttmp6, 0x40014
	s_lshr_b32 s3, ttmp7, 16
	s_add_co_i32 s2, s2, 1
	s_bfe_u32 s5, ttmp6, 0x40008
	s_mul_i32 s4, s3, s2
	s_getreg_b32 s2, hwreg(HW_REG_IB_STS2, 6, 4)
	s_add_co_i32 s5, s5, s4
	s_cmp_eq_u32 s2, 0
	s_mov_b32 s35, 0
	s_cselect_b32 s34, s3, s5
	s_wait_kmcnt 0x0
	s_cmp_ge_u32 s34, s11
	s_cbranch_scc1 .LBB0_55
; %bb.1:
	s_clause 0x3
	s_load_b96 s[8:10], s[0:1], 0x0
	s_load_b512 s[12:27], s[0:1], 0x10
	s_load_b128 s[28:31], s[0:1], 0x70
	s_load_b256 s[36:43], s[0:1], 0x50
	s_bfe_u32 s4, ttmp6, 0x4000c
	s_and_b32 s3, ttmp6, 15
	s_add_co_i32 s4, s4, 1
	s_bfe_u32 s5, ttmp6, 0x40010
	s_mul_i32 s4, ttmp9, s4
	s_and_b32 s6, ttmp7, 0xffff
	v_bfe_u32 v2, v0, 10, 10
	v_mov_b32_e32 v3, 0
	s_add_co_i32 s5, s5, 1
	s_add_co_i32 s3, s3, s4
	s_bfe_u32 s7, ttmp6, 0x40004
	s_mul_i32 s5, s6, s5
	v_lshlrev_b32_e32 v5, 7, v2
	s_add_co_i32 s7, s7, s5
	v_and_b32_e32 v0, 0x3ff, v0
	v_lshl_add_u32 v18, v2, 2, 64
	s_wait_kmcnt 0x0
	s_add_co_i32 s33, s10, -1
	v_mul_u64_e32 v[20:21], s[20:21], v[2:3]
	s_ashr_i32 s44, s33, 31
	v_dual_mov_b32 v1, v3 :: v_dual_lshlrev_b32 v4, 2, v0
	s_lshr_b32 s4, s44, 27
	v_add_nc_u32_e32 v48, 0x1000, v5
	s_add_co_i32 s33, s33, s4
	s_lshl_b64 s[4:5], s[42:43], 2
	s_ashr_i32 s33, s33, 5
	s_cmp_eq_u32 s2, 0
	s_add_nc_u64 s[40:41], s[40:41], s[4:5]
	s_cselect_b32 s50, s6, s7
	s_cselect_b32 s2, ttmp9, s3
	s_cmp_le_i32 s50, s33
	s_mov_b32 s42, s9
	s_cselect_b32 s51, -1, 0
	s_lshl_b32 s52, s2, 5
	s_cmp_gt_i32 s2, -1
	v_dual_add_nc_u32 v6, s52, v0 :: v_dual_add_nc_u32 v49, v4, v5
	s_cselect_b32 s53, -1, 0
	s_cmp_eq_u32 s8, 0x84
	v_mov_b32_e32 v5, v3
	s_cselect_b32 s54, -1, 0
	s_lshl_b64 s[2:3], s[18:19], 2
	v_dual_ashrrev_i32 v7, 31, v6 :: v_dual_add_nc_u32 v50, v48, v4
	s_add_nc_u64 s[4:5], s[16:17], s[2:3]
	s_lshl_b64 s[2:3], s[26:27], 2
	v_mad_nc_u64_u32 v[10:11], s20, v18, s[4:5]
	s_add_nc_u64 s[2:3], s[24:25], s[2:3]
	v_add_nc_u64_e32 v[8:9], 16, v[6:7]
	v_add_nc_u64_e32 v[16:17], s[2:3], v[4:5]
	v_dual_mov_b32 v51, 1.0 :: v_dual_add_nc_u32 v12, 16, v6
	s_ashr_i32 s43, s9, 31
	s_add_nc_u64 s[48:49], s[0:1], 0x88
	v_sub_nc_u64_e32 v[14:15], v[6:7], v[2:3]
	s_delay_alu instid0(VALU_DEP_4) | instskip(NEXT) | instid1(VALU_DEP_4)
	v_cmp_le_i64_e64 s1, s[42:43], v[8:9]
	v_add_nc_u64_e32 v[16:17], 64, v[16:17]
	v_mad_u32 v11, s21, v18, v11
	v_lshlrev_b64_e32 v[18:19], 2, v[6:7]
	v_cmp_le_i32_e64 s0, s9, v6
	v_cmp_gt_i32_e64 s2, s9, v6
	v_cmp_gt_i32_e64 s3, s9, v12
	v_ashrrev_i32_e32 v13, 31, v12
	v_lshl_add_u32 v5, s50, 5, v2
	v_lshl_add_u64 v[20:21], v[20:21], 2, s[4:5]
	s_ashr_i32 s45, s10, 31
	s_mov_b32 s44, s10
	s_lshl_b64 s[46:47], s[20:21], 7
	s_add_nc_u64 s[16:17], s[42:43], -16
	s_lshl_b64 s[18:19], s[38:39], 2
	s_lshl_b64 s[20:21], s[36:37], 2
	;; [unrolled: 1-line block ×3, first 2 shown]
	s_branch .LBB0_4
.LBB0_2:                                ;   in Loop: Header=BB0_4 Depth=1
	s_add_co_i32 s34, s34, 0x10000
	s_delay_alu instid0(SALU_CYCLE_1)
	s_cmp_ge_u32 s34, s11
	s_cselect_b32 s4, -1, 0
.LBB0_3:                                ;   in Loop: Header=BB0_4 Depth=1
	s_delay_alu instid0(SALU_CYCLE_1)
	s_and_b32 vcc_lo, exec_lo, s4
	s_cbranch_vccnz .LBB0_55
.LBB0_4:                                ; =>This Loop Header: Depth=1
                                        ;     Child Loop BB0_8 Depth 2
                                        ;       Child Loop BB0_11 Depth 3
	s_mul_u64 s[4:5], s[14:15], s[34:35]
	s_delay_alu instid0(SALU_CYCLE_1) | instskip(NEXT) | instid1(SALU_CYCLE_1)
	s_lshl_b64 s[4:5], s[4:5], 2
	s_add_nc_u64 s[4:5], s[12:13], s[4:5]
	global_load_b32 v52, v3, s[4:5]
	s_wait_xcnt 0x0
	s_mov_b32 s4, -1
	s_wait_loadcnt 0x0
	v_cmp_eq_f32_e32 vcc_lo, 0, v52
	s_cbranch_vccnz .LBB0_3
; %bb.5:                                ;   in Loop: Header=BB0_4 Depth=1
	s_and_not1_b32 vcc_lo, exec_lo, s51
	s_cbranch_vccnz .LBB0_2
; %bb.6:                                ;   in Loop: Header=BB0_4 Depth=1
	s_load_b32 s9, s[48:49], 0x4
	v_mad_nc_u64_u32 v[22:23], s18, s34, v[16:17]
	v_mad_nc_u64_u32 v[24:25], s22, s34, v[10:11]
	v_mad_nc_u64_u32 v[26:27], s22, s34, v[20:21]
	s_mul_i32 s6, s23, s34
	s_mul_u64 s[4:5], s[30:31], s[34:35]
	v_mov_b32_e32 v28, v5
	s_lshl_b64 s[4:5], s[4:5], 2
	s_mov_b32 s39, s50
	s_add_nc_u64 s[24:25], s[40:41], s[4:5]
	s_delay_alu instid0(VALU_DEP_4) | instskip(NEXT) | instid1(VALU_DEP_3)
	v_mad_u32 v23, s19, s34, v23
	v_dual_add_nc_u32 v25, s6, v25 :: v_dual_add_nc_u32 v27, s6, v27
	s_wait_kmcnt 0x0
	s_lshl_b32 s38, s9, 5
	s_branch .LBB0_8
.LBB0_7:                                ;   in Loop: Header=BB0_8 Depth=2
	s_wait_xcnt 0x0
	s_or_b32 exec_lo, exec_lo, s4
	v_add_nc_u32_e32 v28, s38, v28
	s_add_co_i32 s39, s9, s39
	s_delay_alu instid0(SALU_CYCLE_1)
	s_cmp_gt_i32 s39, s33
	s_cbranch_scc1 .LBB0_2
.LBB0_8:                                ;   Parent Loop BB0_4 Depth=1
                                        ; =>  This Loop Header: Depth=2
                                        ;       Child Loop BB0_11 Depth 3
	v_lshl_add_u32 v30, s39, 5, v2
	v_mov_b32_e32 v43, 0
	s_and_not1_b32 vcc_lo, exec_lo, s53
	s_delay_alu instid0(VALU_DEP_1)
	v_dual_mov_b32 v42, v43 :: v_dual_ashrrev_i32 v31, 31, v30
	v_dual_mov_b32 v41, v43 :: v_dual_mov_b32 v40, v43
	s_cbranch_vccnz .LBB0_47
; %bb.9:                                ;   in Loop: Header=BB0_8 Depth=2
	v_dual_mov_b32 v40, 0 :: v_dual_ashrrev_i32 v29, 31, v28
	v_mad_nc_u64_u32 v[32:33], s20, v28, v[22:23]
	v_sub_nc_u64_e32 v[38:39], s[44:45], v[30:31]
	s_mov_b64 s[26:27], 0
	s_delay_alu instid0(VALU_DEP_3) | instskip(SKIP_2) | instid1(VALU_DEP_4)
	v_lshl_add_u64 v[36:37], v[28:29], 2, 64
	v_dual_mov_b32 v41, v40 :: v_dual_mov_b32 v42, v40
	v_mov_b32_e32 v43, v40
	v_cmp_lt_i64_e32 vcc_lo, 0, v[38:39]
	s_delay_alu instid0(VALU_DEP_4) | instskip(SKIP_3) | instid1(VALU_DEP_4)
	v_mad_nc_u64_u32 v[34:35], s36, v36, v[22:23]
	v_cmp_lt_i64_e64 s4, 16, v[38:39]
	v_mad_u32 v33, s21, v28, v33
	v_mov_b64_e32 v[38:39], v[24:25]
	v_mad_u32 v35, s37, v36, v35
	s_delay_alu instid0(VALU_DEP_3) | instskip(NEXT) | instid1(VALU_DEP_2)
	v_mad_u32 v33, s20, v29, v33
	v_mad_u32 v35, s36, v37, v35
	v_mov_b64_e32 v[36:37], v[26:27]
	s_branch .LBB0_11
.LBB0_10:                               ;   in Loop: Header=BB0_11 Depth=3
	s_wait_xcnt 0x0
	s_or_b32 exec_lo, exec_lo, s5
	s_wait_dscnt 0x0
	s_barrier_signal -1
	s_barrier_wait -1
	ds_load_b128 v[44:47], v48
	ds_load_2addr_b32 v[66:67], v4 offset1:16
	ds_load_b128 v[54:57], v48 offset:2048
	ds_load_2addr_b32 v[68:69], v4 offset0:32 offset1:48
	ds_load_2addr_b32 v[70:71], v4 offset0:64 offset1:80
	;; [unrolled: 1-line block ×3, first 2 shown]
	ds_load_b128 v[58:61], v48 offset:16
	ds_load_2addr_b32 v[74:75], v4 offset0:128 offset1:144
	ds_load_b128 v[62:65], v48 offset:2064
	v_add_nc_u32_e32 v29, 0x400, v4
	v_add_nc_u64_e32 v[32:33], 0x80, v[32:33]
	v_add_nc_u64_e32 v[38:39], s[46:47], v[38:39]
	;; [unrolled: 1-line block ×4, first 2 shown]
	s_add_nc_u64 s[26:27], s[26:27], 32
	v_add_nc_u32_e32 v53, 0x800, v4
	s_sub_co_i32 s5, s26, 32
	s_delay_alu instid0(SALU_CYCLE_1)
	s_cmp_ge_i32 s5, s52
	s_wait_dscnt 0x7
	v_pk_fma_f32 v[42:43], v[66:67], v[44:45], v[42:43] op_sel_hi:[1,0,1]
	s_wait_dscnt 0x6
	v_pk_fma_f32 v[40:41], v[66:67], v[54:55], v[40:41] op_sel_hi:[1,0,1]
	ds_load_2addr_b32 v[66:67], v4 offset0:160 offset1:176
	s_wait_dscnt 0x6
	v_pk_fma_f32 v[42:43], v[68:69], v[44:45], v[42:43] op_sel:[0,1,0]
	v_pk_fma_f32 v[40:41], v[68:69], v[54:55], v[40:41] op_sel:[0,1,0]
	v_dual_mov_b32 v44, v47 :: v_dual_mov_b32 v68, v57
	ds_load_2addr_b32 v[54:55], v4 offset0:192 offset1:208
	s_wait_dscnt 0x6
	v_pk_fma_f32 v[42:43], v[70:71], v[46:47], v[42:43] op_sel_hi:[1,0,1]
	v_pk_fma_f32 v[40:41], v[70:71], v[56:57], v[40:41] op_sel_hi:[1,0,1]
	ds_load_2addr_b32 v[56:57], v4 offset0:224 offset1:240
	s_wait_dscnt 0x6
	v_pk_fma_f32 v[70:71], v[72:73], v[44:45], v[42:43] op_sel_hi:[1,0,1]
	v_pk_fma_f32 v[68:69], v[72:73], v[68:69], v[40:41] op_sel_hi:[1,0,1]
	s_wait_dscnt 0x4
	s_delay_alu instid0(VALU_DEP_2) | instskip(SKIP_1) | instid1(VALU_DEP_2)
	v_pk_fma_f32 v[70:71], v[74:75], v[58:59], v[70:71] op_sel_hi:[1,0,1]
	s_wait_dscnt 0x3
	v_pk_fma_f32 v[68:69], v[74:75], v[62:63], v[68:69] op_sel_hi:[1,0,1]
	s_wait_dscnt 0x2
	s_delay_alu instid0(VALU_DEP_2) | instskip(NEXT) | instid1(VALU_DEP_2)
	v_pk_fma_f32 v[58:59], v[66:67], v[58:59], v[70:71] op_sel:[0,1,0]
	v_pk_fma_f32 v[62:63], v[66:67], v[62:63], v[68:69] op_sel:[0,1,0]
	v_mov_b32_e32 v68, v61
	ds_load_b128 v[40:43], v48 offset:32
	ds_load_b128 v[44:47], v48 offset:2080
	ds_load_2addr_b32 v[72:73], v29 offset1:16
	ds_load_2addr_b32 v[74:75], v29 offset0:32 offset1:48
	ds_load_2addr_b32 v[66:67], v29 offset0:64 offset1:80
	s_wait_dscnt 0x6
	v_pk_fma_f32 v[58:59], v[54:55], v[60:61], v[58:59] op_sel_hi:[1,0,1]
	v_mov_b32_e32 v70, v65
	v_pk_fma_f32 v[54:55], v[54:55], v[64:65], v[62:63] op_sel_hi:[1,0,1]
	ds_load_2addr_b32 v[62:63], v29 offset0:96 offset1:112
	s_wait_dscnt 0x6
	v_pk_fma_f32 v[64:65], v[56:57], v[68:69], v[58:59] op_sel_hi:[1,0,1]
	v_pk_fma_f32 v[68:69], v[56:57], v[70:71], v[54:55] op_sel_hi:[1,0,1]
	ds_load_b128 v[54:57], v48 offset:48
	ds_load_b128 v[58:61], v48 offset:2096
	ds_load_2addr_b32 v[70:71], v29 offset0:128 offset1:144
	s_wait_dscnt 0x6
	v_pk_fma_f32 v[64:65], v[72:73], v[40:41], v[64:65] op_sel_hi:[1,0,1]
	v_pk_fma_f32 v[68:69], v[72:73], v[44:45], v[68:69] op_sel_hi:[1,0,1]
	ds_load_2addr_b32 v[72:73], v29 offset0:160 offset1:176
	s_wait_dscnt 0x6
	v_pk_fma_f32 v[40:41], v[74:75], v[40:41], v[64:65] op_sel:[0,1,0]
	v_pk_fma_f32 v[44:45], v[74:75], v[44:45], v[68:69] op_sel:[0,1,0]
	ds_load_2addr_b32 v[64:65], v29 offset0:192 offset1:208
	v_dual_mov_b32 v68, v43 :: v_dual_mov_b32 v74, v47
	s_wait_dscnt 0x6
	v_pk_fma_f32 v[40:41], v[66:67], v[42:43], v[40:41] op_sel_hi:[1,0,1]
	v_pk_fma_f32 v[42:43], v[66:67], v[46:47], v[44:45] op_sel_hi:[1,0,1]
	ds_load_2addr_b32 v[66:67], v29 offset0:224 offset1:240
	s_wait_dscnt 0x6
	v_pk_fma_f32 v[68:69], v[62:63], v[68:69], v[40:41] op_sel_hi:[1,0,1]
	v_pk_fma_f32 v[62:63], v[62:63], v[74:75], v[42:43] op_sel_hi:[1,0,1]
	ds_load_b128 v[40:43], v48 offset:64
	ds_load_b128 v[44:47], v48 offset:2112
	ds_load_2addr_b32 v[74:75], v53 offset1:16
	s_wait_dscnt 0x6
	v_pk_fma_f32 v[68:69], v[70:71], v[54:55], v[68:69] op_sel_hi:[1,0,1]
	v_pk_fma_f32 v[62:63], v[70:71], v[58:59], v[62:63] op_sel_hi:[1,0,1]
	ds_load_2addr_b32 v[70:71], v53 offset0:32 offset1:48
	s_wait_dscnt 0x6
	v_pk_fma_f32 v[54:55], v[72:73], v[54:55], v[68:69] op_sel:[0,1,0]
	v_pk_fma_f32 v[58:59], v[72:73], v[58:59], v[62:63] op_sel:[0,1,0]
	ds_load_2addr_b32 v[62:63], v53 offset0:64 offset1:80
	v_dual_mov_b32 v68, v57 :: v_dual_mov_b32 v72, v61
	s_wait_dscnt 0x6
	v_pk_fma_f32 v[54:55], v[64:65], v[56:57], v[54:55] op_sel_hi:[1,0,1]
	v_pk_fma_f32 v[56:57], v[64:65], v[60:61], v[58:59] op_sel_hi:[1,0,1]
	ds_load_2addr_b32 v[64:65], v53 offset0:96 offset1:112
	s_wait_dscnt 0x6
	v_pk_fma_f32 v[68:69], v[66:67], v[68:69], v[54:55] op_sel_hi:[1,0,1]
	v_pk_fma_f32 v[66:67], v[66:67], v[72:73], v[56:57] op_sel_hi:[1,0,1]
	ds_load_b128 v[54:57], v48 offset:80
	ds_load_b128 v[58:61], v48 offset:2128
	ds_load_2addr_b32 v[72:73], v53 offset0:128 offset1:144
	v_add_nc_u32_e32 v29, 0xc00, v4
	s_wait_dscnt 0x6
	v_pk_fma_f32 v[68:69], v[74:75], v[40:41], v[68:69] op_sel_hi:[1,0,1]
	v_pk_fma_f32 v[66:67], v[74:75], v[44:45], v[66:67] op_sel_hi:[1,0,1]
	ds_load_2addr_b32 v[74:75], v53 offset0:160 offset1:176
	s_wait_dscnt 0x6
	v_pk_fma_f32 v[40:41], v[70:71], v[40:41], v[68:69] op_sel:[0,1,0]
	v_mov_b32_e32 v68, v43
	v_pk_fma_f32 v[44:45], v[70:71], v[44:45], v[66:67] op_sel:[0,1,0]
	ds_load_2addr_b32 v[66:67], v53 offset0:192 offset1:208
	v_mov_b32_e32 v70, v47
	s_wait_dscnt 0x6
	v_pk_fma_f32 v[40:41], v[62:63], v[42:43], v[40:41] op_sel_hi:[1,0,1]
	v_pk_fma_f32 v[42:43], v[62:63], v[46:47], v[44:45] op_sel_hi:[1,0,1]
	ds_load_2addr_b32 v[62:63], v53 offset0:224 offset1:240
	s_wait_dscnt 0x6
	v_pk_fma_f32 v[68:69], v[64:65], v[68:69], v[40:41] op_sel_hi:[1,0,1]
	v_pk_fma_f32 v[64:65], v[64:65], v[70:71], v[42:43] op_sel_hi:[1,0,1]
	s_wait_dscnt 0x3
	s_delay_alu instid0(VALU_DEP_2) | instskip(NEXT) | instid1(VALU_DEP_2)
	v_pk_fma_f32 v[68:69], v[72:73], v[54:55], v[68:69] op_sel_hi:[1,0,1]
	v_pk_fma_f32 v[64:65], v[72:73], v[58:59], v[64:65] op_sel_hi:[1,0,1]
	s_wait_dscnt 0x2
	s_delay_alu instid0(VALU_DEP_2)
	v_pk_fma_f32 v[54:55], v[74:75], v[54:55], v[68:69] op_sel:[0,1,0]
	v_mov_b32_e32 v68, v57
	ds_load_b128 v[40:43], v48 offset:96
	ds_load_b128 v[44:47], v48 offset:2144
	ds_load_2addr_b32 v[70:71], v29 offset1:16
	ds_load_2addr_b32 v[72:73], v29 offset0:32 offset1:48
	v_pk_fma_f32 v[58:59], v[74:75], v[58:59], v[64:65] op_sel:[0,1,0]
	s_wait_dscnt 0x5
	v_pk_fma_f32 v[54:55], v[66:67], v[56:57], v[54:55] op_sel_hi:[1,0,1]
	ds_load_2addr_b32 v[64:65], v29 offset0:64 offset1:80
	v_mov_b32_e32 v74, v61
	v_pk_fma_f32 v[56:57], v[66:67], v[60:61], v[58:59] op_sel_hi:[1,0,1]
	s_wait_dscnt 0x5
	v_pk_fma_f32 v[68:69], v[62:63], v[68:69], v[54:55] op_sel_hi:[1,0,1]
	ds_load_2addr_b32 v[66:67], v29 offset0:96 offset1:112
	s_wait_dscnt 0x3
	v_pk_fma_f32 v[68:69], v[70:71], v[40:41], v[68:69] op_sel_hi:[1,0,1]
	s_wait_dscnt 0x2
	s_delay_alu instid0(VALU_DEP_1)
	v_pk_fma_f32 v[40:41], v[72:73], v[40:41], v[68:69] op_sel:[0,1,0]
	v_mov_b32_e32 v68, v43
	v_pk_fma_f32 v[62:63], v[62:63], v[74:75], v[56:57] op_sel_hi:[1,0,1]
	ds_load_b128 v[54:57], v48 offset:112
	ds_load_b128 v[58:61], v48 offset:2160
	ds_load_2addr_b32 v[74:75], v29 offset0:128 offset1:144
	s_wait_dscnt 0x4
	v_pk_fma_f32 v[40:41], v[64:65], v[42:43], v[40:41] op_sel_hi:[1,0,1]
	v_pk_fma_f32 v[62:63], v[70:71], v[44:45], v[62:63] op_sel_hi:[1,0,1]
	ds_load_2addr_b32 v[70:71], v29 offset0:160 offset1:176
	s_wait_dscnt 0x4
	v_pk_fma_f32 v[40:41], v[66:67], v[68:69], v[40:41] op_sel_hi:[1,0,1]
	v_pk_fma_f32 v[44:45], v[72:73], v[44:45], v[62:63] op_sel:[0,1,0]
	ds_load_2addr_b32 v[62:63], v29 offset0:192 offset1:208
	v_mov_b32_e32 v72, v47
	v_pk_fma_f32 v[42:43], v[64:65], v[46:47], v[44:45] op_sel_hi:[1,0,1]
	ds_load_2addr_b32 v[44:45], v29 offset0:224 offset1:240
	s_wait_dscnt 0x0
	s_barrier_signal -1
	v_mov_b32_e32 v46, v57
	v_pk_fma_f32 v[42:43], v[66:67], v[72:73], v[42:43] op_sel_hi:[1,0,1]
	v_pk_fma_f32 v[40:41], v[74:75], v[54:55], v[40:41] op_sel_hi:[1,0,1]
	s_barrier_wait -1
	s_delay_alu instid0(VALU_DEP_2) | instskip(NEXT) | instid1(VALU_DEP_2)
	v_pk_fma_f32 v[42:43], v[74:75], v[58:59], v[42:43] op_sel_hi:[1,0,1]
	v_pk_fma_f32 v[40:41], v[70:71], v[54:55], v[40:41] op_sel:[0,1,0]
	v_mov_b32_e32 v54, v61
	s_delay_alu instid0(VALU_DEP_3) | instskip(NEXT) | instid1(VALU_DEP_3)
	v_pk_fma_f32 v[42:43], v[70:71], v[58:59], v[42:43] op_sel:[0,1,0]
	v_pk_fma_f32 v[40:41], v[62:63], v[56:57], v[40:41] op_sel_hi:[1,0,1]
	s_delay_alu instid0(VALU_DEP_2) | instskip(NEXT) | instid1(VALU_DEP_2)
	v_pk_fma_f32 v[56:57], v[62:63], v[60:61], v[42:43] op_sel_hi:[1,0,1]
	v_pk_fma_f32 v[42:43], v[44:45], v[46:47], v[40:41] op_sel_hi:[1,0,1]
	s_delay_alu instid0(VALU_DEP_2)
	v_pk_fma_f32 v[40:41], v[44:45], v[54:55], v[56:57] op_sel_hi:[1,0,1]
	s_cbranch_scc1 .LBB0_47
.LBB0_11:                               ;   Parent Loop BB0_4 Depth=1
                                        ;     Parent Loop BB0_8 Depth=2
                                        ; =>    This Inner Loop Header: Depth=3
	v_add_nc_u64_e32 v[44:45], s[26:27], v[2:3]
	v_cmp_eq_u64_e64 s7, s[26:27], v[14:15]
	s_delay_alu instid0(VALU_DEP_3) | instskip(NEXT) | instid1(VALU_DEP_3)
	v_add_nc_u64_e32 v[46:47], v[36:37], v[18:19]
                                        ; implicit-def: $vgpr29
	v_cmp_le_i64_e64 s6, s[42:43], v[44:45]
	v_cmp_gt_i64_e64 s5, v[44:45], v[6:7]
	s_and_b32 s55, s54, s7
	s_or_b32 s7, s6, s5
	s_delay_alu instid0(SALU_CYCLE_1) | instskip(NEXT) | instid1(SALU_CYCLE_1)
	s_or_b32 s7, s7, s55
	s_nor_b32 s7, s0, s7
	s_delay_alu instid0(SALU_CYCLE_1) | instskip(NEXT) | instid1(SALU_CYCLE_1)
	s_and_saveexec_b32 s8, s7
	s_xor_b32 s7, exec_lo, s8
	s_cbranch_execz .LBB0_13
; %bb.12:                               ;   in Loop: Header=BB0_11 Depth=3
	global_load_b32 v29, v[46:47], off
.LBB0_13:                               ;   in Loop: Header=BB0_11 Depth=3
	s_wait_xcnt 0x0
	s_and_not1_saveexec_b32 s7, s7
	s_cbranch_execz .LBB0_15
; %bb.14:                               ;   in Loop: Header=BB0_11 Depth=3
	s_wait_loadcnt 0x0
	v_cndmask_b32_e64 v29, 0, 1.0, s55
.LBB0_15:                               ;   in Loop: Header=BB0_11 Depth=3
	s_or_b32 exec_lo, exec_lo, s7
	v_add_nc_u64_e32 v[54:55], 16, v[14:15]
	v_cmp_lt_i64_e64 s8, v[8:9], v[44:45]
	s_wait_loadcnt 0x0
	ds_store_b32 v49, v29
	v_cmp_eq_u64_e64 s7, s[26:27], v[54:55]
	s_or_b32 s6, s6, s8
	s_and_b32 s7, s54, s7
	s_delay_alu instid0(SALU_CYCLE_1) | instskip(NEXT) | instid1(SALU_CYCLE_1)
	s_or_b32 s6, s6, s7
	s_nor_b32 s6, s1, s6
	s_delay_alu instid0(SALU_CYCLE_1) | instskip(NEXT) | instid1(SALU_CYCLE_1)
	s_and_saveexec_b32 s8, s6
	s_xor_b32 s6, exec_lo, s8
	s_cbranch_execz .LBB0_17
; %bb.16:                               ;   in Loop: Header=BB0_11 Depth=3
	global_load_b32 v29, v[46:47], off offset:64
	s_wait_loadcnt 0x0
	ds_store_b32 v49, v29 offset:64
.LBB0_17:                               ;   in Loop: Header=BB0_11 Depth=3
	s_wait_xcnt 0x0
	s_and_not1_saveexec_b32 s6, s6
	s_cbranch_execz .LBB0_23
; %bb.18:                               ;   in Loop: Header=BB0_11 Depth=3
	s_xor_b32 s7, s7, -1
	s_delay_alu instid0(SALU_CYCLE_1) | instskip(NEXT) | instid1(SALU_CYCLE_1)
	s_and_saveexec_b32 s8, s7
	s_xor_b32 s7, exec_lo, s8
; %bb.19:                               ;   in Loop: Header=BB0_11 Depth=3
	ds_store_b32 v49, v3 offset:64
; %bb.20:                               ;   in Loop: Header=BB0_11 Depth=3
	s_and_not1_saveexec_b32 s7, s7
; %bb.21:                               ;   in Loop: Header=BB0_11 Depth=3
	ds_store_b32 v49, v51 offset:64
; %bb.22:                               ;   in Loop: Header=BB0_11 Depth=3
	s_or_b32 exec_lo, exec_lo, s7
.LBB0_23:                               ;   in Loop: Header=BB0_11 Depth=3
	s_delay_alu instid0(SALU_CYCLE_1) | instskip(SKIP_2) | instid1(VALU_DEP_2)
	s_or_b32 exec_lo, exec_lo, s6
	v_add_nc_u64_e32 v[46:47], -16, v[14:15]
	v_add_nc_u64_e32 v[44:45], 16, v[44:45]
                                        ; implicit-def: $vgpr29
	v_cmp_eq_u64_e64 s7, s[26:27], v[46:47]
	s_delay_alu instid0(VALU_DEP_2) | instskip(SKIP_4) | instid1(SALU_CYCLE_1)
	v_cmp_le_i64_e64 s6, s[42:43], v[44:45]
	v_cmp_gt_i64_e64 s8, v[44:45], v[6:7]
	v_add_nc_u64_e32 v[44:45], v[38:39], v[18:19]
	s_and_b32 s7, s54, s7
	s_or_b32 s8, s6, s8
	s_or_b32 s8, s8, s7
	s_delay_alu instid0(SALU_CYCLE_1) | instskip(NEXT) | instid1(SALU_CYCLE_1)
	s_nor_b32 s8, s0, s8
	s_and_saveexec_b32 s56, s8
	s_delay_alu instid0(SALU_CYCLE_1)
	s_xor_b32 s8, exec_lo, s56
	s_cbranch_execz .LBB0_25
; %bb.24:                               ;   in Loop: Header=BB0_11 Depth=3
	global_load_b32 v29, v[44:45], off
.LBB0_25:                               ;   in Loop: Header=BB0_11 Depth=3
	s_wait_xcnt 0x0
	s_and_not1_saveexec_b32 s8, s8
	s_cbranch_execz .LBB0_27
; %bb.26:                               ;   in Loop: Header=BB0_11 Depth=3
	s_wait_loadcnt 0x0
	v_cndmask_b32_e64 v29, 0, 1.0, s7
.LBB0_27:                               ;   in Loop: Header=BB0_11 Depth=3
	s_or_b32 exec_lo, exec_lo, s8
	s_or_b32 s5, s6, s5
	s_wait_loadcnt 0x0
	ds_store_b32 v49, v29 offset:2048
	s_or_b32 s5, s5, s55
	s_delay_alu instid0(SALU_CYCLE_1) | instskip(NEXT) | instid1(SALU_CYCLE_1)
	s_nor_b32 s5, s1, s5
	s_and_saveexec_b32 s6, s5
	s_delay_alu instid0(SALU_CYCLE_1)
	s_xor_b32 s5, exec_lo, s6
	s_cbranch_execz .LBB0_29
; %bb.28:                               ;   in Loop: Header=BB0_11 Depth=3
	global_load_b32 v29, v[44:45], off offset:64
	s_wait_loadcnt 0x0
	ds_store_b32 v49, v29 offset:2112
.LBB0_29:                               ;   in Loop: Header=BB0_11 Depth=3
	s_wait_xcnt 0x0
	s_and_not1_saveexec_b32 s5, s5
	s_cbranch_execz .LBB0_35
; %bb.30:                               ;   in Loop: Header=BB0_11 Depth=3
	s_xor_b32 s6, s55, -1
	s_delay_alu instid0(SALU_CYCLE_1) | instskip(NEXT) | instid1(SALU_CYCLE_1)
	s_and_saveexec_b32 s7, s6
	s_xor_b32 s6, exec_lo, s7
; %bb.31:                               ;   in Loop: Header=BB0_11 Depth=3
	ds_store_b32 v49, v3 offset:2112
; %bb.32:                               ;   in Loop: Header=BB0_11 Depth=3
	s_and_not1_saveexec_b32 s6, s6
; %bb.33:                               ;   in Loop: Header=BB0_11 Depth=3
	ds_store_b32 v49, v51 offset:2112
; %bb.34:                               ;   in Loop: Header=BB0_11 Depth=3
	s_or_b32 exec_lo, exec_lo, s6
.LBB0_35:                               ;   in Loop: Header=BB0_11 Depth=3
	s_delay_alu instid0(SALU_CYCLE_1) | instskip(SKIP_2) | instid1(VALU_DEP_2)
	s_or_b32 exec_lo, exec_lo, s5
	v_add_nc_u64_e32 v[44:45], s[26:27], v[0:1]
	v_mov_b32_e32 v29, 0
	v_cmp_gt_i64_e64 s5, s[42:43], v[44:45]
	s_and_b32 s7, vcc_lo, s5
	s_delay_alu instid0(SALU_CYCLE_1)
	s_and_saveexec_b32 s6, s7
	s_cbranch_execz .LBB0_37
; %bb.36:                               ;   in Loop: Header=BB0_11 Depth=3
	global_load_b32 v29, v[32:33], off offset:-64
.LBB0_37:                               ;   in Loop: Header=BB0_11 Depth=3
	s_wait_xcnt 0x0
	s_or_b32 exec_lo, exec_lo, s6
	v_cmp_gt_i64_e64 s6, s[16:17], v[44:45]
	s_wait_loadcnt 0x0
	ds_store_b32 v50, v29
	s_and_b32 s7, vcc_lo, s6
	s_delay_alu instid0(SALU_CYCLE_1) | instskip(NEXT) | instid1(SALU_CYCLE_1)
	s_xor_b32 s7, s7, -1
	s_and_saveexec_b32 s8, s7
	s_delay_alu instid0(SALU_CYCLE_1)
	s_xor_b32 s7, exec_lo, s8
; %bb.38:                               ;   in Loop: Header=BB0_11 Depth=3
	ds_store_b32 v50, v3 offset:64
; %bb.39:                               ;   in Loop: Header=BB0_11 Depth=3
	s_and_not1_saveexec_b32 s7, s7
	s_cbranch_execz .LBB0_41
; %bb.40:                               ;   in Loop: Header=BB0_11 Depth=3
	global_load_b32 v29, v[32:33], off
	s_wait_loadcnt 0x0
	ds_store_b32 v50, v29 offset:64
.LBB0_41:                               ;   in Loop: Header=BB0_11 Depth=3
	s_wait_xcnt 0x0
	s_or_b32 exec_lo, exec_lo, s7
	v_mov_b32_e32 v29, 0
	s_and_b32 s7, s4, s5
	s_delay_alu instid0(SALU_CYCLE_1)
	s_and_saveexec_b32 s5, s7
	s_cbranch_execz .LBB0_43
; %bb.42:                               ;   in Loop: Header=BB0_11 Depth=3
	global_load_b32 v29, v[34:35], off offset:-64
.LBB0_43:                               ;   in Loop: Header=BB0_11 Depth=3
	s_wait_xcnt 0x0
	s_or_b32 exec_lo, exec_lo, s5
	s_and_b32 s5, s4, s6
	s_wait_loadcnt 0x0
	ds_store_b32 v50, v29 offset:2048
	s_xor_b32 s5, s5, -1
	s_delay_alu instid0(SALU_CYCLE_1) | instskip(NEXT) | instid1(SALU_CYCLE_1)
	s_and_saveexec_b32 s6, s5
	s_xor_b32 s5, exec_lo, s6
; %bb.44:                               ;   in Loop: Header=BB0_11 Depth=3
	ds_store_b32 v50, v3 offset:2112
; %bb.45:                               ;   in Loop: Header=BB0_11 Depth=3
	s_and_not1_saveexec_b32 s5, s5
	s_cbranch_execz .LBB0_10
; %bb.46:                               ;   in Loop: Header=BB0_11 Depth=3
	global_load_b32 v29, v[34:35], off
	s_wait_loadcnt 0x0
	ds_store_b32 v50, v29 offset:2112
	s_branch .LBB0_10
.LBB0_47:                               ;   in Loop: Header=BB0_8 Depth=2
	s_delay_alu instid0(VALU_DEP_2) | instskip(SKIP_2) | instid1(VALU_DEP_2)
	v_mul_u64_e32 v[32:33], s[28:29], v[30:31]
	v_cmp_gt_i32_e32 vcc_lo, s10, v30
	s_and_b32 s5, s2, vcc_lo
	v_lshl_add_u64 v[32:33], v[32:33], 2, s[24:25]
	s_and_saveexec_b32 s4, s5
	s_cbranch_execz .LBB0_49
; %bb.48:                               ;   in Loop: Header=BB0_8 Depth=2
	s_delay_alu instid0(VALU_DEP_1)
	v_lshl_add_u64 v[34:35], v[6:7], 2, v[32:33]
	global_load_b32 v29, v[34:35], off
	s_wait_loadcnt 0x0
	v_fmac_f32_e32 v29, v52, v42
	global_store_b32 v[34:35], v29, off
.LBB0_49:                               ;   in Loop: Header=BB0_8 Depth=2
	s_wait_xcnt 0x0
	s_or_b32 exec_lo, exec_lo, s4
	s_and_b32 s5, s3, vcc_lo
	s_delay_alu instid0(SALU_CYCLE_1)
	s_and_saveexec_b32 s4, s5
	s_cbranch_execz .LBB0_51
; %bb.50:                               ;   in Loop: Header=BB0_8 Depth=2
	v_lshl_add_u64 v[32:33], v[12:13], 2, v[32:33]
	global_load_b32 v29, v[32:33], off
	s_wait_loadcnt 0x0
	v_fmac_f32_e32 v29, v52, v43
	global_store_b32 v[32:33], v29, off
.LBB0_51:                               ;   in Loop: Header=BB0_8 Depth=2
	s_wait_xcnt 0x0
	s_or_b32 exec_lo, exec_lo, s4
	v_add_nc_u32_e32 v30, 16, v30
	s_delay_alu instid0(VALU_DEP_1) | instskip(SKIP_1) | instid1(VALU_DEP_2)
	v_ashrrev_i32_e32 v31, 31, v30
	v_cmp_gt_i32_e32 vcc_lo, s10, v30
	v_mul_u64_e32 v[32:33], s[28:29], v[30:31]
	s_and_b32 s5, s2, vcc_lo
	s_delay_alu instid0(VALU_DEP_1)
	v_lshl_add_u64 v[30:31], v[32:33], 2, s[24:25]
	s_and_saveexec_b32 s4, s5
	s_cbranch_execz .LBB0_53
; %bb.52:                               ;   in Loop: Header=BB0_8 Depth=2
	s_delay_alu instid0(VALU_DEP_1)
	v_lshl_add_u64 v[32:33], v[6:7], 2, v[30:31]
	global_load_b32 v29, v[32:33], off
	s_wait_loadcnt 0x0
	v_fmac_f32_e32 v29, v52, v40
	global_store_b32 v[32:33], v29, off
.LBB0_53:                               ;   in Loop: Header=BB0_8 Depth=2
	s_wait_xcnt 0x0
	s_or_b32 exec_lo, exec_lo, s4
	s_and_b32 s5, s3, vcc_lo
	s_delay_alu instid0(SALU_CYCLE_1)
	s_and_saveexec_b32 s4, s5
	s_cbranch_execz .LBB0_7
; %bb.54:                               ;   in Loop: Header=BB0_8 Depth=2
	v_lshl_add_u64 v[30:31], v[12:13], 2, v[30:31]
	global_load_b32 v29, v[30:31], off
	s_wait_loadcnt 0x0
	v_fmac_f32_e32 v29, v52, v41
	global_store_b32 v[30:31], v29, off
	s_branch .LBB0_7
.LBB0_55:
	s_sendmsg sendmsg(MSG_DEALLOC_VGPRS)
	s_endpgm
	.section	.rodata,"a",@progbits
	.p2align	6, 0x0
	.amdhsa_kernel _ZL30rocblas_trmm_outofplace_kernelIfLi32ELi2ELb1ELb0ELb0ELb0EPKfS0_fEv17rocblas_diagonal_iiT6_lPT7_lllS5_lllPT8_llli
		.amdhsa_group_segment_fixed_size 8192
		.amdhsa_private_segment_fixed_size 0
		.amdhsa_kernarg_size 392
		.amdhsa_user_sgpr_count 2
		.amdhsa_user_sgpr_dispatch_ptr 0
		.amdhsa_user_sgpr_queue_ptr 0
		.amdhsa_user_sgpr_kernarg_segment_ptr 1
		.amdhsa_user_sgpr_dispatch_id 0
		.amdhsa_user_sgpr_kernarg_preload_length 0
		.amdhsa_user_sgpr_kernarg_preload_offset 0
		.amdhsa_user_sgpr_private_segment_size 0
		.amdhsa_wavefront_size32 1
		.amdhsa_uses_dynamic_stack 0
		.amdhsa_enable_private_segment 0
		.amdhsa_system_sgpr_workgroup_id_x 1
		.amdhsa_system_sgpr_workgroup_id_y 1
		.amdhsa_system_sgpr_workgroup_id_z 1
		.amdhsa_system_sgpr_workgroup_info 0
		.amdhsa_system_vgpr_workitem_id 1
		.amdhsa_next_free_vgpr 76
		.amdhsa_next_free_sgpr 57
		.amdhsa_named_barrier_count 0
		.amdhsa_reserve_vcc 1
		.amdhsa_float_round_mode_32 0
		.amdhsa_float_round_mode_16_64 0
		.amdhsa_float_denorm_mode_32 3
		.amdhsa_float_denorm_mode_16_64 3
		.amdhsa_fp16_overflow 0
		.amdhsa_memory_ordered 1
		.amdhsa_forward_progress 1
		.amdhsa_inst_pref_size 25
		.amdhsa_round_robin_scheduling 0
		.amdhsa_exception_fp_ieee_invalid_op 0
		.amdhsa_exception_fp_denorm_src 0
		.amdhsa_exception_fp_ieee_div_zero 0
		.amdhsa_exception_fp_ieee_overflow 0
		.amdhsa_exception_fp_ieee_underflow 0
		.amdhsa_exception_fp_ieee_inexact 0
		.amdhsa_exception_int_div_zero 0
	.end_amdhsa_kernel
	.section	.text._ZL30rocblas_trmm_outofplace_kernelIfLi32ELi2ELb1ELb0ELb0ELb0EPKfS0_fEv17rocblas_diagonal_iiT6_lPT7_lllS5_lllPT8_llli,"axG",@progbits,_ZL30rocblas_trmm_outofplace_kernelIfLi32ELi2ELb1ELb0ELb0ELb0EPKfS0_fEv17rocblas_diagonal_iiT6_lPT7_lllS5_lllPT8_llli,comdat
.Lfunc_end0:
	.size	_ZL30rocblas_trmm_outofplace_kernelIfLi32ELi2ELb1ELb0ELb0ELb0EPKfS0_fEv17rocblas_diagonal_iiT6_lPT7_lllS5_lllPT8_llli, .Lfunc_end0-_ZL30rocblas_trmm_outofplace_kernelIfLi32ELi2ELb1ELb0ELb0ELb0EPKfS0_fEv17rocblas_diagonal_iiT6_lPT7_lllS5_lllPT8_llli
                                        ; -- End function
	.set _ZL30rocblas_trmm_outofplace_kernelIfLi32ELi2ELb1ELb0ELb0ELb0EPKfS0_fEv17rocblas_diagonal_iiT6_lPT7_lllS5_lllPT8_llli.num_vgpr, 76
	.set _ZL30rocblas_trmm_outofplace_kernelIfLi32ELi2ELb1ELb0ELb0ELb0EPKfS0_fEv17rocblas_diagonal_iiT6_lPT7_lllS5_lllPT8_llli.num_agpr, 0
	.set _ZL30rocblas_trmm_outofplace_kernelIfLi32ELi2ELb1ELb0ELb0ELb0EPKfS0_fEv17rocblas_diagonal_iiT6_lPT7_lllS5_lllPT8_llli.numbered_sgpr, 57
	.set _ZL30rocblas_trmm_outofplace_kernelIfLi32ELi2ELb1ELb0ELb0ELb0EPKfS0_fEv17rocblas_diagonal_iiT6_lPT7_lllS5_lllPT8_llli.num_named_barrier, 0
	.set _ZL30rocblas_trmm_outofplace_kernelIfLi32ELi2ELb1ELb0ELb0ELb0EPKfS0_fEv17rocblas_diagonal_iiT6_lPT7_lllS5_lllPT8_llli.private_seg_size, 0
	.set _ZL30rocblas_trmm_outofplace_kernelIfLi32ELi2ELb1ELb0ELb0ELb0EPKfS0_fEv17rocblas_diagonal_iiT6_lPT7_lllS5_lllPT8_llli.uses_vcc, 1
	.set _ZL30rocblas_trmm_outofplace_kernelIfLi32ELi2ELb1ELb0ELb0ELb0EPKfS0_fEv17rocblas_diagonal_iiT6_lPT7_lllS5_lllPT8_llli.uses_flat_scratch, 0
	.set _ZL30rocblas_trmm_outofplace_kernelIfLi32ELi2ELb1ELb0ELb0ELb0EPKfS0_fEv17rocblas_diagonal_iiT6_lPT7_lllS5_lllPT8_llli.has_dyn_sized_stack, 0
	.set _ZL30rocblas_trmm_outofplace_kernelIfLi32ELi2ELb1ELb0ELb0ELb0EPKfS0_fEv17rocblas_diagonal_iiT6_lPT7_lllS5_lllPT8_llli.has_recursion, 0
	.set _ZL30rocblas_trmm_outofplace_kernelIfLi32ELi2ELb1ELb0ELb0ELb0EPKfS0_fEv17rocblas_diagonal_iiT6_lPT7_lllS5_lllPT8_llli.has_indirect_call, 0
	.section	.AMDGPU.csdata,"",@progbits
; Kernel info:
; codeLenInByte = 3160
; TotalNumSgprs: 59
; NumVgprs: 76
; ScratchSize: 0
; MemoryBound: 0
; FloatMode: 240
; IeeeMode: 1
; LDSByteSize: 8192 bytes/workgroup (compile time only)
; SGPRBlocks: 0
; VGPRBlocks: 4
; NumSGPRsForWavesPerEU: 59
; NumVGPRsForWavesPerEU: 76
; NamedBarCnt: 0
; Occupancy: 12
; WaveLimiterHint : 0
; COMPUTE_PGM_RSRC2:SCRATCH_EN: 0
; COMPUTE_PGM_RSRC2:USER_SGPR: 2
; COMPUTE_PGM_RSRC2:TRAP_HANDLER: 0
; COMPUTE_PGM_RSRC2:TGID_X_EN: 1
; COMPUTE_PGM_RSRC2:TGID_Y_EN: 1
; COMPUTE_PGM_RSRC2:TGID_Z_EN: 1
; COMPUTE_PGM_RSRC2:TIDIG_COMP_CNT: 1
	.section	.text._ZL30rocblas_trmm_outofplace_kernelIfLi32ELi2ELb1ELb0ELb0ELb0EfKffEv17rocblas_diagonal_iiT6_lPT7_lllS4_lllPT8_llli,"axG",@progbits,_ZL30rocblas_trmm_outofplace_kernelIfLi32ELi2ELb1ELb0ELb0ELb0EfKffEv17rocblas_diagonal_iiT6_lPT7_lllS4_lllPT8_llli,comdat
	.globl	_ZL30rocblas_trmm_outofplace_kernelIfLi32ELi2ELb1ELb0ELb0ELb0EfKffEv17rocblas_diagonal_iiT6_lPT7_lllS4_lllPT8_llli ; -- Begin function _ZL30rocblas_trmm_outofplace_kernelIfLi32ELi2ELb1ELb0ELb0ELb0EfKffEv17rocblas_diagonal_iiT6_lPT7_lllS4_lllPT8_llli
	.p2align	8
	.type	_ZL30rocblas_trmm_outofplace_kernelIfLi32ELi2ELb1ELb0ELb0ELb0EfKffEv17rocblas_diagonal_iiT6_lPT7_lllS4_lllPT8_llli,@function
_ZL30rocblas_trmm_outofplace_kernelIfLi32ELi2ELb1ELb0ELb0ELb0EfKffEv17rocblas_diagonal_iiT6_lPT7_lllS4_lllPT8_llli: ; @_ZL30rocblas_trmm_outofplace_kernelIfLi32ELi2ELb1ELb0ELb0ELb0EfKffEv17rocblas_diagonal_iiT6_lPT7_lllS4_lllPT8_llli
; %bb.0:
	s_load_b32 s33, s[0:1], 0x78
	s_bfe_u32 s2, ttmp6, 0x40014
	s_lshr_b32 s3, ttmp7, 16
	s_add_co_i32 s2, s2, 1
	s_bfe_u32 s5, ttmp6, 0x40008
	s_mul_i32 s4, s3, s2
	s_getreg_b32 s2, hwreg(HW_REG_IB_STS2, 6, 4)
	s_add_co_i32 s5, s5, s4
	s_cmp_eq_u32 s2, 0
	s_cselect_b32 s34, s3, s5
	s_wait_kmcnt 0x0
	s_cmp_ge_u32 s34, s33
	s_cbranch_scc1 .LBB1_54
; %bb.1:
	s_load_b128 s[28:31], s[0:1], 0x0
	s_wait_kmcnt 0x0
	s_cmp_eq_f32 s31, 0
	s_cbranch_scc1 .LBB1_54
; %bb.2:
	s_add_co_i32 s3, s30, -1
	s_bfe_u32 s6, ttmp6, 0x4000c
	s_ashr_i32 s5, s3, 31
	s_bfe_u32 s7, ttmp6, 0x40010
	s_lshr_b32 s5, s5, 27
	s_add_co_i32 s6, s6, 1
	s_add_co_i32 s3, s3, s5
	;; [unrolled: 1-line block ×3, first 2 shown]
	s_ashr_i32 s44, s3, 5
	s_and_b32 s3, ttmp7, 0xffff
	s_and_b32 s4, ttmp6, 15
	s_mul_i32 s5, ttmp9, s6
	s_mul_i32 s6, s3, s7
	s_bfe_u32 s7, ttmp6, 0x40004
	s_add_co_i32 s4, s4, s5
	s_add_co_i32 s7, s7, s6
	s_cmp_eq_u32 s2, 0
	s_load_b256 s[20:27], s[0:1], 0x58
	s_cselect_b32 s45, s3, s7
	s_cselect_b32 s2, ttmp9, s4
	s_load_b512 s[4:19], s[0:1], 0x18
	v_and_b32_e32 v2, 0x3ff, v0
	s_cmp_le_i32 s45, s44
	v_mov_b32_e32 v1, 0
	s_cselect_b32 s46, -1, 0
	s_lshl_b32 s47, s2, 5
	v_bfe_u32 v0, v0, 10, 10
	v_add_nc_u32_e32 v4, s47, v2
	s_cmp_gt_i32 s2, -1
	v_lshlrev_b32_e32 v6, 2, v2
	s_cselect_b32 s48, -1, 0
	s_cmp_eq_u32 s28, 0x84
	v_lshl_add_u32 v20, v0, 2, 64
	s_cselect_b32 s49, -1, 0
	v_lshlrev_b32_e32 v7, 7, v0
	v_dual_ashrrev_i32 v5, 31, v4 :: v_dual_mov_b32 v3, v1
	s_wait_kmcnt 0x0
	s_lshl_b64 s[2:3], s[22:23], 2
	s_delay_alu instid0(VALU_DEP_2)
	v_dual_add_nc_u32 v10, 16, v4 :: v_dual_add_nc_u32 v51, v6, v7
	v_mul_u64_e32 v[22:23], s[8:9], v[0:1]
	s_add_nc_u64 s[20:21], s[20:21], s[2:3]
	s_lshl_b64 s[2:3], s[6:7], 2
	v_dual_mov_b32 v7, v1 :: v_dual_add_nc_u32 v50, 0x1000, v7
	s_add_nc_u64 s[4:5], s[4:5], s[2:3]
	s_lshl_b64 s[2:3], s[14:15], 2
	v_mad_nc_u64_u32 v[12:13], s8, v20, s[4:5]
	s_add_nc_u64 s[2:3], s[12:13], s[2:3]
	v_add_nc_u64_e32 v[8:9], 16, v[4:5]
	v_sub_nc_u64_e32 v[14:15], v[4:5], v[0:1]
	v_add_nc_u64_e32 v[18:19], s[2:3], v[6:7]
	s_ashr_i32 s37, s29, 31
	s_mov_b32 s36, s29
	s_add_nc_u64 s[22:23], s[0:1], 0x80
	v_dual_mov_b32 v53, 1.0 :: v_dual_add_nc_u32 v52, v50, v6
	v_cmp_le_i64_e64 s1, s[36:37], v[8:9]
	v_mad_u32 v13, s9, v20, v13
	v_add_nc_u64_e32 v[16:17], -16, v[14:15]
	v_add_nc_u64_e32 v[18:19], 64, v[18:19]
	v_lshlrev_b64_e32 v[20:21], 2, v[4:5]
	v_cmp_le_i32_e64 s0, s29, v4
	v_cmp_gt_i32_e64 s2, s29, v4
	v_cmp_gt_i32_e64 s3, s29, v10
	v_ashrrev_i32_e32 v11, 31, v10
	v_lshl_add_u32 v7, s45, 5, v0
	s_mov_b32 s35, 0
	s_ashr_i32 s39, s30, 31
	s_mov_b32 s38, s30
	s_lshl_b64 s[40:41], s[8:9], 7
	s_add_nc_u64 s[12:13], s[36:37], -16
	v_lshl_add_u64 v[22:23], v[22:23], 2, s[4:5]
	s_lshl_b64 s[14:15], s[18:19], 2
	s_lshl_b64 s[18:19], s[16:17], 2
	;; [unrolled: 1-line block ×3, first 2 shown]
	s_branch .LBB1_4
.LBB1_3:                                ;   in Loop: Header=BB1_4 Depth=1
	s_add_co_i32 s34, s34, 0x10000
	s_delay_alu instid0(SALU_CYCLE_1)
	s_cmp_ge_u32 s34, s33
	s_cbranch_scc1 .LBB1_54
.LBB1_4:                                ; =>This Loop Header: Depth=1
                                        ;     Child Loop BB1_7 Depth 2
                                        ;       Child Loop BB1_10 Depth 3
	s_and_not1_b32 vcc_lo, exec_lo, s46
	s_cbranch_vccnz .LBB1_3
; %bb.5:                                ;   in Loop: Header=BB1_4 Depth=1
	s_load_b32 s9, s[22:23], 0x4
	v_mad_nc_u64_u32 v[24:25], s14, s34, v[18:19]
	v_mad_nc_u64_u32 v[26:27], s10, s34, v[12:13]
	;; [unrolled: 1-line block ×3, first 2 shown]
	s_mul_i32 s6, s11, s34
	s_mul_u64 s[4:5], s[26:27], s[34:35]
	v_mov_b32_e32 v30, v7
	s_lshl_b64 s[4:5], s[4:5], 2
	s_mov_b32 s51, s45
	s_add_nc_u64 s[28:29], s[20:21], s[4:5]
	s_delay_alu instid0(VALU_DEP_4) | instskip(NEXT) | instid1(VALU_DEP_3)
	v_mad_u32 v25, s15, s34, v25
	v_dual_add_nc_u32 v27, s6, v27 :: v_dual_add_nc_u32 v29, s6, v29
	s_wait_kmcnt 0x0
	s_lshl_b32 s50, s9, 5
	s_branch .LBB1_7
.LBB1_6:                                ;   in Loop: Header=BB1_7 Depth=2
	s_wait_xcnt 0x0
	s_or_b32 exec_lo, exec_lo, s4
	v_add_nc_u32_e32 v30, s50, v30
	s_add_co_i32 s51, s9, s51
	s_delay_alu instid0(SALU_CYCLE_1)
	s_cmp_gt_i32 s51, s44
	s_cbranch_scc1 .LBB1_3
.LBB1_7:                                ;   Parent Loop BB1_4 Depth=1
                                        ; =>  This Loop Header: Depth=2
                                        ;       Child Loop BB1_10 Depth 3
	v_lshl_add_u32 v32, s51, 5, v0
	v_mov_b32_e32 v45, 0
	s_and_not1_b32 vcc_lo, exec_lo, s48
	s_delay_alu instid0(VALU_DEP_1)
	v_dual_mov_b32 v44, v45 :: v_dual_ashrrev_i32 v33, 31, v32
	v_dual_mov_b32 v43, v45 :: v_dual_mov_b32 v42, v45
	s_cbranch_vccnz .LBB1_46
; %bb.8:                                ;   in Loop: Header=BB1_7 Depth=2
	v_dual_mov_b32 v42, 0 :: v_dual_ashrrev_i32 v31, 31, v30
	v_mad_nc_u64_u32 v[34:35], s18, v30, v[24:25]
	v_sub_nc_u64_e32 v[40:41], s[38:39], v[32:33]
	s_mov_b64 s[42:43], 0
	s_delay_alu instid0(VALU_DEP_3) | instskip(SKIP_2) | instid1(VALU_DEP_4)
	v_lshl_add_u64 v[38:39], v[30:31], 2, 64
	v_dual_mov_b32 v43, v42 :: v_dual_mov_b32 v44, v42
	v_mov_b32_e32 v45, v42
	v_cmp_lt_i64_e32 vcc_lo, 0, v[40:41]
	s_delay_alu instid0(VALU_DEP_4) | instskip(SKIP_3) | instid1(VALU_DEP_4)
	v_mad_nc_u64_u32 v[36:37], s16, v38, v[24:25]
	v_cmp_lt_i64_e64 s4, 16, v[40:41]
	v_mad_u32 v35, s19, v30, v35
	v_mov_b64_e32 v[40:41], v[26:27]
	v_mad_u32 v37, s17, v38, v37
	s_delay_alu instid0(VALU_DEP_3) | instskip(NEXT) | instid1(VALU_DEP_2)
	v_mad_u32 v35, s18, v31, v35
	v_mad_u32 v37, s16, v39, v37
	v_mov_b64_e32 v[38:39], v[28:29]
	s_branch .LBB1_10
.LBB1_9:                                ;   in Loop: Header=BB1_10 Depth=3
	s_wait_xcnt 0x0
	s_or_b32 exec_lo, exec_lo, s5
	s_wait_dscnt 0x0
	s_barrier_signal -1
	s_barrier_wait -1
	ds_load_b128 v[46:49], v50
	ds_load_2addr_b32 v[66:67], v6 offset1:16
	ds_load_b128 v[54:57], v50 offset:2048
	ds_load_2addr_b32 v[68:69], v6 offset0:32 offset1:48
	ds_load_2addr_b32 v[70:71], v6 offset0:64 offset1:80
	ds_load_2addr_b32 v[72:73], v6 offset0:96 offset1:112
	ds_load_b128 v[58:61], v50 offset:16
	ds_load_2addr_b32 v[74:75], v6 offset0:128 offset1:144
	ds_load_b128 v[62:65], v50 offset:2064
	v_add_nc_u32_e32 v31, 0x400, v6
	v_add_nc_u32_e32 v76, 0x800, v6
	v_add_nc_u64_e32 v[34:35], 0x80, v[34:35]
	v_add_nc_u64_e32 v[40:41], s[40:41], v[40:41]
	;; [unrolled: 1-line block ×4, first 2 shown]
	s_add_nc_u64 s[42:43], s[42:43], 32
	s_delay_alu instid0(SALU_CYCLE_1) | instskip(NEXT) | instid1(SALU_CYCLE_1)
	s_sub_co_i32 s5, s42, 32
	s_cmp_ge_i32 s5, s47
	s_wait_dscnt 0x7
	v_pk_fma_f32 v[44:45], v[66:67], v[46:47], v[44:45] op_sel_hi:[1,0,1]
	s_wait_dscnt 0x6
	v_pk_fma_f32 v[42:43], v[66:67], v[54:55], v[42:43] op_sel_hi:[1,0,1]
	ds_load_2addr_b32 v[66:67], v6 offset0:160 offset1:176
	s_wait_dscnt 0x6
	v_pk_fma_f32 v[44:45], v[68:69], v[46:47], v[44:45] op_sel:[0,1,0]
	v_pk_fma_f32 v[42:43], v[68:69], v[54:55], v[42:43] op_sel:[0,1,0]
	v_dual_mov_b32 v46, v49 :: v_dual_mov_b32 v68, v57
	ds_load_2addr_b32 v[54:55], v6 offset0:192 offset1:208
	s_wait_dscnt 0x6
	v_pk_fma_f32 v[44:45], v[70:71], v[48:49], v[44:45] op_sel_hi:[1,0,1]
	v_pk_fma_f32 v[42:43], v[70:71], v[56:57], v[42:43] op_sel_hi:[1,0,1]
	ds_load_2addr_b32 v[56:57], v6 offset0:224 offset1:240
	s_wait_dscnt 0x6
	v_pk_fma_f32 v[70:71], v[72:73], v[46:47], v[44:45] op_sel_hi:[1,0,1]
	v_pk_fma_f32 v[68:69], v[72:73], v[68:69], v[42:43] op_sel_hi:[1,0,1]
	s_wait_dscnt 0x4
	s_delay_alu instid0(VALU_DEP_2) | instskip(SKIP_1) | instid1(VALU_DEP_2)
	v_pk_fma_f32 v[70:71], v[74:75], v[58:59], v[70:71] op_sel_hi:[1,0,1]
	s_wait_dscnt 0x3
	v_pk_fma_f32 v[68:69], v[74:75], v[62:63], v[68:69] op_sel_hi:[1,0,1]
	s_wait_dscnt 0x2
	s_delay_alu instid0(VALU_DEP_2) | instskip(NEXT) | instid1(VALU_DEP_2)
	v_pk_fma_f32 v[58:59], v[66:67], v[58:59], v[70:71] op_sel:[0,1,0]
	v_pk_fma_f32 v[62:63], v[66:67], v[62:63], v[68:69] op_sel:[0,1,0]
	v_mov_b32_e32 v68, v61
	ds_load_b128 v[42:45], v50 offset:32
	ds_load_b128 v[46:49], v50 offset:2080
	ds_load_2addr_b32 v[72:73], v31 offset1:16
	ds_load_2addr_b32 v[74:75], v31 offset0:32 offset1:48
	ds_load_2addr_b32 v[66:67], v31 offset0:64 offset1:80
	s_wait_dscnt 0x6
	v_pk_fma_f32 v[58:59], v[54:55], v[60:61], v[58:59] op_sel_hi:[1,0,1]
	v_mov_b32_e32 v70, v65
	v_pk_fma_f32 v[54:55], v[54:55], v[64:65], v[62:63] op_sel_hi:[1,0,1]
	ds_load_2addr_b32 v[62:63], v31 offset0:96 offset1:112
	s_wait_dscnt 0x6
	v_pk_fma_f32 v[64:65], v[56:57], v[68:69], v[58:59] op_sel_hi:[1,0,1]
	v_pk_fma_f32 v[68:69], v[56:57], v[70:71], v[54:55] op_sel_hi:[1,0,1]
	ds_load_b128 v[54:57], v50 offset:48
	ds_load_b128 v[58:61], v50 offset:2096
	ds_load_2addr_b32 v[70:71], v31 offset0:128 offset1:144
	s_wait_dscnt 0x6
	v_pk_fma_f32 v[64:65], v[72:73], v[42:43], v[64:65] op_sel_hi:[1,0,1]
	v_pk_fma_f32 v[68:69], v[72:73], v[46:47], v[68:69] op_sel_hi:[1,0,1]
	ds_load_2addr_b32 v[72:73], v31 offset0:160 offset1:176
	s_wait_dscnt 0x6
	v_pk_fma_f32 v[42:43], v[74:75], v[42:43], v[64:65] op_sel:[0,1,0]
	v_pk_fma_f32 v[46:47], v[74:75], v[46:47], v[68:69] op_sel:[0,1,0]
	v_mov_b32_e32 v68, v45
	ds_load_2addr_b32 v[64:65], v31 offset0:192 offset1:208
	v_mov_b32_e32 v74, v49
	s_wait_dscnt 0x6
	v_pk_fma_f32 v[42:43], v[66:67], v[44:45], v[42:43] op_sel_hi:[1,0,1]
	v_pk_fma_f32 v[44:45], v[66:67], v[48:49], v[46:47] op_sel_hi:[1,0,1]
	ds_load_2addr_b32 v[66:67], v31 offset0:224 offset1:240
	v_add_nc_u32_e32 v31, 0xc00, v6
	s_wait_dscnt 0x6
	v_pk_fma_f32 v[68:69], v[62:63], v[68:69], v[42:43] op_sel_hi:[1,0,1]
	s_wait_dscnt 0x3
	s_delay_alu instid0(VALU_DEP_1) | instskip(SKIP_1) | instid1(VALU_DEP_1)
	v_pk_fma_f32 v[68:69], v[70:71], v[54:55], v[68:69] op_sel_hi:[1,0,1]
	s_wait_dscnt 0x2
	v_pk_fma_f32 v[54:55], v[72:73], v[54:55], v[68:69] op_sel:[0,1,0]
	v_mov_b32_e32 v68, v57
	v_pk_fma_f32 v[62:63], v[62:63], v[74:75], v[44:45] op_sel_hi:[1,0,1]
	ds_load_b128 v[42:45], v50 offset:64
	ds_load_b128 v[46:49], v50 offset:2112
	ds_load_2addr_b32 v[74:75], v76 offset1:16
	s_wait_dscnt 0x4
	v_pk_fma_f32 v[54:55], v[64:65], v[56:57], v[54:55] op_sel_hi:[1,0,1]
	v_pk_fma_f32 v[62:63], v[70:71], v[58:59], v[62:63] op_sel_hi:[1,0,1]
	ds_load_2addr_b32 v[70:71], v76 offset0:32 offset1:48
	s_wait_dscnt 0x4
	v_pk_fma_f32 v[68:69], v[66:67], v[68:69], v[54:55] op_sel_hi:[1,0,1]
	v_pk_fma_f32 v[58:59], v[72:73], v[58:59], v[62:63] op_sel:[0,1,0]
	ds_load_2addr_b32 v[62:63], v76 offset0:64 offset1:80
	v_mov_b32_e32 v72, v61
	v_pk_fma_f32 v[56:57], v[64:65], v[60:61], v[58:59] op_sel_hi:[1,0,1]
	ds_load_2addr_b32 v[64:65], v76 offset0:96 offset1:112
	s_wait_dscnt 0x3
	v_pk_fma_f32 v[68:69], v[74:75], v[42:43], v[68:69] op_sel_hi:[1,0,1]
	s_wait_dscnt 0x2
	s_delay_alu instid0(VALU_DEP_1)
	v_pk_fma_f32 v[42:43], v[70:71], v[42:43], v[68:69] op_sel:[0,1,0]
	v_mov_b32_e32 v68, v45
	v_pk_fma_f32 v[66:67], v[66:67], v[72:73], v[56:57] op_sel_hi:[1,0,1]
	ds_load_b128 v[54:57], v50 offset:80
	ds_load_b128 v[58:61], v50 offset:2128
	ds_load_2addr_b32 v[72:73], v76 offset0:128 offset1:144
	s_wait_dscnt 0x4
	v_pk_fma_f32 v[42:43], v[62:63], v[44:45], v[42:43] op_sel_hi:[1,0,1]
	v_pk_fma_f32 v[66:67], v[74:75], v[46:47], v[66:67] op_sel_hi:[1,0,1]
	ds_load_2addr_b32 v[74:75], v76 offset0:160 offset1:176
	s_wait_dscnt 0x4
	v_pk_fma_f32 v[68:69], v[64:65], v[68:69], v[42:43] op_sel_hi:[1,0,1]
	v_pk_fma_f32 v[46:47], v[70:71], v[46:47], v[66:67] op_sel:[0,1,0]
	ds_load_2addr_b32 v[66:67], v76 offset0:192 offset1:208
	v_mov_b32_e32 v70, v49
	v_pk_fma_f32 v[44:45], v[62:63], v[48:49], v[46:47] op_sel_hi:[1,0,1]
	ds_load_2addr_b32 v[62:63], v76 offset0:224 offset1:240
	v_pk_fma_f32 v[64:65], v[64:65], v[70:71], v[44:45] op_sel_hi:[1,0,1]
	ds_load_b128 v[42:45], v50 offset:96
	ds_load_b128 v[46:49], v50 offset:2144
	ds_load_2addr_b32 v[70:71], v31 offset1:16
	s_wait_dscnt 0x6
	v_pk_fma_f32 v[68:69], v[72:73], v[54:55], v[68:69] op_sel_hi:[1,0,1]
	v_pk_fma_f32 v[64:65], v[72:73], v[58:59], v[64:65] op_sel_hi:[1,0,1]
	ds_load_2addr_b32 v[72:73], v31 offset0:32 offset1:48
	s_wait_dscnt 0x6
	v_pk_fma_f32 v[54:55], v[74:75], v[54:55], v[68:69] op_sel:[0,1,0]
	v_mov_b32_e32 v68, v57
	v_pk_fma_f32 v[58:59], v[74:75], v[58:59], v[64:65] op_sel:[0,1,0]
	ds_load_2addr_b32 v[64:65], v31 offset0:64 offset1:80
	v_mov_b32_e32 v74, v61
	s_wait_dscnt 0x6
	v_pk_fma_f32 v[54:55], v[66:67], v[56:57], v[54:55] op_sel_hi:[1,0,1]
	v_pk_fma_f32 v[56:57], v[66:67], v[60:61], v[58:59] op_sel_hi:[1,0,1]
	ds_load_2addr_b32 v[66:67], v31 offset0:96 offset1:112
	s_wait_dscnt 0x6
	v_pk_fma_f32 v[68:69], v[62:63], v[68:69], v[54:55] op_sel_hi:[1,0,1]
	v_pk_fma_f32 v[62:63], v[62:63], v[74:75], v[56:57] op_sel_hi:[1,0,1]
	ds_load_b128 v[54:57], v50 offset:112
	ds_load_b128 v[58:61], v50 offset:2160
	ds_load_2addr_b32 v[74:75], v31 offset0:128 offset1:144
	s_wait_dscnt 0x6
	v_pk_fma_f32 v[68:69], v[70:71], v[42:43], v[68:69] op_sel_hi:[1,0,1]
	v_pk_fma_f32 v[62:63], v[70:71], v[46:47], v[62:63] op_sel_hi:[1,0,1]
	ds_load_2addr_b32 v[70:71], v31 offset0:160 offset1:176
	s_wait_dscnt 0x6
	v_pk_fma_f32 v[42:43], v[72:73], v[42:43], v[68:69] op_sel:[0,1,0]
	v_mov_b32_e32 v68, v45
	v_pk_fma_f32 v[46:47], v[72:73], v[46:47], v[62:63] op_sel:[0,1,0]
	ds_load_2addr_b32 v[62:63], v31 offset0:192 offset1:208
	v_mov_b32_e32 v72, v49
	s_wait_dscnt 0x6
	v_pk_fma_f32 v[42:43], v[64:65], v[44:45], v[42:43] op_sel_hi:[1,0,1]
	v_pk_fma_f32 v[44:45], v[64:65], v[48:49], v[46:47] op_sel_hi:[1,0,1]
	ds_load_2addr_b32 v[46:47], v31 offset0:224 offset1:240
	s_wait_dscnt 0x0
	v_pk_fma_f32 v[42:43], v[66:67], v[68:69], v[42:43] op_sel_hi:[1,0,1]
	v_mov_b32_e32 v48, v57
	v_pk_fma_f32 v[44:45], v[66:67], v[72:73], v[44:45] op_sel_hi:[1,0,1]
	s_barrier_signal -1
	s_barrier_wait -1
	v_pk_fma_f32 v[42:43], v[74:75], v[54:55], v[42:43] op_sel_hi:[1,0,1]
	s_delay_alu instid0(VALU_DEP_2) | instskip(NEXT) | instid1(VALU_DEP_2)
	v_pk_fma_f32 v[44:45], v[74:75], v[58:59], v[44:45] op_sel_hi:[1,0,1]
	v_pk_fma_f32 v[42:43], v[70:71], v[54:55], v[42:43] op_sel:[0,1,0]
	v_mov_b32_e32 v54, v61
	s_delay_alu instid0(VALU_DEP_3) | instskip(NEXT) | instid1(VALU_DEP_3)
	v_pk_fma_f32 v[44:45], v[70:71], v[58:59], v[44:45] op_sel:[0,1,0]
	v_pk_fma_f32 v[42:43], v[62:63], v[56:57], v[42:43] op_sel_hi:[1,0,1]
	s_delay_alu instid0(VALU_DEP_2) | instskip(NEXT) | instid1(VALU_DEP_2)
	v_pk_fma_f32 v[56:57], v[62:63], v[60:61], v[44:45] op_sel_hi:[1,0,1]
	v_pk_fma_f32 v[44:45], v[46:47], v[48:49], v[42:43] op_sel_hi:[1,0,1]
	s_delay_alu instid0(VALU_DEP_2)
	v_pk_fma_f32 v[42:43], v[46:47], v[54:55], v[56:57] op_sel_hi:[1,0,1]
	s_cbranch_scc1 .LBB1_46
.LBB1_10:                               ;   Parent Loop BB1_4 Depth=1
                                        ;     Parent Loop BB1_7 Depth=2
                                        ; =>    This Inner Loop Header: Depth=3
	v_add_nc_u64_e32 v[46:47], s[42:43], v[0:1]
	v_cmp_eq_u64_e64 s7, s[42:43], v[14:15]
	s_delay_alu instid0(VALU_DEP_3) | instskip(NEXT) | instid1(VALU_DEP_3)
	v_add_nc_u64_e32 v[48:49], v[38:39], v[20:21]
                                        ; implicit-def: $vgpr31
	v_cmp_le_i64_e64 s6, s[36:37], v[46:47]
	v_cmp_gt_i64_e64 s5, v[46:47], v[4:5]
	s_and_b32 s52, s49, s7
	s_or_b32 s7, s6, s5
	s_delay_alu instid0(SALU_CYCLE_1) | instskip(NEXT) | instid1(SALU_CYCLE_1)
	s_or_b32 s7, s7, s52
	s_nor_b32 s7, s0, s7
	s_delay_alu instid0(SALU_CYCLE_1) | instskip(NEXT) | instid1(SALU_CYCLE_1)
	s_and_saveexec_b32 s8, s7
	s_xor_b32 s7, exec_lo, s8
	s_cbranch_execz .LBB1_12
; %bb.11:                               ;   in Loop: Header=BB1_10 Depth=3
	global_load_b32 v31, v[48:49], off
.LBB1_12:                               ;   in Loop: Header=BB1_10 Depth=3
	s_wait_xcnt 0x0
	s_and_not1_saveexec_b32 s7, s7
	s_cbranch_execz .LBB1_14
; %bb.13:                               ;   in Loop: Header=BB1_10 Depth=3
	s_wait_loadcnt 0x0
	v_cndmask_b32_e64 v31, 0, 1.0, s52
.LBB1_14:                               ;   in Loop: Header=BB1_10 Depth=3
	s_or_b32 exec_lo, exec_lo, s7
	v_add_nc_u64_e32 v[54:55], 16, v[14:15]
	v_cmp_lt_i64_e64 s8, v[8:9], v[46:47]
	s_wait_loadcnt 0x0
	ds_store_b32 v51, v31
	v_cmp_eq_u64_e64 s7, s[42:43], v[54:55]
	s_or_b32 s6, s6, s8
	s_and_b32 s7, s49, s7
	s_delay_alu instid0(SALU_CYCLE_1) | instskip(NEXT) | instid1(SALU_CYCLE_1)
	s_or_b32 s6, s6, s7
	s_nor_b32 s6, s1, s6
	s_delay_alu instid0(SALU_CYCLE_1) | instskip(NEXT) | instid1(SALU_CYCLE_1)
	s_and_saveexec_b32 s8, s6
	s_xor_b32 s6, exec_lo, s8
	s_cbranch_execz .LBB1_16
; %bb.15:                               ;   in Loop: Header=BB1_10 Depth=3
	global_load_b32 v31, v[48:49], off offset:64
	s_wait_loadcnt 0x0
	ds_store_b32 v51, v31 offset:64
.LBB1_16:                               ;   in Loop: Header=BB1_10 Depth=3
	s_wait_xcnt 0x0
	s_and_not1_saveexec_b32 s6, s6
	s_cbranch_execz .LBB1_22
; %bb.17:                               ;   in Loop: Header=BB1_10 Depth=3
	s_xor_b32 s7, s7, -1
	s_delay_alu instid0(SALU_CYCLE_1) | instskip(NEXT) | instid1(SALU_CYCLE_1)
	s_and_saveexec_b32 s8, s7
	s_xor_b32 s7, exec_lo, s8
; %bb.18:                               ;   in Loop: Header=BB1_10 Depth=3
	ds_store_b32 v51, v1 offset:64
; %bb.19:                               ;   in Loop: Header=BB1_10 Depth=3
	s_and_not1_saveexec_b32 s7, s7
; %bb.20:                               ;   in Loop: Header=BB1_10 Depth=3
	ds_store_b32 v51, v53 offset:64
; %bb.21:                               ;   in Loop: Header=BB1_10 Depth=3
	s_or_b32 exec_lo, exec_lo, s7
.LBB1_22:                               ;   in Loop: Header=BB1_10 Depth=3
	s_delay_alu instid0(SALU_CYCLE_1) | instskip(SKIP_2) | instid1(VALU_DEP_2)
	s_or_b32 exec_lo, exec_lo, s6
	v_add_nc_u64_e32 v[46:47], 16, v[46:47]
	v_cmp_eq_u64_e64 s7, s[42:43], v[16:17]
                                        ; implicit-def: $vgpr31
	v_cmp_le_i64_e64 s6, s[36:37], v[46:47]
	v_cmp_gt_i64_e64 s8, v[46:47], v[4:5]
	v_add_nc_u64_e32 v[46:47], v[40:41], v[20:21]
	s_and_b32 s7, s49, s7
	s_or_b32 s8, s6, s8
	s_delay_alu instid0(SALU_CYCLE_1) | instskip(NEXT) | instid1(SALU_CYCLE_1)
	s_or_b32 s8, s8, s7
	s_nor_b32 s8, s0, s8
	s_delay_alu instid0(SALU_CYCLE_1) | instskip(NEXT) | instid1(SALU_CYCLE_1)
	s_and_saveexec_b32 s53, s8
	s_xor_b32 s8, exec_lo, s53
	s_cbranch_execz .LBB1_24
; %bb.23:                               ;   in Loop: Header=BB1_10 Depth=3
	global_load_b32 v31, v[46:47], off
.LBB1_24:                               ;   in Loop: Header=BB1_10 Depth=3
	s_wait_xcnt 0x0
	s_and_not1_saveexec_b32 s8, s8
	s_cbranch_execz .LBB1_26
; %bb.25:                               ;   in Loop: Header=BB1_10 Depth=3
	s_wait_loadcnt 0x0
	v_cndmask_b32_e64 v31, 0, 1.0, s7
.LBB1_26:                               ;   in Loop: Header=BB1_10 Depth=3
	s_or_b32 exec_lo, exec_lo, s8
	s_or_b32 s5, s6, s5
	s_wait_loadcnt 0x0
	ds_store_b32 v51, v31 offset:2048
	s_or_b32 s5, s5, s52
	s_delay_alu instid0(SALU_CYCLE_1) | instskip(NEXT) | instid1(SALU_CYCLE_1)
	s_nor_b32 s5, s1, s5
	s_and_saveexec_b32 s6, s5
	s_delay_alu instid0(SALU_CYCLE_1)
	s_xor_b32 s5, exec_lo, s6
	s_cbranch_execz .LBB1_28
; %bb.27:                               ;   in Loop: Header=BB1_10 Depth=3
	global_load_b32 v31, v[46:47], off offset:64
	s_wait_loadcnt 0x0
	ds_store_b32 v51, v31 offset:2112
.LBB1_28:                               ;   in Loop: Header=BB1_10 Depth=3
	s_wait_xcnt 0x0
	s_and_not1_saveexec_b32 s5, s5
	s_cbranch_execz .LBB1_34
; %bb.29:                               ;   in Loop: Header=BB1_10 Depth=3
	s_xor_b32 s6, s52, -1
	s_delay_alu instid0(SALU_CYCLE_1) | instskip(NEXT) | instid1(SALU_CYCLE_1)
	s_and_saveexec_b32 s7, s6
	s_xor_b32 s6, exec_lo, s7
; %bb.30:                               ;   in Loop: Header=BB1_10 Depth=3
	ds_store_b32 v51, v1 offset:2112
; %bb.31:                               ;   in Loop: Header=BB1_10 Depth=3
	s_and_not1_saveexec_b32 s6, s6
; %bb.32:                               ;   in Loop: Header=BB1_10 Depth=3
	ds_store_b32 v51, v53 offset:2112
; %bb.33:                               ;   in Loop: Header=BB1_10 Depth=3
	s_or_b32 exec_lo, exec_lo, s6
.LBB1_34:                               ;   in Loop: Header=BB1_10 Depth=3
	s_delay_alu instid0(SALU_CYCLE_1) | instskip(SKIP_2) | instid1(VALU_DEP_2)
	s_or_b32 exec_lo, exec_lo, s5
	v_add_nc_u64_e32 v[46:47], s[42:43], v[2:3]
	v_mov_b32_e32 v31, 0
	v_cmp_gt_i64_e64 s5, s[36:37], v[46:47]
	s_and_b32 s7, vcc_lo, s5
	s_delay_alu instid0(SALU_CYCLE_1)
	s_and_saveexec_b32 s6, s7
	s_cbranch_execz .LBB1_36
; %bb.35:                               ;   in Loop: Header=BB1_10 Depth=3
	global_load_b32 v31, v[34:35], off offset:-64
.LBB1_36:                               ;   in Loop: Header=BB1_10 Depth=3
	s_wait_xcnt 0x0
	s_or_b32 exec_lo, exec_lo, s6
	v_cmp_gt_i64_e64 s6, s[12:13], v[46:47]
	s_wait_loadcnt 0x0
	ds_store_b32 v52, v31
	s_and_b32 s7, vcc_lo, s6
	s_delay_alu instid0(SALU_CYCLE_1) | instskip(NEXT) | instid1(SALU_CYCLE_1)
	s_xor_b32 s7, s7, -1
	s_and_saveexec_b32 s8, s7
	s_delay_alu instid0(SALU_CYCLE_1)
	s_xor_b32 s7, exec_lo, s8
; %bb.37:                               ;   in Loop: Header=BB1_10 Depth=3
	ds_store_b32 v52, v1 offset:64
; %bb.38:                               ;   in Loop: Header=BB1_10 Depth=3
	s_and_not1_saveexec_b32 s7, s7
	s_cbranch_execz .LBB1_40
; %bb.39:                               ;   in Loop: Header=BB1_10 Depth=3
	global_load_b32 v31, v[34:35], off
	s_wait_loadcnt 0x0
	ds_store_b32 v52, v31 offset:64
.LBB1_40:                               ;   in Loop: Header=BB1_10 Depth=3
	s_wait_xcnt 0x0
	s_or_b32 exec_lo, exec_lo, s7
	v_mov_b32_e32 v31, 0
	s_and_b32 s7, s4, s5
	s_delay_alu instid0(SALU_CYCLE_1)
	s_and_saveexec_b32 s5, s7
	s_cbranch_execz .LBB1_42
; %bb.41:                               ;   in Loop: Header=BB1_10 Depth=3
	global_load_b32 v31, v[36:37], off offset:-64
.LBB1_42:                               ;   in Loop: Header=BB1_10 Depth=3
	s_wait_xcnt 0x0
	s_or_b32 exec_lo, exec_lo, s5
	s_and_b32 s5, s4, s6
	s_wait_loadcnt 0x0
	ds_store_b32 v52, v31 offset:2048
	s_xor_b32 s5, s5, -1
	s_delay_alu instid0(SALU_CYCLE_1) | instskip(NEXT) | instid1(SALU_CYCLE_1)
	s_and_saveexec_b32 s6, s5
	s_xor_b32 s5, exec_lo, s6
; %bb.43:                               ;   in Loop: Header=BB1_10 Depth=3
	ds_store_b32 v52, v1 offset:2112
; %bb.44:                               ;   in Loop: Header=BB1_10 Depth=3
	s_and_not1_saveexec_b32 s5, s5
	s_cbranch_execz .LBB1_9
; %bb.45:                               ;   in Loop: Header=BB1_10 Depth=3
	global_load_b32 v31, v[36:37], off
	s_wait_loadcnt 0x0
	ds_store_b32 v52, v31 offset:2112
	s_branch .LBB1_9
.LBB1_46:                               ;   in Loop: Header=BB1_7 Depth=2
	s_delay_alu instid0(VALU_DEP_2) | instskip(SKIP_2) | instid1(VALU_DEP_2)
	v_mul_u64_e32 v[34:35], s[24:25], v[32:33]
	v_cmp_gt_i32_e32 vcc_lo, s30, v32
	s_and_b32 s5, s2, vcc_lo
	v_lshl_add_u64 v[34:35], v[34:35], 2, s[28:29]
	s_and_saveexec_b32 s4, s5
	s_cbranch_execz .LBB1_48
; %bb.47:                               ;   in Loop: Header=BB1_7 Depth=2
	s_delay_alu instid0(VALU_DEP_1)
	v_lshl_add_u64 v[36:37], v[4:5], 2, v[34:35]
	global_load_b32 v31, v[36:37], off
	s_wait_loadcnt 0x0
	v_fmac_f32_e32 v31, s31, v44
	global_store_b32 v[36:37], v31, off
.LBB1_48:                               ;   in Loop: Header=BB1_7 Depth=2
	s_wait_xcnt 0x0
	s_or_b32 exec_lo, exec_lo, s4
	s_and_b32 s5, s3, vcc_lo
	s_delay_alu instid0(SALU_CYCLE_1)
	s_and_saveexec_b32 s4, s5
	s_cbranch_execz .LBB1_50
; %bb.49:                               ;   in Loop: Header=BB1_7 Depth=2
	v_lshl_add_u64 v[34:35], v[10:11], 2, v[34:35]
	global_load_b32 v31, v[34:35], off
	s_wait_loadcnt 0x0
	v_fmac_f32_e32 v31, s31, v45
	global_store_b32 v[34:35], v31, off
.LBB1_50:                               ;   in Loop: Header=BB1_7 Depth=2
	s_wait_xcnt 0x0
	s_or_b32 exec_lo, exec_lo, s4
	v_add_nc_u32_e32 v32, 16, v32
	s_delay_alu instid0(VALU_DEP_1) | instskip(SKIP_1) | instid1(VALU_DEP_2)
	v_ashrrev_i32_e32 v33, 31, v32
	v_cmp_gt_i32_e32 vcc_lo, s30, v32
	v_mul_u64_e32 v[34:35], s[24:25], v[32:33]
	s_and_b32 s5, s2, vcc_lo
	s_delay_alu instid0(VALU_DEP_1)
	v_lshl_add_u64 v[32:33], v[34:35], 2, s[28:29]
	s_and_saveexec_b32 s4, s5
	s_cbranch_execz .LBB1_52
; %bb.51:                               ;   in Loop: Header=BB1_7 Depth=2
	s_delay_alu instid0(VALU_DEP_1)
	v_lshl_add_u64 v[34:35], v[4:5], 2, v[32:33]
	global_load_b32 v31, v[34:35], off
	s_wait_loadcnt 0x0
	v_fmac_f32_e32 v31, s31, v42
	global_store_b32 v[34:35], v31, off
.LBB1_52:                               ;   in Loop: Header=BB1_7 Depth=2
	s_wait_xcnt 0x0
	s_or_b32 exec_lo, exec_lo, s4
	s_and_b32 s5, s3, vcc_lo
	s_delay_alu instid0(SALU_CYCLE_1)
	s_and_saveexec_b32 s4, s5
	s_cbranch_execz .LBB1_6
; %bb.53:                               ;   in Loop: Header=BB1_7 Depth=2
	v_lshl_add_u64 v[32:33], v[10:11], 2, v[32:33]
	global_load_b32 v31, v[32:33], off
	s_wait_loadcnt 0x0
	v_fmac_f32_e32 v31, s31, v43
	global_store_b32 v[32:33], v31, off
	s_branch .LBB1_6
.LBB1_54:
	s_sendmsg sendmsg(MSG_DEALLOC_VGPRS)
	s_endpgm
	.section	.rodata,"a",@progbits
	.p2align	6, 0x0
	.amdhsa_kernel _ZL30rocblas_trmm_outofplace_kernelIfLi32ELi2ELb1ELb0ELb0ELb0EfKffEv17rocblas_diagonal_iiT6_lPT7_lllS4_lllPT8_llli
		.amdhsa_group_segment_fixed_size 8192
		.amdhsa_private_segment_fixed_size 0
		.amdhsa_kernarg_size 384
		.amdhsa_user_sgpr_count 2
		.amdhsa_user_sgpr_dispatch_ptr 0
		.amdhsa_user_sgpr_queue_ptr 0
		.amdhsa_user_sgpr_kernarg_segment_ptr 1
		.amdhsa_user_sgpr_dispatch_id 0
		.amdhsa_user_sgpr_kernarg_preload_length 0
		.amdhsa_user_sgpr_kernarg_preload_offset 0
		.amdhsa_user_sgpr_private_segment_size 0
		.amdhsa_wavefront_size32 1
		.amdhsa_uses_dynamic_stack 0
		.amdhsa_enable_private_segment 0
		.amdhsa_system_sgpr_workgroup_id_x 1
		.amdhsa_system_sgpr_workgroup_id_y 1
		.amdhsa_system_sgpr_workgroup_id_z 1
		.amdhsa_system_sgpr_workgroup_info 0
		.amdhsa_system_vgpr_workitem_id 1
		.amdhsa_next_free_vgpr 77
		.amdhsa_next_free_sgpr 54
		.amdhsa_named_barrier_count 0
		.amdhsa_reserve_vcc 1
		.amdhsa_float_round_mode_32 0
		.amdhsa_float_round_mode_16_64 0
		.amdhsa_float_denorm_mode_32 3
		.amdhsa_float_denorm_mode_16_64 3
		.amdhsa_fp16_overflow 0
		.amdhsa_memory_ordered 1
		.amdhsa_forward_progress 1
		.amdhsa_inst_pref_size 25
		.amdhsa_round_robin_scheduling 0
		.amdhsa_exception_fp_ieee_invalid_op 0
		.amdhsa_exception_fp_denorm_src 0
		.amdhsa_exception_fp_ieee_div_zero 0
		.amdhsa_exception_fp_ieee_overflow 0
		.amdhsa_exception_fp_ieee_underflow 0
		.amdhsa_exception_fp_ieee_inexact 0
		.amdhsa_exception_int_div_zero 0
	.end_amdhsa_kernel
	.section	.text._ZL30rocblas_trmm_outofplace_kernelIfLi32ELi2ELb1ELb0ELb0ELb0EfKffEv17rocblas_diagonal_iiT6_lPT7_lllS4_lllPT8_llli,"axG",@progbits,_ZL30rocblas_trmm_outofplace_kernelIfLi32ELi2ELb1ELb0ELb0ELb0EfKffEv17rocblas_diagonal_iiT6_lPT7_lllS4_lllPT8_llli,comdat
.Lfunc_end1:
	.size	_ZL30rocblas_trmm_outofplace_kernelIfLi32ELi2ELb1ELb0ELb0ELb0EfKffEv17rocblas_diagonal_iiT6_lPT7_lllS4_lllPT8_llli, .Lfunc_end1-_ZL30rocblas_trmm_outofplace_kernelIfLi32ELi2ELb1ELb0ELb0ELb0EfKffEv17rocblas_diagonal_iiT6_lPT7_lllS4_lllPT8_llli
                                        ; -- End function
	.set _ZL30rocblas_trmm_outofplace_kernelIfLi32ELi2ELb1ELb0ELb0ELb0EfKffEv17rocblas_diagonal_iiT6_lPT7_lllS4_lllPT8_llli.num_vgpr, 77
	.set _ZL30rocblas_trmm_outofplace_kernelIfLi32ELi2ELb1ELb0ELb0ELb0EfKffEv17rocblas_diagonal_iiT6_lPT7_lllS4_lllPT8_llli.num_agpr, 0
	.set _ZL30rocblas_trmm_outofplace_kernelIfLi32ELi2ELb1ELb0ELb0ELb0EfKffEv17rocblas_diagonal_iiT6_lPT7_lllS4_lllPT8_llli.numbered_sgpr, 54
	.set _ZL30rocblas_trmm_outofplace_kernelIfLi32ELi2ELb1ELb0ELb0ELb0EfKffEv17rocblas_diagonal_iiT6_lPT7_lllS4_lllPT8_llli.num_named_barrier, 0
	.set _ZL30rocblas_trmm_outofplace_kernelIfLi32ELi2ELb1ELb0ELb0ELb0EfKffEv17rocblas_diagonal_iiT6_lPT7_lllS4_lllPT8_llli.private_seg_size, 0
	.set _ZL30rocblas_trmm_outofplace_kernelIfLi32ELi2ELb1ELb0ELb0ELb0EfKffEv17rocblas_diagonal_iiT6_lPT7_lllS4_lllPT8_llli.uses_vcc, 1
	.set _ZL30rocblas_trmm_outofplace_kernelIfLi32ELi2ELb1ELb0ELb0ELb0EfKffEv17rocblas_diagonal_iiT6_lPT7_lllS4_lllPT8_llli.uses_flat_scratch, 0
	.set _ZL30rocblas_trmm_outofplace_kernelIfLi32ELi2ELb1ELb0ELb0ELb0EfKffEv17rocblas_diagonal_iiT6_lPT7_lllS4_lllPT8_llli.has_dyn_sized_stack, 0
	.set _ZL30rocblas_trmm_outofplace_kernelIfLi32ELi2ELb1ELb0ELb0ELb0EfKffEv17rocblas_diagonal_iiT6_lPT7_lllS4_lllPT8_llli.has_recursion, 0
	.set _ZL30rocblas_trmm_outofplace_kernelIfLi32ELi2ELb1ELb0ELb0ELb0EfKffEv17rocblas_diagonal_iiT6_lPT7_lllS4_lllPT8_llli.has_indirect_call, 0
	.section	.AMDGPU.csdata,"",@progbits
; Kernel info:
; codeLenInByte = 3080
; TotalNumSgprs: 56
; NumVgprs: 77
; ScratchSize: 0
; MemoryBound: 0
; FloatMode: 240
; IeeeMode: 1
; LDSByteSize: 8192 bytes/workgroup (compile time only)
; SGPRBlocks: 0
; VGPRBlocks: 4
; NumSGPRsForWavesPerEU: 56
; NumVGPRsForWavesPerEU: 77
; NamedBarCnt: 0
; Occupancy: 12
; WaveLimiterHint : 0
; COMPUTE_PGM_RSRC2:SCRATCH_EN: 0
; COMPUTE_PGM_RSRC2:USER_SGPR: 2
; COMPUTE_PGM_RSRC2:TRAP_HANDLER: 0
; COMPUTE_PGM_RSRC2:TGID_X_EN: 1
; COMPUTE_PGM_RSRC2:TGID_Y_EN: 1
; COMPUTE_PGM_RSRC2:TGID_Z_EN: 1
; COMPUTE_PGM_RSRC2:TIDIG_COMP_CNT: 1
	.section	.text._ZL30rocblas_trmm_outofplace_kernelIfLi32ELi2ELb1ELb1ELb0ELb0EPKfS0_fEv17rocblas_diagonal_iiT6_lPT7_lllS5_lllPT8_llli,"axG",@progbits,_ZL30rocblas_trmm_outofplace_kernelIfLi32ELi2ELb1ELb1ELb0ELb0EPKfS0_fEv17rocblas_diagonal_iiT6_lPT7_lllS5_lllPT8_llli,comdat
	.globl	_ZL30rocblas_trmm_outofplace_kernelIfLi32ELi2ELb1ELb1ELb0ELb0EPKfS0_fEv17rocblas_diagonal_iiT6_lPT7_lllS5_lllPT8_llli ; -- Begin function _ZL30rocblas_trmm_outofplace_kernelIfLi32ELi2ELb1ELb1ELb0ELb0EPKfS0_fEv17rocblas_diagonal_iiT6_lPT7_lllS5_lllPT8_llli
	.p2align	8
	.type	_ZL30rocblas_trmm_outofplace_kernelIfLi32ELi2ELb1ELb1ELb0ELb0EPKfS0_fEv17rocblas_diagonal_iiT6_lPT7_lllS5_lllPT8_llli,@function
_ZL30rocblas_trmm_outofplace_kernelIfLi32ELi2ELb1ELb1ELb0ELb0EPKfS0_fEv17rocblas_diagonal_iiT6_lPT7_lllS5_lllPT8_llli: ; @_ZL30rocblas_trmm_outofplace_kernelIfLi32ELi2ELb1ELb1ELb0ELb0EPKfS0_fEv17rocblas_diagonal_iiT6_lPT7_lllS5_lllPT8_llli
; %bb.0:
	s_load_b32 s11, s[0:1], 0x80
	s_bfe_u32 s2, ttmp6, 0x40014
	s_lshr_b32 s3, ttmp7, 16
	s_add_co_i32 s2, s2, 1
	s_bfe_u32 s5, ttmp6, 0x40008
	s_mul_i32 s4, s3, s2
	s_getreg_b32 s2, hwreg(HW_REG_IB_STS2, 6, 4)
	s_add_co_i32 s5, s5, s4
	s_cmp_eq_u32 s2, 0
	s_mov_b32 s35, 0
	s_cselect_b32 s34, s3, s5
	s_wait_kmcnt 0x0
	s_cmp_ge_u32 s34, s11
	s_cbranch_scc1 .LBB2_56
; %bb.1:
	s_clause 0x3
	s_load_b96 s[8:10], s[0:1], 0x0
	s_load_b512 s[12:27], s[0:1], 0x10
	s_load_b256 s[36:43], s[0:1], 0x50
	s_load_b128 s[28:31], s[0:1], 0x70
	s_bfe_u32 s4, ttmp6, 0x4000c
	s_bfe_u32 s6, ttmp6, 0x40010
	s_and_b32 s5, ttmp7, 0xffff
	s_add_nc_u64 s[44:45], s[0:1], 0x88
	s_add_co_i32 s4, s4, 1
	s_add_co_i32 s6, s6, 1
	s_and_b32 s3, ttmp6, 15
	s_wait_xcnt 0x0
	s_mul_i32 s0, ttmp9, s4
	s_mul_i32 s4, s5, s6
	s_bfe_u32 s7, ttmp6, 0x40004
	s_add_co_i32 s3, s3, s0
	s_add_co_i32 s7, s7, s4
	v_bfe_u32 v44, v0, 10, 10
	v_and_b32_e32 v2, 0x3ff, v0
	v_mov_b32_e32 v51, 1.0
	s_wait_kmcnt 0x0
	s_add_co_i32 s1, s10, -1
	s_delay_alu instid0(VALU_DEP_2) | instskip(SKIP_1) | instid1(SALU_CYCLE_1)
	v_dual_lshlrev_b32 v1, 7, v44 :: v_dual_lshlrev_b32 v45, 2, v2
	s_ashr_i32 s6, s1, 31
	s_lshr_b32 s0, s6, 27
	s_delay_alu instid0(VALU_DEP_1)
	v_add_nc_u32_e32 v48, 0x1000, v1
	s_add_co_i32 s4, s1, s0
	s_lshl_b64 s[0:1], s[42:43], 2
	s_ashr_i32 s33, s4, 5
	s_cmp_eq_u32 s2, 0
	s_add_nc_u64 s[40:41], s[40:41], s[0:1]
	s_cselect_b32 s52, s5, s7
	s_cselect_b32 s2, ttmp9, s3
	s_cmp_le_i32 s52, s33
	v_lshl_add_u32 v50, s52, 5, v44
	s_cselect_b32 s53, -1, 0
	s_lshl_b32 s6, s2, 5
	s_delay_alu instid0(SALU_CYCLE_1) | instskip(SKIP_3) | instid1(VALU_DEP_3)
	v_dual_mov_b32 v46, 0 :: v_dual_add_nc_u32 v0, s6, v44
	v_add_nc_u32_e32 v47, v45, v1
	s_sub_co_i32 s54, s9, s6
	v_dual_add_nc_u32 v49, v48, v45 :: v_dual_add_nc_u32 v2, s6, v2
	v_ashrrev_i32_e32 v1, 31, v0
	s_cmp_gt_i32 s54, 0
	s_cselect_b32 s55, -1, 0
	s_cmp_eq_u32 s8, 0x84
	s_delay_alu instid0(VALU_DEP_1)
	v_lshl_add_u64 v[14:15], v[0:1], 2, 64
	s_cselect_b32 s56, -1, 0
	v_mul_u64_e32 v[18:19], s[20:21], v[0:1]
	s_lshl_b64 s[2:3], s[18:19], 2
	v_dual_ashrrev_i32 v3, 31, v2 :: v_dual_add_nc_u32 v6, 16, v2
	s_add_nc_u64 s[4:5], s[16:17], s[2:3]
	s_mov_b32 s18, s9
	v_mad_nc_u64_u32 v[4:5], s20, v14, s[4:5]
	s_delay_alu instid0(VALU_DEP_2)
	v_add_nc_u64_e32 v[8:9], 16, v[2:3]
	v_sub_nc_u64_e32 v[10:11], v[2:3], v[0:1]
	s_ashr_i32 s19, s9, 31
	s_lshl_b64 s[2:3], s[26:27], 2
	v_lshlrev_b64_e32 v[12:13], 2, v[2:3]
	s_add_nc_u64 s[6:7], s[24:25], s[2:3]
	v_cmp_le_i32_e64 s0, s9, v2
	v_cmp_le_i64_e64 s3, s[18:19], v[8:9]
	v_add_nc_u64_e32 v[16:17], -16, v[10:11]
	v_cmp_gt_i32_e64 s1, s9, v2
	v_mad_u32 v5, s21, v14, v5
	v_cmp_gt_i32_e64 s2, s9, v6
	v_ashrrev_i32_e32 v7, 31, v6
	s_mov_b32 s16, s10
	s_ashr_i32 s17, s10, 31
	s_lshl_b64 s[42:43], s[20:21], 7
	s_add_nc_u64 s[26:27], s[18:19], -16
	s_add_nc_u64 s[24:25], s[6:7], 64
	s_lshl_b64 s[22:23], s[22:23], 2
	v_mad_u32 v5, s20, v15, v5
	v_add_nc_u64_e32 v[14:15], 16, v[10:11]
	s_lshl_b64 s[20:21], s[38:39], 2
	s_lshl_b64 s[38:39], s[36:37], 2
	v_lshl_add_u64 v[18:19], v[18:19], 2, s[4:5]
	s_branch .LBB2_4
.LBB2_2:                                ;   in Loop: Header=BB2_4 Depth=1
	s_add_co_i32 s34, s34, 0x10000
	s_delay_alu instid0(SALU_CYCLE_1)
	s_cmp_ge_u32 s34, s11
	s_cselect_b32 s4, -1, 0
.LBB2_3:                                ;   in Loop: Header=BB2_4 Depth=1
	s_delay_alu instid0(SALU_CYCLE_1)
	s_and_b32 vcc_lo, exec_lo, s4
	s_cbranch_vccnz .LBB2_56
.LBB2_4:                                ; =>This Loop Header: Depth=1
                                        ;     Child Loop BB2_8 Depth 2
                                        ;       Child Loop BB2_11 Depth 3
	s_mul_u64 s[4:5], s[14:15], s[34:35]
	s_delay_alu instid0(SALU_CYCLE_1) | instskip(NEXT) | instid1(SALU_CYCLE_1)
	s_lshl_b64 s[4:5], s[4:5], 2
	s_add_nc_u64 s[4:5], s[12:13], s[4:5]
	global_load_b32 v52, v46, s[4:5]
	s_wait_xcnt 0x0
	s_mov_b32 s4, -1
	s_wait_loadcnt 0x0
	v_cmp_eq_f32_e32 vcc_lo, 0, v52
	s_cbranch_vccnz .LBB2_3
; %bb.5:                                ;   in Loop: Header=BB2_4 Depth=1
	s_and_not1_b32 vcc_lo, exec_lo, s53
	s_cbranch_vccnz .LBB2_2
; %bb.6:                                ;   in Loop: Header=BB2_4 Depth=1
	s_load_b32 s9, s[44:45], 0x4
	v_mad_nc_u64_u32 v[20:21], s22, s34, v[4:5]
	v_mad_nc_u64_u32 v[22:23], s22, s34, v[18:19]
	s_mul_i32 s8, s23, s34
	s_mul_u64 s[6:7], s[30:31], s[34:35]
	v_mov_b32_e32 v24, v50
	s_mul_u64 s[4:5], s[20:21], s[34:35]
	s_lshl_b64 s[6:7], s[6:7], 2
	s_add_nc_u64 s[46:47], s[24:25], s[4:5]
	s_add_nc_u64 s[48:49], s[40:41], s[6:7]
	s_mov_b32 s58, s52
	s_delay_alu instid0(VALU_DEP_2)
	v_dual_add_nc_u32 v21, s8, v21 :: v_dual_add_nc_u32 v23, s8, v23
	s_wait_kmcnt 0x0
	s_lshl_b32 s57, s9, 5
	s_branch .LBB2_8
.LBB2_7:                                ;   in Loop: Header=BB2_8 Depth=2
	s_wait_xcnt 0x0
	s_or_b32 exec_lo, exec_lo, s4
	v_add_nc_u32_e32 v24, s57, v24
	s_add_co_i32 s58, s9, s58
	s_delay_alu instid0(SALU_CYCLE_1)
	s_cmp_gt_i32 s58, s33
	s_cbranch_scc1 .LBB2_2
.LBB2_8:                                ;   Parent Loop BB2_4 Depth=1
                                        ; =>  This Loop Header: Depth=2
                                        ;       Child Loop BB2_11 Depth 3
	v_lshl_add_u32 v26, s58, 5, v44
	s_and_not1_b32 vcc_lo, exec_lo, s55
	s_delay_alu instid0(VALU_DEP_1)
	v_ashrrev_i32_e32 v27, 31, v26
	s_cbranch_vccnz .LBB2_47
; %bb.9:                                ;   in Loop: Header=BB2_8 Depth=2
	v_dual_mov_b32 v36, 0 :: v_dual_ashrrev_i32 v25, 31, v24
	v_mad_nc_u64_u32 v[28:29], s38, v24, s[46:47]
	s_delay_alu instid0(VALU_DEP_3) | instskip(SKIP_1) | instid1(VALU_DEP_3)
	v_sub_nc_u64_e32 v[34:35], s[16:17], v[26:27]
	s_mov_b64 s[50:51], 0
	v_lshl_add_u64 v[32:33], v[24:25], 2, 64
	v_dual_mov_b32 v37, v36 :: v_dual_mov_b32 v38, v36
	v_mov_b32_e32 v39, v36
	s_delay_alu instid0(VALU_DEP_4) | instskip(NEXT) | instid1(VALU_DEP_4)
	v_cmp_lt_i64_e32 vcc_lo, 0, v[34:35]
	v_mad_nc_u64_u32 v[30:31], s36, v32, s[46:47]
	v_cmp_lt_i64_e64 s4, 16, v[34:35]
	v_mad_u32 v29, s39, v24, v29
	v_mov_b64_e32 v[34:35], v[20:21]
	s_delay_alu instid0(VALU_DEP_4) | instskip(NEXT) | instid1(VALU_DEP_3)
	v_mad_u32 v31, s37, v32, v31
	v_mad_u32 v29, s38, v25, v29
	s_delay_alu instid0(VALU_DEP_2)
	v_mad_u32 v31, s36, v33, v31
	v_mov_b64_e32 v[32:33], v[22:23]
	s_branch .LBB2_11
.LBB2_10:                               ;   in Loop: Header=BB2_11 Depth=3
	s_wait_xcnt 0x0
	s_or_b32 exec_lo, exec_lo, s5
	s_wait_dscnt 0x0
	s_barrier_signal -1
	s_barrier_wait -1
	ds_load_b128 v[40:43], v48
	ds_load_2addr_b32 v[66:67], v45 offset1:16
	ds_load_b128 v[54:57], v48 offset:2048
	ds_load_2addr_b32 v[68:69], v45 offset0:32 offset1:48
	ds_load_2addr_b32 v[70:71], v45 offset0:64 offset1:80
	;; [unrolled: 1-line block ×3, first 2 shown]
	ds_load_b128 v[58:61], v48 offset:16
	ds_load_2addr_b32 v[74:75], v45 offset0:128 offset1:144
	ds_load_b128 v[62:65], v48 offset:2064
	v_add_nc_u32_e32 v25, 0x400, v45
	v_add_nc_u64_e32 v[28:29], 0x80, v[28:29]
	v_add_nc_u64_e32 v[34:35], s[42:43], v[34:35]
	;; [unrolled: 1-line block ×4, first 2 shown]
	s_add_nc_u64 s[50:51], s[50:51], 32
	v_add_nc_u32_e32 v53, 0x800, v45
	s_cmp_ge_i32 s50, s54
	s_wait_dscnt 0x7
	v_pk_fma_f32 v[38:39], v[66:67], v[40:41], v[38:39] op_sel_hi:[1,0,1]
	s_wait_dscnt 0x6
	v_pk_fma_f32 v[36:37], v[66:67], v[54:55], v[36:37] op_sel_hi:[1,0,1]
	ds_load_2addr_b32 v[66:67], v45 offset0:160 offset1:176
	s_wait_dscnt 0x6
	v_pk_fma_f32 v[38:39], v[68:69], v[40:41], v[38:39] op_sel:[0,1,0]
	v_pk_fma_f32 v[36:37], v[68:69], v[54:55], v[36:37] op_sel:[0,1,0]
	v_dual_mov_b32 v40, v43 :: v_dual_mov_b32 v68, v57
	ds_load_2addr_b32 v[54:55], v45 offset0:192 offset1:208
	s_wait_dscnt 0x6
	v_pk_fma_f32 v[38:39], v[70:71], v[42:43], v[38:39] op_sel_hi:[1,0,1]
	v_pk_fma_f32 v[36:37], v[70:71], v[56:57], v[36:37] op_sel_hi:[1,0,1]
	ds_load_2addr_b32 v[56:57], v45 offset0:224 offset1:240
	s_wait_dscnt 0x6
	v_pk_fma_f32 v[70:71], v[72:73], v[40:41], v[38:39] op_sel_hi:[1,0,1]
	v_pk_fma_f32 v[68:69], v[72:73], v[68:69], v[36:37] op_sel_hi:[1,0,1]
	s_wait_dscnt 0x4
	s_delay_alu instid0(VALU_DEP_2) | instskip(SKIP_1) | instid1(VALU_DEP_2)
	v_pk_fma_f32 v[70:71], v[74:75], v[58:59], v[70:71] op_sel_hi:[1,0,1]
	s_wait_dscnt 0x3
	v_pk_fma_f32 v[68:69], v[74:75], v[62:63], v[68:69] op_sel_hi:[1,0,1]
	s_wait_dscnt 0x2
	s_delay_alu instid0(VALU_DEP_2) | instskip(NEXT) | instid1(VALU_DEP_2)
	v_pk_fma_f32 v[58:59], v[66:67], v[58:59], v[70:71] op_sel:[0,1,0]
	v_pk_fma_f32 v[62:63], v[66:67], v[62:63], v[68:69] op_sel:[0,1,0]
	v_mov_b32_e32 v68, v61
	ds_load_b128 v[36:39], v48 offset:32
	ds_load_b128 v[40:43], v48 offset:2080
	ds_load_2addr_b32 v[72:73], v25 offset1:16
	ds_load_2addr_b32 v[74:75], v25 offset0:32 offset1:48
	ds_load_2addr_b32 v[66:67], v25 offset0:64 offset1:80
	s_wait_dscnt 0x6
	v_pk_fma_f32 v[58:59], v[54:55], v[60:61], v[58:59] op_sel_hi:[1,0,1]
	v_mov_b32_e32 v70, v65
	v_pk_fma_f32 v[54:55], v[54:55], v[64:65], v[62:63] op_sel_hi:[1,0,1]
	ds_load_2addr_b32 v[62:63], v25 offset0:96 offset1:112
	s_wait_dscnt 0x6
	v_pk_fma_f32 v[64:65], v[56:57], v[68:69], v[58:59] op_sel_hi:[1,0,1]
	v_pk_fma_f32 v[68:69], v[56:57], v[70:71], v[54:55] op_sel_hi:[1,0,1]
	ds_load_b128 v[54:57], v48 offset:48
	ds_load_b128 v[58:61], v48 offset:2096
	ds_load_2addr_b32 v[70:71], v25 offset0:128 offset1:144
	s_wait_dscnt 0x6
	v_pk_fma_f32 v[64:65], v[72:73], v[36:37], v[64:65] op_sel_hi:[1,0,1]
	v_pk_fma_f32 v[68:69], v[72:73], v[40:41], v[68:69] op_sel_hi:[1,0,1]
	ds_load_2addr_b32 v[72:73], v25 offset0:160 offset1:176
	s_wait_dscnt 0x6
	v_pk_fma_f32 v[36:37], v[74:75], v[36:37], v[64:65] op_sel:[0,1,0]
	v_pk_fma_f32 v[40:41], v[74:75], v[40:41], v[68:69] op_sel:[0,1,0]
	ds_load_2addr_b32 v[64:65], v25 offset0:192 offset1:208
	v_dual_mov_b32 v68, v39 :: v_dual_mov_b32 v74, v43
	s_wait_dscnt 0x6
	v_pk_fma_f32 v[36:37], v[66:67], v[38:39], v[36:37] op_sel_hi:[1,0,1]
	v_pk_fma_f32 v[38:39], v[66:67], v[42:43], v[40:41] op_sel_hi:[1,0,1]
	ds_load_2addr_b32 v[66:67], v25 offset0:224 offset1:240
	s_wait_dscnt 0x6
	v_pk_fma_f32 v[68:69], v[62:63], v[68:69], v[36:37] op_sel_hi:[1,0,1]
	v_pk_fma_f32 v[62:63], v[62:63], v[74:75], v[38:39] op_sel_hi:[1,0,1]
	ds_load_b128 v[36:39], v48 offset:64
	ds_load_b128 v[40:43], v48 offset:2112
	ds_load_2addr_b32 v[74:75], v53 offset1:16
	s_wait_dscnt 0x6
	v_pk_fma_f32 v[68:69], v[70:71], v[54:55], v[68:69] op_sel_hi:[1,0,1]
	v_pk_fma_f32 v[62:63], v[70:71], v[58:59], v[62:63] op_sel_hi:[1,0,1]
	ds_load_2addr_b32 v[70:71], v53 offset0:32 offset1:48
	s_wait_dscnt 0x6
	v_pk_fma_f32 v[54:55], v[72:73], v[54:55], v[68:69] op_sel:[0,1,0]
	v_pk_fma_f32 v[58:59], v[72:73], v[58:59], v[62:63] op_sel:[0,1,0]
	ds_load_2addr_b32 v[62:63], v53 offset0:64 offset1:80
	v_dual_mov_b32 v68, v57 :: v_dual_mov_b32 v72, v61
	s_wait_dscnt 0x6
	v_pk_fma_f32 v[54:55], v[64:65], v[56:57], v[54:55] op_sel_hi:[1,0,1]
	v_pk_fma_f32 v[56:57], v[64:65], v[60:61], v[58:59] op_sel_hi:[1,0,1]
	ds_load_2addr_b32 v[64:65], v53 offset0:96 offset1:112
	s_wait_dscnt 0x6
	v_pk_fma_f32 v[68:69], v[66:67], v[68:69], v[54:55] op_sel_hi:[1,0,1]
	v_pk_fma_f32 v[66:67], v[66:67], v[72:73], v[56:57] op_sel_hi:[1,0,1]
	ds_load_b128 v[54:57], v48 offset:80
	ds_load_b128 v[58:61], v48 offset:2128
	ds_load_2addr_b32 v[72:73], v53 offset0:128 offset1:144
	v_add_nc_u32_e32 v25, 0xc00, v45
	s_wait_dscnt 0x6
	v_pk_fma_f32 v[68:69], v[74:75], v[36:37], v[68:69] op_sel_hi:[1,0,1]
	v_pk_fma_f32 v[66:67], v[74:75], v[40:41], v[66:67] op_sel_hi:[1,0,1]
	ds_load_2addr_b32 v[74:75], v53 offset0:160 offset1:176
	s_wait_dscnt 0x6
	v_pk_fma_f32 v[36:37], v[70:71], v[36:37], v[68:69] op_sel:[0,1,0]
	v_mov_b32_e32 v68, v39
	v_pk_fma_f32 v[40:41], v[70:71], v[40:41], v[66:67] op_sel:[0,1,0]
	ds_load_2addr_b32 v[66:67], v53 offset0:192 offset1:208
	v_mov_b32_e32 v70, v43
	s_wait_dscnt 0x6
	v_pk_fma_f32 v[36:37], v[62:63], v[38:39], v[36:37] op_sel_hi:[1,0,1]
	v_pk_fma_f32 v[38:39], v[62:63], v[42:43], v[40:41] op_sel_hi:[1,0,1]
	ds_load_2addr_b32 v[62:63], v53 offset0:224 offset1:240
	s_wait_dscnt 0x6
	v_pk_fma_f32 v[68:69], v[64:65], v[68:69], v[36:37] op_sel_hi:[1,0,1]
	v_pk_fma_f32 v[64:65], v[64:65], v[70:71], v[38:39] op_sel_hi:[1,0,1]
	s_wait_dscnt 0x3
	s_delay_alu instid0(VALU_DEP_2) | instskip(NEXT) | instid1(VALU_DEP_2)
	v_pk_fma_f32 v[68:69], v[72:73], v[54:55], v[68:69] op_sel_hi:[1,0,1]
	v_pk_fma_f32 v[64:65], v[72:73], v[58:59], v[64:65] op_sel_hi:[1,0,1]
	s_wait_dscnt 0x2
	s_delay_alu instid0(VALU_DEP_2)
	v_pk_fma_f32 v[54:55], v[74:75], v[54:55], v[68:69] op_sel:[0,1,0]
	v_mov_b32_e32 v68, v57
	ds_load_b128 v[36:39], v48 offset:96
	ds_load_b128 v[40:43], v48 offset:2144
	ds_load_2addr_b32 v[70:71], v25 offset1:16
	ds_load_2addr_b32 v[72:73], v25 offset0:32 offset1:48
	v_pk_fma_f32 v[58:59], v[74:75], v[58:59], v[64:65] op_sel:[0,1,0]
	s_wait_dscnt 0x5
	v_pk_fma_f32 v[54:55], v[66:67], v[56:57], v[54:55] op_sel_hi:[1,0,1]
	ds_load_2addr_b32 v[64:65], v25 offset0:64 offset1:80
	v_mov_b32_e32 v74, v61
	v_pk_fma_f32 v[56:57], v[66:67], v[60:61], v[58:59] op_sel_hi:[1,0,1]
	s_wait_dscnt 0x5
	v_pk_fma_f32 v[68:69], v[62:63], v[68:69], v[54:55] op_sel_hi:[1,0,1]
	ds_load_2addr_b32 v[66:67], v25 offset0:96 offset1:112
	s_wait_dscnt 0x3
	v_pk_fma_f32 v[68:69], v[70:71], v[36:37], v[68:69] op_sel_hi:[1,0,1]
	s_wait_dscnt 0x2
	s_delay_alu instid0(VALU_DEP_1)
	v_pk_fma_f32 v[36:37], v[72:73], v[36:37], v[68:69] op_sel:[0,1,0]
	v_mov_b32_e32 v68, v39
	v_pk_fma_f32 v[62:63], v[62:63], v[74:75], v[56:57] op_sel_hi:[1,0,1]
	ds_load_b128 v[54:57], v48 offset:112
	ds_load_b128 v[58:61], v48 offset:2160
	ds_load_2addr_b32 v[74:75], v25 offset0:128 offset1:144
	s_wait_dscnt 0x4
	v_pk_fma_f32 v[36:37], v[64:65], v[38:39], v[36:37] op_sel_hi:[1,0,1]
	v_pk_fma_f32 v[62:63], v[70:71], v[40:41], v[62:63] op_sel_hi:[1,0,1]
	ds_load_2addr_b32 v[70:71], v25 offset0:160 offset1:176
	s_wait_dscnt 0x4
	v_pk_fma_f32 v[36:37], v[66:67], v[68:69], v[36:37] op_sel_hi:[1,0,1]
	v_pk_fma_f32 v[40:41], v[72:73], v[40:41], v[62:63] op_sel:[0,1,0]
	ds_load_2addr_b32 v[62:63], v25 offset0:192 offset1:208
	v_mov_b32_e32 v72, v43
	v_pk_fma_f32 v[38:39], v[64:65], v[42:43], v[40:41] op_sel_hi:[1,0,1]
	ds_load_2addr_b32 v[40:41], v25 offset0:224 offset1:240
	s_wait_dscnt 0x0
	s_barrier_signal -1
	v_mov_b32_e32 v42, v57
	v_pk_fma_f32 v[38:39], v[66:67], v[72:73], v[38:39] op_sel_hi:[1,0,1]
	v_pk_fma_f32 v[36:37], v[74:75], v[54:55], v[36:37] op_sel_hi:[1,0,1]
	s_barrier_wait -1
	s_delay_alu instid0(VALU_DEP_2) | instskip(NEXT) | instid1(VALU_DEP_2)
	v_pk_fma_f32 v[38:39], v[74:75], v[58:59], v[38:39] op_sel_hi:[1,0,1]
	v_pk_fma_f32 v[36:37], v[70:71], v[54:55], v[36:37] op_sel:[0,1,0]
	v_mov_b32_e32 v54, v61
	s_delay_alu instid0(VALU_DEP_3) | instskip(NEXT) | instid1(VALU_DEP_3)
	v_pk_fma_f32 v[38:39], v[70:71], v[58:59], v[38:39] op_sel:[0,1,0]
	v_pk_fma_f32 v[36:37], v[62:63], v[56:57], v[36:37] op_sel_hi:[1,0,1]
	s_delay_alu instid0(VALU_DEP_2) | instskip(NEXT) | instid1(VALU_DEP_2)
	v_pk_fma_f32 v[56:57], v[62:63], v[60:61], v[38:39] op_sel_hi:[1,0,1]
	v_pk_fma_f32 v[38:39], v[40:41], v[42:43], v[36:37] op_sel_hi:[1,0,1]
	s_delay_alu instid0(VALU_DEP_2)
	v_pk_fma_f32 v[36:37], v[40:41], v[54:55], v[56:57] op_sel_hi:[1,0,1]
	s_cbranch_scc1 .LBB2_48
.LBB2_11:                               ;   Parent Loop BB2_4 Depth=1
                                        ;     Parent Loop BB2_8 Depth=2
                                        ; =>    This Inner Loop Header: Depth=3
	v_add_nc_u64_e32 v[40:41], s[50:51], v[0:1]
	v_cmp_eq_u64_e64 s7, s[50:51], v[10:11]
	s_delay_alu instid0(VALU_DEP_3) | instskip(NEXT) | instid1(VALU_DEP_3)
	v_add_nc_u64_e32 v[42:43], v[32:33], v[12:13]
                                        ; implicit-def: $vgpr25
	v_cmp_le_i64_e64 s6, s[18:19], v[40:41]
	v_cmp_lt_i64_e64 s5, v[40:41], v[2:3]
	s_and_b32 s59, s56, s7
	s_or_b32 s7, s6, s5
	s_delay_alu instid0(SALU_CYCLE_1) | instskip(NEXT) | instid1(SALU_CYCLE_1)
	s_or_b32 s7, s7, s59
	s_nor_b32 s7, s0, s7
	s_delay_alu instid0(SALU_CYCLE_1) | instskip(NEXT) | instid1(SALU_CYCLE_1)
	s_and_saveexec_b32 s8, s7
	s_xor_b32 s7, exec_lo, s8
	s_cbranch_execz .LBB2_13
; %bb.12:                               ;   in Loop: Header=BB2_11 Depth=3
	global_load_b32 v25, v[42:43], off
.LBB2_13:                               ;   in Loop: Header=BB2_11 Depth=3
	s_wait_xcnt 0x0
	s_and_not1_saveexec_b32 s7, s7
	s_cbranch_execz .LBB2_15
; %bb.14:                               ;   in Loop: Header=BB2_11 Depth=3
	s_wait_loadcnt 0x0
	v_cndmask_b32_e64 v25, 0, 1.0, s59
.LBB2_15:                               ;   in Loop: Header=BB2_11 Depth=3
	s_or_b32 exec_lo, exec_lo, s7
	v_cmp_eq_u64_e64 s7, s[50:51], v[14:15]
	v_cmp_gt_i64_e64 s8, v[8:9], v[40:41]
	s_wait_loadcnt 0x0
	ds_store_b32 v47, v25
	s_and_b32 s7, s56, s7
	s_or_b32 s6, s6, s8
	s_delay_alu instid0(SALU_CYCLE_1) | instskip(NEXT) | instid1(SALU_CYCLE_1)
	s_or_b32 s6, s6, s7
	s_nor_b32 s6, s3, s6
	s_delay_alu instid0(SALU_CYCLE_1) | instskip(NEXT) | instid1(SALU_CYCLE_1)
	s_and_saveexec_b32 s8, s6
	s_xor_b32 s6, exec_lo, s8
	s_cbranch_execz .LBB2_17
; %bb.16:                               ;   in Loop: Header=BB2_11 Depth=3
	global_load_b32 v25, v[42:43], off offset:64
	s_wait_loadcnt 0x0
	ds_store_b32 v47, v25 offset:64
.LBB2_17:                               ;   in Loop: Header=BB2_11 Depth=3
	s_wait_xcnt 0x0
	s_and_not1_saveexec_b32 s6, s6
	s_cbranch_execz .LBB2_23
; %bb.18:                               ;   in Loop: Header=BB2_11 Depth=3
	s_xor_b32 s7, s7, -1
	s_delay_alu instid0(SALU_CYCLE_1) | instskip(NEXT) | instid1(SALU_CYCLE_1)
	s_and_saveexec_b32 s8, s7
	s_xor_b32 s7, exec_lo, s8
; %bb.19:                               ;   in Loop: Header=BB2_11 Depth=3
	ds_store_b32 v47, v46 offset:64
; %bb.20:                               ;   in Loop: Header=BB2_11 Depth=3
	s_and_not1_saveexec_b32 s7, s7
; %bb.21:                               ;   in Loop: Header=BB2_11 Depth=3
	ds_store_b32 v47, v51 offset:64
; %bb.22:                               ;   in Loop: Header=BB2_11 Depth=3
	s_or_b32 exec_lo, exec_lo, s7
.LBB2_23:                               ;   in Loop: Header=BB2_11 Depth=3
	s_delay_alu instid0(SALU_CYCLE_1) | instskip(SKIP_2) | instid1(VALU_DEP_2)
	s_or_b32 exec_lo, exec_lo, s6
	v_add_nc_u64_e32 v[40:41], 16, v[40:41]
	v_cmp_eq_u64_e64 s7, s[50:51], v[16:17]
                                        ; implicit-def: $vgpr25
	v_cmp_le_i64_e64 s6, s[18:19], v[40:41]
	v_cmp_lt_i64_e64 s8, v[40:41], v[2:3]
	v_add_nc_u64_e32 v[40:41], v[34:35], v[12:13]
	s_and_b32 s7, s56, s7
	s_or_b32 s8, s6, s8
	s_delay_alu instid0(SALU_CYCLE_1) | instskip(NEXT) | instid1(SALU_CYCLE_1)
	s_or_b32 s8, s8, s7
	s_nor_b32 s8, s0, s8
	s_delay_alu instid0(SALU_CYCLE_1) | instskip(NEXT) | instid1(SALU_CYCLE_1)
	s_and_saveexec_b32 s60, s8
	s_xor_b32 s8, exec_lo, s60
	s_cbranch_execz .LBB2_25
; %bb.24:                               ;   in Loop: Header=BB2_11 Depth=3
	global_load_b32 v25, v[40:41], off
.LBB2_25:                               ;   in Loop: Header=BB2_11 Depth=3
	s_wait_xcnt 0x0
	s_and_not1_saveexec_b32 s8, s8
	s_cbranch_execz .LBB2_27
; %bb.26:                               ;   in Loop: Header=BB2_11 Depth=3
	s_wait_loadcnt 0x0
	v_cndmask_b32_e64 v25, 0, 1.0, s7
.LBB2_27:                               ;   in Loop: Header=BB2_11 Depth=3
	s_or_b32 exec_lo, exec_lo, s8
	s_or_b32 s5, s6, s5
	s_wait_loadcnt 0x0
	ds_store_b32 v47, v25 offset:2048
	s_or_b32 s5, s5, s59
	s_delay_alu instid0(SALU_CYCLE_1) | instskip(NEXT) | instid1(SALU_CYCLE_1)
	s_nor_b32 s5, s3, s5
	s_and_saveexec_b32 s6, s5
	s_delay_alu instid0(SALU_CYCLE_1)
	s_xor_b32 s5, exec_lo, s6
	s_cbranch_execz .LBB2_29
; %bb.28:                               ;   in Loop: Header=BB2_11 Depth=3
	global_load_b32 v25, v[40:41], off offset:64
	s_wait_loadcnt 0x0
	ds_store_b32 v47, v25 offset:2112
.LBB2_29:                               ;   in Loop: Header=BB2_11 Depth=3
	s_wait_xcnt 0x0
	s_and_not1_saveexec_b32 s5, s5
	s_cbranch_execz .LBB2_35
; %bb.30:                               ;   in Loop: Header=BB2_11 Depth=3
	s_xor_b32 s6, s59, -1
	s_delay_alu instid0(SALU_CYCLE_1) | instskip(NEXT) | instid1(SALU_CYCLE_1)
	s_and_saveexec_b32 s7, s6
	s_xor_b32 s6, exec_lo, s7
; %bb.31:                               ;   in Loop: Header=BB2_11 Depth=3
	ds_store_b32 v47, v46 offset:2112
; %bb.32:                               ;   in Loop: Header=BB2_11 Depth=3
	s_and_not1_saveexec_b32 s6, s6
; %bb.33:                               ;   in Loop: Header=BB2_11 Depth=3
	ds_store_b32 v47, v51 offset:2112
; %bb.34:                               ;   in Loop: Header=BB2_11 Depth=3
	s_or_b32 exec_lo, exec_lo, s6
.LBB2_35:                               ;   in Loop: Header=BB2_11 Depth=3
	s_delay_alu instid0(SALU_CYCLE_1) | instskip(SKIP_3) | instid1(VALU_DEP_3)
	s_or_b32 exec_lo, exec_lo, s5
	v_add_nc_u64_e32 v[42:43], s[50:51], v[2:3]
	v_add_nc_u64_e32 v[40:41], v[28:29], v[12:13]
	v_mov_b32_e32 v25, 0
	v_cmp_gt_i64_e64 s5, s[18:19], v[42:43]
	s_and_b32 s7, vcc_lo, s5
	s_delay_alu instid0(SALU_CYCLE_1)
	s_and_saveexec_b32 s6, s7
	s_cbranch_execz .LBB2_37
; %bb.36:                               ;   in Loop: Header=BB2_11 Depth=3
	global_load_b32 v25, v[40:41], off offset:-64
.LBB2_37:                               ;   in Loop: Header=BB2_11 Depth=3
	s_wait_xcnt 0x0
	s_or_b32 exec_lo, exec_lo, s6
	v_cmp_gt_i64_e64 s6, s[26:27], v[42:43]
	s_wait_loadcnt 0x0
	ds_store_b32 v49, v25
	s_and_b32 s7, vcc_lo, s6
	s_delay_alu instid0(SALU_CYCLE_1) | instskip(NEXT) | instid1(SALU_CYCLE_1)
	s_xor_b32 s7, s7, -1
	s_and_saveexec_b32 s8, s7
	s_delay_alu instid0(SALU_CYCLE_1)
	s_xor_b32 s7, exec_lo, s8
; %bb.38:                               ;   in Loop: Header=BB2_11 Depth=3
	ds_store_b32 v49, v46 offset:64
                                        ; implicit-def: $vgpr40_vgpr41
; %bb.39:                               ;   in Loop: Header=BB2_11 Depth=3
	s_and_not1_saveexec_b32 s7, s7
	s_cbranch_execz .LBB2_41
; %bb.40:                               ;   in Loop: Header=BB2_11 Depth=3
	global_load_b32 v25, v[40:41], off
	s_wait_loadcnt 0x0
	ds_store_b32 v49, v25 offset:64
.LBB2_41:                               ;   in Loop: Header=BB2_11 Depth=3
	s_wait_xcnt 0x0
	s_or_b32 exec_lo, exec_lo, s7
	v_add_nc_u64_e32 v[40:41], v[30:31], v[12:13]
	v_mov_b32_e32 v25, 0
	s_and_b32 s7, s4, s5
	s_delay_alu instid0(SALU_CYCLE_1)
	s_and_saveexec_b32 s5, s7
	s_cbranch_execz .LBB2_43
; %bb.42:                               ;   in Loop: Header=BB2_11 Depth=3
	global_load_b32 v25, v[40:41], off offset:-64
.LBB2_43:                               ;   in Loop: Header=BB2_11 Depth=3
	s_wait_xcnt 0x0
	s_or_b32 exec_lo, exec_lo, s5
	s_and_b32 s5, s4, s6
	s_wait_loadcnt 0x0
	ds_store_b32 v49, v25 offset:2048
	s_xor_b32 s5, s5, -1
	s_delay_alu instid0(SALU_CYCLE_1) | instskip(NEXT) | instid1(SALU_CYCLE_1)
	s_and_saveexec_b32 s6, s5
	s_xor_b32 s5, exec_lo, s6
; %bb.44:                               ;   in Loop: Header=BB2_11 Depth=3
	ds_store_b32 v49, v46 offset:2112
                                        ; implicit-def: $vgpr40_vgpr41
; %bb.45:                               ;   in Loop: Header=BB2_11 Depth=3
	s_and_not1_saveexec_b32 s5, s5
	s_cbranch_execz .LBB2_10
; %bb.46:                               ;   in Loop: Header=BB2_11 Depth=3
	global_load_b32 v25, v[40:41], off
	s_wait_loadcnt 0x0
	ds_store_b32 v49, v25 offset:2112
	s_branch .LBB2_10
.LBB2_47:                               ;   in Loop: Header=BB2_8 Depth=2
	v_mov_b32_e32 v39, 0
	s_delay_alu instid0(VALU_DEP_1)
	v_dual_mov_b32 v38, v39 :: v_dual_mov_b32 v37, v39
	v_mov_b32_e32 v36, v39
.LBB2_48:                               ;   in Loop: Header=BB2_8 Depth=2
	v_mul_u64_e32 v[28:29], s[28:29], v[26:27]
	v_cmp_gt_i32_e32 vcc_lo, s10, v26
	s_and_b32 s5, s1, vcc_lo
	s_delay_alu instid0(VALU_DEP_2)
	v_lshl_add_u64 v[28:29], v[28:29], 2, s[48:49]
	s_and_saveexec_b32 s4, s5
	s_cbranch_execz .LBB2_50
; %bb.49:                               ;   in Loop: Header=BB2_8 Depth=2
	s_delay_alu instid0(VALU_DEP_1)
	v_lshl_add_u64 v[30:31], v[2:3], 2, v[28:29]
	global_load_b32 v25, v[30:31], off
	s_wait_loadcnt 0x0
	v_fmac_f32_e32 v25, v52, v38
	global_store_b32 v[30:31], v25, off
.LBB2_50:                               ;   in Loop: Header=BB2_8 Depth=2
	s_wait_xcnt 0x0
	s_or_b32 exec_lo, exec_lo, s4
	s_and_b32 s5, s2, vcc_lo
	s_delay_alu instid0(SALU_CYCLE_1)
	s_and_saveexec_b32 s4, s5
	s_cbranch_execz .LBB2_52
; %bb.51:                               ;   in Loop: Header=BB2_8 Depth=2
	v_lshl_add_u64 v[28:29], v[6:7], 2, v[28:29]
	global_load_b32 v25, v[28:29], off
	s_wait_loadcnt 0x0
	v_fmac_f32_e32 v25, v52, v39
	global_store_b32 v[28:29], v25, off
.LBB2_52:                               ;   in Loop: Header=BB2_8 Depth=2
	s_wait_xcnt 0x0
	s_or_b32 exec_lo, exec_lo, s4
	v_add_nc_u32_e32 v26, 16, v26
	s_delay_alu instid0(VALU_DEP_1) | instskip(SKIP_1) | instid1(VALU_DEP_2)
	v_ashrrev_i32_e32 v27, 31, v26
	v_cmp_gt_i32_e32 vcc_lo, s10, v26
	v_mul_u64_e32 v[28:29], s[28:29], v[26:27]
	s_and_b32 s5, s1, vcc_lo
	s_delay_alu instid0(VALU_DEP_1)
	v_lshl_add_u64 v[26:27], v[28:29], 2, s[48:49]
	s_and_saveexec_b32 s4, s5
	s_cbranch_execz .LBB2_54
; %bb.53:                               ;   in Loop: Header=BB2_8 Depth=2
	s_delay_alu instid0(VALU_DEP_1)
	v_lshl_add_u64 v[28:29], v[2:3], 2, v[26:27]
	global_load_b32 v25, v[28:29], off
	s_wait_loadcnt 0x0
	v_fmac_f32_e32 v25, v52, v36
	global_store_b32 v[28:29], v25, off
.LBB2_54:                               ;   in Loop: Header=BB2_8 Depth=2
	s_wait_xcnt 0x0
	s_or_b32 exec_lo, exec_lo, s4
	s_and_b32 s5, s2, vcc_lo
	s_delay_alu instid0(SALU_CYCLE_1)
	s_and_saveexec_b32 s4, s5
	s_cbranch_execz .LBB2_7
; %bb.55:                               ;   in Loop: Header=BB2_8 Depth=2
	v_lshl_add_u64 v[26:27], v[6:7], 2, v[26:27]
	global_load_b32 v25, v[26:27], off
	s_wait_loadcnt 0x0
	v_fmac_f32_e32 v25, v52, v37
	global_store_b32 v[26:27], v25, off
	s_branch .LBB2_7
.LBB2_56:
	s_sendmsg sendmsg(MSG_DEALLOC_VGPRS)
	s_endpgm
	.section	.rodata,"a",@progbits
	.p2align	6, 0x0
	.amdhsa_kernel _ZL30rocblas_trmm_outofplace_kernelIfLi32ELi2ELb1ELb1ELb0ELb0EPKfS0_fEv17rocblas_diagonal_iiT6_lPT7_lllS5_lllPT8_llli
		.amdhsa_group_segment_fixed_size 8192
		.amdhsa_private_segment_fixed_size 0
		.amdhsa_kernarg_size 392
		.amdhsa_user_sgpr_count 2
		.amdhsa_user_sgpr_dispatch_ptr 0
		.amdhsa_user_sgpr_queue_ptr 0
		.amdhsa_user_sgpr_kernarg_segment_ptr 1
		.amdhsa_user_sgpr_dispatch_id 0
		.amdhsa_user_sgpr_kernarg_preload_length 0
		.amdhsa_user_sgpr_kernarg_preload_offset 0
		.amdhsa_user_sgpr_private_segment_size 0
		.amdhsa_wavefront_size32 1
		.amdhsa_uses_dynamic_stack 0
		.amdhsa_enable_private_segment 0
		.amdhsa_system_sgpr_workgroup_id_x 1
		.amdhsa_system_sgpr_workgroup_id_y 1
		.amdhsa_system_sgpr_workgroup_id_z 1
		.amdhsa_system_sgpr_workgroup_info 0
		.amdhsa_system_vgpr_workitem_id 1
		.amdhsa_next_free_vgpr 76
		.amdhsa_next_free_sgpr 61
		.amdhsa_named_barrier_count 0
		.amdhsa_reserve_vcc 1
		.amdhsa_float_round_mode_32 0
		.amdhsa_float_round_mode_16_64 0
		.amdhsa_float_denorm_mode_32 3
		.amdhsa_float_denorm_mode_16_64 3
		.amdhsa_fp16_overflow 0
		.amdhsa_memory_ordered 1
		.amdhsa_forward_progress 1
		.amdhsa_inst_pref_size 25
		.amdhsa_round_robin_scheduling 0
		.amdhsa_exception_fp_ieee_invalid_op 0
		.amdhsa_exception_fp_denorm_src 0
		.amdhsa_exception_fp_ieee_div_zero 0
		.amdhsa_exception_fp_ieee_overflow 0
		.amdhsa_exception_fp_ieee_underflow 0
		.amdhsa_exception_fp_ieee_inexact 0
		.amdhsa_exception_int_div_zero 0
	.end_amdhsa_kernel
	.section	.text._ZL30rocblas_trmm_outofplace_kernelIfLi32ELi2ELb1ELb1ELb0ELb0EPKfS0_fEv17rocblas_diagonal_iiT6_lPT7_lllS5_lllPT8_llli,"axG",@progbits,_ZL30rocblas_trmm_outofplace_kernelIfLi32ELi2ELb1ELb1ELb0ELb0EPKfS0_fEv17rocblas_diagonal_iiT6_lPT7_lllS5_lllPT8_llli,comdat
.Lfunc_end2:
	.size	_ZL30rocblas_trmm_outofplace_kernelIfLi32ELi2ELb1ELb1ELb0ELb0EPKfS0_fEv17rocblas_diagonal_iiT6_lPT7_lllS5_lllPT8_llli, .Lfunc_end2-_ZL30rocblas_trmm_outofplace_kernelIfLi32ELi2ELb1ELb1ELb0ELb0EPKfS0_fEv17rocblas_diagonal_iiT6_lPT7_lllS5_lllPT8_llli
                                        ; -- End function
	.set _ZL30rocblas_trmm_outofplace_kernelIfLi32ELi2ELb1ELb1ELb0ELb0EPKfS0_fEv17rocblas_diagonal_iiT6_lPT7_lllS5_lllPT8_llli.num_vgpr, 76
	.set _ZL30rocblas_trmm_outofplace_kernelIfLi32ELi2ELb1ELb1ELb0ELb0EPKfS0_fEv17rocblas_diagonal_iiT6_lPT7_lllS5_lllPT8_llli.num_agpr, 0
	.set _ZL30rocblas_trmm_outofplace_kernelIfLi32ELi2ELb1ELb1ELb0ELb0EPKfS0_fEv17rocblas_diagonal_iiT6_lPT7_lllS5_lllPT8_llli.numbered_sgpr, 61
	.set _ZL30rocblas_trmm_outofplace_kernelIfLi32ELi2ELb1ELb1ELb0ELb0EPKfS0_fEv17rocblas_diagonal_iiT6_lPT7_lllS5_lllPT8_llli.num_named_barrier, 0
	.set _ZL30rocblas_trmm_outofplace_kernelIfLi32ELi2ELb1ELb1ELb0ELb0EPKfS0_fEv17rocblas_diagonal_iiT6_lPT7_lllS5_lllPT8_llli.private_seg_size, 0
	.set _ZL30rocblas_trmm_outofplace_kernelIfLi32ELi2ELb1ELb1ELb0ELb0EPKfS0_fEv17rocblas_diagonal_iiT6_lPT7_lllS5_lllPT8_llli.uses_vcc, 1
	.set _ZL30rocblas_trmm_outofplace_kernelIfLi32ELi2ELb1ELb1ELb0ELb0EPKfS0_fEv17rocblas_diagonal_iiT6_lPT7_lllS5_lllPT8_llli.uses_flat_scratch, 0
	.set _ZL30rocblas_trmm_outofplace_kernelIfLi32ELi2ELb1ELb1ELb0ELb0EPKfS0_fEv17rocblas_diagonal_iiT6_lPT7_lllS5_lllPT8_llli.has_dyn_sized_stack, 0
	.set _ZL30rocblas_trmm_outofplace_kernelIfLi32ELi2ELb1ELb1ELb0ELb0EPKfS0_fEv17rocblas_diagonal_iiT6_lPT7_lllS5_lllPT8_llli.has_recursion, 0
	.set _ZL30rocblas_trmm_outofplace_kernelIfLi32ELi2ELb1ELb1ELb0ELb0EPKfS0_fEv17rocblas_diagonal_iiT6_lPT7_lllS5_lllPT8_llli.has_indirect_call, 0
	.section	.AMDGPU.csdata,"",@progbits
; Kernel info:
; codeLenInByte = 3192
; TotalNumSgprs: 63
; NumVgprs: 76
; ScratchSize: 0
; MemoryBound: 0
; FloatMode: 240
; IeeeMode: 1
; LDSByteSize: 8192 bytes/workgroup (compile time only)
; SGPRBlocks: 0
; VGPRBlocks: 4
; NumSGPRsForWavesPerEU: 63
; NumVGPRsForWavesPerEU: 76
; NamedBarCnt: 0
; Occupancy: 12
; WaveLimiterHint : 0
; COMPUTE_PGM_RSRC2:SCRATCH_EN: 0
; COMPUTE_PGM_RSRC2:USER_SGPR: 2
; COMPUTE_PGM_RSRC2:TRAP_HANDLER: 0
; COMPUTE_PGM_RSRC2:TGID_X_EN: 1
; COMPUTE_PGM_RSRC2:TGID_Y_EN: 1
; COMPUTE_PGM_RSRC2:TGID_Z_EN: 1
; COMPUTE_PGM_RSRC2:TIDIG_COMP_CNT: 1
	.section	.text._ZL30rocblas_trmm_outofplace_kernelIfLi32ELi2ELb1ELb1ELb0ELb0EfKffEv17rocblas_diagonal_iiT6_lPT7_lllS4_lllPT8_llli,"axG",@progbits,_ZL30rocblas_trmm_outofplace_kernelIfLi32ELi2ELb1ELb1ELb0ELb0EfKffEv17rocblas_diagonal_iiT6_lPT7_lllS4_lllPT8_llli,comdat
	.globl	_ZL30rocblas_trmm_outofplace_kernelIfLi32ELi2ELb1ELb1ELb0ELb0EfKffEv17rocblas_diagonal_iiT6_lPT7_lllS4_lllPT8_llli ; -- Begin function _ZL30rocblas_trmm_outofplace_kernelIfLi32ELi2ELb1ELb1ELb0ELb0EfKffEv17rocblas_diagonal_iiT6_lPT7_lllS4_lllPT8_llli
	.p2align	8
	.type	_ZL30rocblas_trmm_outofplace_kernelIfLi32ELi2ELb1ELb1ELb0ELb0EfKffEv17rocblas_diagonal_iiT6_lPT7_lllS4_lllPT8_llli,@function
_ZL30rocblas_trmm_outofplace_kernelIfLi32ELi2ELb1ELb1ELb0ELb0EfKffEv17rocblas_diagonal_iiT6_lPT7_lllS4_lllPT8_llli: ; @_ZL30rocblas_trmm_outofplace_kernelIfLi32ELi2ELb1ELb1ELb0ELb0EfKffEv17rocblas_diagonal_iiT6_lPT7_lllS4_lllPT8_llli
; %bb.0:
	s_load_b32 s33, s[0:1], 0x78
	s_bfe_u32 s2, ttmp6, 0x40014
	s_lshr_b32 s3, ttmp7, 16
	s_add_co_i32 s2, s2, 1
	s_bfe_u32 s5, ttmp6, 0x40008
	s_mul_i32 s4, s3, s2
	s_getreg_b32 s2, hwreg(HW_REG_IB_STS2, 6, 4)
	s_add_co_i32 s5, s5, s4
	s_cmp_eq_u32 s2, 0
	s_cselect_b32 s34, s3, s5
	s_wait_kmcnt 0x0
	s_cmp_ge_u32 s34, s33
	s_cbranch_scc1 .LBB3_55
; %bb.1:
	s_load_b128 s[28:31], s[0:1], 0x0
	s_wait_kmcnt 0x0
	s_cmp_eq_f32 s31, 0
	s_cbranch_scc1 .LBB3_55
; %bb.2:
	s_add_co_i32 s3, s30, -1
	s_bfe_u32 s6, ttmp6, 0x4000c
	s_ashr_i32 s5, s3, 31
	s_bfe_u32 s7, ttmp6, 0x40010
	s_lshr_b32 s5, s5, 27
	s_add_co_i32 s6, s6, 1
	s_add_co_i32 s3, s3, s5
	;; [unrolled: 1-line block ×3, first 2 shown]
	s_ashr_i32 s48, s3, 5
	s_and_b32 s3, ttmp7, 0xffff
	s_and_b32 s4, ttmp6, 15
	s_mul_i32 s5, ttmp9, s6
	s_mul_i32 s6, s3, s7
	s_bfe_u32 s7, ttmp6, 0x40004
	s_add_co_i32 s20, s4, s5
	s_add_co_i32 s21, s7, s6
	s_cmp_eq_u32 s2, 0
	v_bfe_u32 v44, v0, 10, 10
	s_cselect_b32 s49, s3, s21
	v_and_b32_e32 v4, 0x3ff, v0
	s_load_b512 s[4:19], s[0:1], 0x18
	s_cselect_b32 s2, ttmp9, s20
	s_cmp_le_i32 s49, s48
	s_load_b256 s[20:27], s[0:1], 0x58
	s_cselect_b32 s50, -1, 0
	s_lshl_b32 s2, s2, 5
	s_delay_alu instid0(SALU_CYCLE_1) | instskip(SKIP_2) | instid1(VALU_DEP_2)
	v_dual_lshlrev_b32 v45, 2, v4 :: v_dual_add_nc_u32 v2, s2, v4
	v_dual_lshlrev_b32 v5, 7, v44 :: v_dual_add_nc_u32 v0, s2, v44
	s_sub_co_i32 s51, s29, s2
	v_dual_mov_b32 v50, 0 :: v_dual_ashrrev_i32 v3, 31, v2
	s_delay_alu instid0(VALU_DEP_2) | instskip(SKIP_3) | instid1(VALU_DEP_2)
	v_add_nc_u32_e32 v47, 0x1000, v5
	s_cmp_gt_i32 s51, 0
	v_dual_mov_b32 v51, 1.0 :: v_dual_add_nc_u32 v8, 16, v2
	s_cselect_b32 s52, -1, 0
	v_dual_add_nc_u32 v48, v47, v45 :: v_dual_ashrrev_i32 v1, 31, v0
	v_add_nc_u32_e32 v46, v45, v5
	s_cmp_eq_u32 s28, 0x84
	v_add_nc_u64_e32 v[6:7], 16, v[2:3]
	s_cselect_b32 s53, -1, 0
	v_lshl_add_u64 v[20:21], v[0:1], 2, 64
	s_wait_kmcnt 0x0
	v_mul_u64_e32 v[18:19], s[8:9], v[0:1]
	s_lshl_b64 s[2:3], s[6:7], 2
	v_sub_nc_u64_e32 v[10:11], v[2:3], v[0:1]
	s_add_nc_u64 s[4:5], s[4:5], s[2:3]
	s_ashr_i32 s37, s29, 31
	v_mad_nc_u64_u32 v[4:5], s8, v20, s[4:5]
	s_mov_b32 s36, s29
	s_lshl_b64 s[2:3], s[22:23], 2
	s_add_nc_u64 s[22:23], s[0:1], 0x80
	v_cmp_le_i64_e64 s1, s[36:37], v[6:7]
	v_add_nc_u64_e32 v[12:13], 16, v[10:11]
	v_add_nc_u64_e32 v[14:15], -16, v[10:11]
	v_lshlrev_b64_e32 v[16:17], 2, v[2:3]
	s_lshl_b64 s[6:7], s[14:15], 2
	s_add_nc_u64 s[20:21], s[20:21], s[2:3]
	v_cmp_le_i32_e64 s0, s29, v2
	v_mad_u32 v5, s9, v20, v5
	v_cmp_gt_i32_e64 s2, s29, v2
	v_cmp_gt_i32_e64 s3, s29, v8
	v_ashrrev_i32_e32 v9, 31, v8
	v_lshl_add_u32 v49, s49, 5, v44
	s_add_nc_u64 s[6:7], s[12:13], s[6:7]
	s_mov_b32 s35, 0
	s_ashr_i32 s39, s30, 31
	s_mov_b32 s38, s30
	s_lshl_b64 s[40:41], s[8:9], 7
	s_add_nc_u64 s[42:43], s[36:37], -16
	v_mad_u32 v5, s8, v21, v5
	s_add_nc_u64 s[12:13], s[6:7], 64
	s_lshl_b64 s[14:15], s[18:19], 2
	s_lshl_b64 s[18:19], s[16:17], 2
	;; [unrolled: 1-line block ×3, first 2 shown]
	v_lshl_add_u64 v[18:19], v[18:19], 2, s[4:5]
	s_branch .LBB3_4
.LBB3_3:                                ;   in Loop: Header=BB3_4 Depth=1
	s_add_co_i32 s34, s34, 0x10000
	s_delay_alu instid0(SALU_CYCLE_1)
	s_cmp_ge_u32 s34, s33
	s_cbranch_scc1 .LBB3_55
.LBB3_4:                                ; =>This Loop Header: Depth=1
                                        ;     Child Loop BB3_7 Depth 2
                                        ;       Child Loop BB3_10 Depth 3
	s_and_not1_b32 vcc_lo, exec_lo, s50
	s_cbranch_vccnz .LBB3_3
; %bb.5:                                ;   in Loop: Header=BB3_4 Depth=1
	s_load_b32 s9, s[22:23], 0x4
	s_delay_alu instid0(VALU_DEP_2)
	v_mad_nc_u64_u32 v[20:21], s10, s34, v[4:5]
	v_mad_nc_u64_u32 v[22:23], s10, s34, v[18:19]
	s_mul_i32 s8, s11, s34
	s_mul_u64 s[6:7], s[26:27], s[34:35]
	v_mov_b32_e32 v24, v49
	s_mul_u64 s[4:5], s[14:15], s[34:35]
	s_lshl_b64 s[6:7], s[6:7], 2
	s_add_nc_u64 s[28:29], s[12:13], s[4:5]
	s_add_nc_u64 s[44:45], s[20:21], s[6:7]
	s_mov_b32 s55, s49
	s_delay_alu instid0(VALU_DEP_2)
	v_dual_add_nc_u32 v21, s8, v21 :: v_dual_add_nc_u32 v23, s8, v23
	s_wait_kmcnt 0x0
	s_lshl_b32 s54, s9, 5
	s_branch .LBB3_7
.LBB3_6:                                ;   in Loop: Header=BB3_7 Depth=2
	s_wait_xcnt 0x0
	s_or_b32 exec_lo, exec_lo, s4
	v_add_nc_u32_e32 v24, s54, v24
	s_add_co_i32 s55, s9, s55
	s_delay_alu instid0(SALU_CYCLE_1)
	s_cmp_gt_i32 s55, s48
	s_cbranch_scc1 .LBB3_3
.LBB3_7:                                ;   Parent Loop BB3_4 Depth=1
                                        ; =>  This Loop Header: Depth=2
                                        ;       Child Loop BB3_10 Depth 3
	v_lshl_add_u32 v26, s55, 5, v44
	s_and_not1_b32 vcc_lo, exec_lo, s52
	s_delay_alu instid0(VALU_DEP_1)
	v_ashrrev_i32_e32 v27, 31, v26
	s_cbranch_vccnz .LBB3_46
; %bb.8:                                ;   in Loop: Header=BB3_7 Depth=2
	v_dual_mov_b32 v36, 0 :: v_dual_ashrrev_i32 v25, 31, v24
	v_mad_nc_u64_u32 v[28:29], s18, v24, s[28:29]
	s_delay_alu instid0(VALU_DEP_3) | instskip(SKIP_1) | instid1(VALU_DEP_3)
	v_sub_nc_u64_e32 v[34:35], s[38:39], v[26:27]
	s_mov_b64 s[46:47], 0
	v_lshl_add_u64 v[32:33], v[24:25], 2, 64
	v_dual_mov_b32 v37, v36 :: v_dual_mov_b32 v38, v36
	v_mov_b32_e32 v39, v36
	s_delay_alu instid0(VALU_DEP_4) | instskip(NEXT) | instid1(VALU_DEP_4)
	v_cmp_lt_i64_e32 vcc_lo, 0, v[34:35]
	v_mad_nc_u64_u32 v[30:31], s16, v32, s[28:29]
	v_cmp_lt_i64_e64 s4, 16, v[34:35]
	v_mad_u32 v29, s19, v24, v29
	v_mov_b64_e32 v[34:35], v[20:21]
	s_delay_alu instid0(VALU_DEP_4) | instskip(NEXT) | instid1(VALU_DEP_3)
	v_mad_u32 v31, s17, v32, v31
	v_mad_u32 v29, s18, v25, v29
	s_delay_alu instid0(VALU_DEP_2)
	v_mad_u32 v31, s16, v33, v31
	v_mov_b64_e32 v[32:33], v[22:23]
	s_branch .LBB3_10
.LBB3_9:                                ;   in Loop: Header=BB3_10 Depth=3
	s_wait_xcnt 0x0
	s_or_b32 exec_lo, exec_lo, s5
	s_wait_dscnt 0x0
	s_barrier_signal -1
	s_barrier_wait -1
	ds_load_b128 v[40:43], v47
	ds_load_2addr_b32 v[64:65], v45 offset1:16
	ds_load_b128 v[52:55], v47 offset:2048
	ds_load_2addr_b32 v[66:67], v45 offset0:32 offset1:48
	ds_load_2addr_b32 v[68:69], v45 offset0:64 offset1:80
	;; [unrolled: 1-line block ×3, first 2 shown]
	ds_load_b128 v[56:59], v47 offset:16
	ds_load_2addr_b32 v[72:73], v45 offset0:128 offset1:144
	ds_load_b128 v[60:63], v47 offset:2064
	v_add_nc_u32_e32 v25, 0x400, v45
	v_add_nc_u32_e32 v74, 0x800, v45
	v_add_nc_u64_e32 v[28:29], 0x80, v[28:29]
	v_add_nc_u64_e32 v[34:35], s[40:41], v[34:35]
	;; [unrolled: 1-line block ×4, first 2 shown]
	s_add_nc_u64 s[46:47], s[46:47], 32
	s_delay_alu instid0(SALU_CYCLE_1)
	s_cmp_ge_i32 s46, s51
	s_wait_dscnt 0x7
	v_pk_fma_f32 v[38:39], v[64:65], v[40:41], v[38:39] op_sel_hi:[1,0,1]
	s_wait_dscnt 0x6
	v_pk_fma_f32 v[36:37], v[64:65], v[52:53], v[36:37] op_sel_hi:[1,0,1]
	ds_load_2addr_b32 v[64:65], v45 offset0:160 offset1:176
	s_wait_dscnt 0x6
	v_pk_fma_f32 v[38:39], v[66:67], v[40:41], v[38:39] op_sel:[0,1,0]
	v_pk_fma_f32 v[36:37], v[66:67], v[52:53], v[36:37] op_sel:[0,1,0]
	v_dual_mov_b32 v40, v43 :: v_dual_mov_b32 v66, v55
	ds_load_2addr_b32 v[52:53], v45 offset0:192 offset1:208
	s_wait_dscnt 0x6
	v_pk_fma_f32 v[38:39], v[68:69], v[42:43], v[38:39] op_sel_hi:[1,0,1]
	v_pk_fma_f32 v[36:37], v[68:69], v[54:55], v[36:37] op_sel_hi:[1,0,1]
	ds_load_2addr_b32 v[54:55], v45 offset0:224 offset1:240
	s_wait_dscnt 0x6
	v_pk_fma_f32 v[68:69], v[70:71], v[40:41], v[38:39] op_sel_hi:[1,0,1]
	v_pk_fma_f32 v[66:67], v[70:71], v[66:67], v[36:37] op_sel_hi:[1,0,1]
	s_wait_dscnt 0x4
	s_delay_alu instid0(VALU_DEP_2) | instskip(SKIP_1) | instid1(VALU_DEP_2)
	v_pk_fma_f32 v[68:69], v[72:73], v[56:57], v[68:69] op_sel_hi:[1,0,1]
	s_wait_dscnt 0x3
	v_pk_fma_f32 v[66:67], v[72:73], v[60:61], v[66:67] op_sel_hi:[1,0,1]
	s_wait_dscnt 0x2
	s_delay_alu instid0(VALU_DEP_2) | instskip(NEXT) | instid1(VALU_DEP_2)
	v_pk_fma_f32 v[56:57], v[64:65], v[56:57], v[68:69] op_sel:[0,1,0]
	v_pk_fma_f32 v[60:61], v[64:65], v[60:61], v[66:67] op_sel:[0,1,0]
	v_mov_b32_e32 v66, v59
	ds_load_b128 v[36:39], v47 offset:32
	ds_load_b128 v[40:43], v47 offset:2080
	ds_load_2addr_b32 v[70:71], v25 offset1:16
	ds_load_2addr_b32 v[72:73], v25 offset0:32 offset1:48
	ds_load_2addr_b32 v[64:65], v25 offset0:64 offset1:80
	s_wait_dscnt 0x6
	v_pk_fma_f32 v[56:57], v[52:53], v[58:59], v[56:57] op_sel_hi:[1,0,1]
	v_mov_b32_e32 v68, v63
	v_pk_fma_f32 v[52:53], v[52:53], v[62:63], v[60:61] op_sel_hi:[1,0,1]
	ds_load_2addr_b32 v[60:61], v25 offset0:96 offset1:112
	s_wait_dscnt 0x6
	v_pk_fma_f32 v[62:63], v[54:55], v[66:67], v[56:57] op_sel_hi:[1,0,1]
	v_pk_fma_f32 v[66:67], v[54:55], v[68:69], v[52:53] op_sel_hi:[1,0,1]
	ds_load_b128 v[52:55], v47 offset:48
	ds_load_b128 v[56:59], v47 offset:2096
	ds_load_2addr_b32 v[68:69], v25 offset0:128 offset1:144
	s_wait_dscnt 0x6
	v_pk_fma_f32 v[62:63], v[70:71], v[36:37], v[62:63] op_sel_hi:[1,0,1]
	v_pk_fma_f32 v[66:67], v[70:71], v[40:41], v[66:67] op_sel_hi:[1,0,1]
	ds_load_2addr_b32 v[70:71], v25 offset0:160 offset1:176
	s_wait_dscnt 0x6
	v_pk_fma_f32 v[36:37], v[72:73], v[36:37], v[62:63] op_sel:[0,1,0]
	v_pk_fma_f32 v[40:41], v[72:73], v[40:41], v[66:67] op_sel:[0,1,0]
	v_mov_b32_e32 v66, v39
	ds_load_2addr_b32 v[62:63], v25 offset0:192 offset1:208
	v_mov_b32_e32 v72, v43
	s_wait_dscnt 0x6
	v_pk_fma_f32 v[36:37], v[64:65], v[38:39], v[36:37] op_sel_hi:[1,0,1]
	v_pk_fma_f32 v[38:39], v[64:65], v[42:43], v[40:41] op_sel_hi:[1,0,1]
	ds_load_2addr_b32 v[64:65], v25 offset0:224 offset1:240
	v_add_nc_u32_e32 v25, 0xc00, v45
	s_wait_dscnt 0x6
	v_pk_fma_f32 v[66:67], v[60:61], v[66:67], v[36:37] op_sel_hi:[1,0,1]
	s_wait_dscnt 0x3
	s_delay_alu instid0(VALU_DEP_1) | instskip(SKIP_1) | instid1(VALU_DEP_1)
	v_pk_fma_f32 v[66:67], v[68:69], v[52:53], v[66:67] op_sel_hi:[1,0,1]
	s_wait_dscnt 0x2
	v_pk_fma_f32 v[52:53], v[70:71], v[52:53], v[66:67] op_sel:[0,1,0]
	v_mov_b32_e32 v66, v55
	v_pk_fma_f32 v[60:61], v[60:61], v[72:73], v[38:39] op_sel_hi:[1,0,1]
	ds_load_b128 v[36:39], v47 offset:64
	ds_load_b128 v[40:43], v47 offset:2112
	ds_load_2addr_b32 v[72:73], v74 offset1:16
	s_wait_dscnt 0x4
	v_pk_fma_f32 v[52:53], v[62:63], v[54:55], v[52:53] op_sel_hi:[1,0,1]
	v_pk_fma_f32 v[60:61], v[68:69], v[56:57], v[60:61] op_sel_hi:[1,0,1]
	ds_load_2addr_b32 v[68:69], v74 offset0:32 offset1:48
	s_wait_dscnt 0x4
	v_pk_fma_f32 v[66:67], v[64:65], v[66:67], v[52:53] op_sel_hi:[1,0,1]
	v_pk_fma_f32 v[56:57], v[70:71], v[56:57], v[60:61] op_sel:[0,1,0]
	ds_load_2addr_b32 v[60:61], v74 offset0:64 offset1:80
	v_mov_b32_e32 v70, v59
	v_pk_fma_f32 v[54:55], v[62:63], v[58:59], v[56:57] op_sel_hi:[1,0,1]
	ds_load_2addr_b32 v[62:63], v74 offset0:96 offset1:112
	s_wait_dscnt 0x3
	v_pk_fma_f32 v[66:67], v[72:73], v[36:37], v[66:67] op_sel_hi:[1,0,1]
	s_wait_dscnt 0x2
	s_delay_alu instid0(VALU_DEP_1)
	v_pk_fma_f32 v[36:37], v[68:69], v[36:37], v[66:67] op_sel:[0,1,0]
	v_mov_b32_e32 v66, v39
	v_pk_fma_f32 v[64:65], v[64:65], v[70:71], v[54:55] op_sel_hi:[1,0,1]
	ds_load_b128 v[52:55], v47 offset:80
	ds_load_b128 v[56:59], v47 offset:2128
	ds_load_2addr_b32 v[70:71], v74 offset0:128 offset1:144
	s_wait_dscnt 0x4
	v_pk_fma_f32 v[36:37], v[60:61], v[38:39], v[36:37] op_sel_hi:[1,0,1]
	v_pk_fma_f32 v[64:65], v[72:73], v[40:41], v[64:65] op_sel_hi:[1,0,1]
	ds_load_2addr_b32 v[72:73], v74 offset0:160 offset1:176
	s_wait_dscnt 0x4
	v_pk_fma_f32 v[66:67], v[62:63], v[66:67], v[36:37] op_sel_hi:[1,0,1]
	v_pk_fma_f32 v[40:41], v[68:69], v[40:41], v[64:65] op_sel:[0,1,0]
	ds_load_2addr_b32 v[64:65], v74 offset0:192 offset1:208
	v_mov_b32_e32 v68, v43
	v_pk_fma_f32 v[38:39], v[60:61], v[42:43], v[40:41] op_sel_hi:[1,0,1]
	ds_load_2addr_b32 v[60:61], v74 offset0:224 offset1:240
	v_pk_fma_f32 v[62:63], v[62:63], v[68:69], v[38:39] op_sel_hi:[1,0,1]
	ds_load_b128 v[36:39], v47 offset:96
	ds_load_b128 v[40:43], v47 offset:2144
	ds_load_2addr_b32 v[68:69], v25 offset1:16
	s_wait_dscnt 0x6
	v_pk_fma_f32 v[66:67], v[70:71], v[52:53], v[66:67] op_sel_hi:[1,0,1]
	v_pk_fma_f32 v[62:63], v[70:71], v[56:57], v[62:63] op_sel_hi:[1,0,1]
	ds_load_2addr_b32 v[70:71], v25 offset0:32 offset1:48
	s_wait_dscnt 0x6
	v_pk_fma_f32 v[52:53], v[72:73], v[52:53], v[66:67] op_sel:[0,1,0]
	v_mov_b32_e32 v66, v55
	v_pk_fma_f32 v[56:57], v[72:73], v[56:57], v[62:63] op_sel:[0,1,0]
	ds_load_2addr_b32 v[62:63], v25 offset0:64 offset1:80
	v_mov_b32_e32 v72, v59
	s_wait_dscnt 0x6
	v_pk_fma_f32 v[52:53], v[64:65], v[54:55], v[52:53] op_sel_hi:[1,0,1]
	v_pk_fma_f32 v[54:55], v[64:65], v[58:59], v[56:57] op_sel_hi:[1,0,1]
	ds_load_2addr_b32 v[64:65], v25 offset0:96 offset1:112
	s_wait_dscnt 0x6
	v_pk_fma_f32 v[66:67], v[60:61], v[66:67], v[52:53] op_sel_hi:[1,0,1]
	v_pk_fma_f32 v[60:61], v[60:61], v[72:73], v[54:55] op_sel_hi:[1,0,1]
	ds_load_b128 v[52:55], v47 offset:112
	ds_load_b128 v[56:59], v47 offset:2160
	ds_load_2addr_b32 v[72:73], v25 offset0:128 offset1:144
	s_wait_dscnt 0x6
	v_pk_fma_f32 v[66:67], v[68:69], v[36:37], v[66:67] op_sel_hi:[1,0,1]
	v_pk_fma_f32 v[60:61], v[68:69], v[40:41], v[60:61] op_sel_hi:[1,0,1]
	ds_load_2addr_b32 v[68:69], v25 offset0:160 offset1:176
	s_wait_dscnt 0x6
	v_pk_fma_f32 v[36:37], v[70:71], v[36:37], v[66:67] op_sel:[0,1,0]
	v_mov_b32_e32 v66, v39
	v_pk_fma_f32 v[40:41], v[70:71], v[40:41], v[60:61] op_sel:[0,1,0]
	ds_load_2addr_b32 v[60:61], v25 offset0:192 offset1:208
	v_mov_b32_e32 v70, v43
	s_wait_dscnt 0x6
	v_pk_fma_f32 v[36:37], v[62:63], v[38:39], v[36:37] op_sel_hi:[1,0,1]
	v_pk_fma_f32 v[38:39], v[62:63], v[42:43], v[40:41] op_sel_hi:[1,0,1]
	ds_load_2addr_b32 v[40:41], v25 offset0:224 offset1:240
	s_wait_dscnt 0x0
	v_pk_fma_f32 v[36:37], v[64:65], v[66:67], v[36:37] op_sel_hi:[1,0,1]
	v_mov_b32_e32 v42, v55
	v_pk_fma_f32 v[38:39], v[64:65], v[70:71], v[38:39] op_sel_hi:[1,0,1]
	s_barrier_signal -1
	s_barrier_wait -1
	v_pk_fma_f32 v[36:37], v[72:73], v[52:53], v[36:37] op_sel_hi:[1,0,1]
	s_delay_alu instid0(VALU_DEP_2) | instskip(NEXT) | instid1(VALU_DEP_2)
	v_pk_fma_f32 v[38:39], v[72:73], v[56:57], v[38:39] op_sel_hi:[1,0,1]
	v_pk_fma_f32 v[36:37], v[68:69], v[52:53], v[36:37] op_sel:[0,1,0]
	v_mov_b32_e32 v52, v59
	s_delay_alu instid0(VALU_DEP_3) | instskip(NEXT) | instid1(VALU_DEP_3)
	v_pk_fma_f32 v[38:39], v[68:69], v[56:57], v[38:39] op_sel:[0,1,0]
	v_pk_fma_f32 v[36:37], v[60:61], v[54:55], v[36:37] op_sel_hi:[1,0,1]
	s_delay_alu instid0(VALU_DEP_2) | instskip(NEXT) | instid1(VALU_DEP_2)
	v_pk_fma_f32 v[54:55], v[60:61], v[58:59], v[38:39] op_sel_hi:[1,0,1]
	v_pk_fma_f32 v[38:39], v[40:41], v[42:43], v[36:37] op_sel_hi:[1,0,1]
	s_delay_alu instid0(VALU_DEP_2)
	v_pk_fma_f32 v[36:37], v[40:41], v[52:53], v[54:55] op_sel_hi:[1,0,1]
	s_cbranch_scc1 .LBB3_47
.LBB3_10:                               ;   Parent Loop BB3_4 Depth=1
                                        ;     Parent Loop BB3_7 Depth=2
                                        ; =>    This Inner Loop Header: Depth=3
	v_add_nc_u64_e32 v[40:41], s[46:47], v[0:1]
	v_cmp_eq_u64_e64 s7, s[46:47], v[10:11]
	s_delay_alu instid0(VALU_DEP_3) | instskip(NEXT) | instid1(VALU_DEP_3)
	v_add_nc_u64_e32 v[42:43], v[32:33], v[16:17]
                                        ; implicit-def: $vgpr25
	v_cmp_le_i64_e64 s6, s[36:37], v[40:41]
	v_cmp_lt_i64_e64 s5, v[40:41], v[2:3]
	s_and_b32 s56, s53, s7
	s_or_b32 s7, s6, s5
	s_delay_alu instid0(SALU_CYCLE_1) | instskip(NEXT) | instid1(SALU_CYCLE_1)
	s_or_b32 s7, s7, s56
	s_nor_b32 s7, s0, s7
	s_delay_alu instid0(SALU_CYCLE_1) | instskip(NEXT) | instid1(SALU_CYCLE_1)
	s_and_saveexec_b32 s8, s7
	s_xor_b32 s7, exec_lo, s8
	s_cbranch_execz .LBB3_12
; %bb.11:                               ;   in Loop: Header=BB3_10 Depth=3
	global_load_b32 v25, v[42:43], off
.LBB3_12:                               ;   in Loop: Header=BB3_10 Depth=3
	s_wait_xcnt 0x0
	s_and_not1_saveexec_b32 s7, s7
	s_cbranch_execz .LBB3_14
; %bb.13:                               ;   in Loop: Header=BB3_10 Depth=3
	s_wait_loadcnt 0x0
	v_cndmask_b32_e64 v25, 0, 1.0, s56
.LBB3_14:                               ;   in Loop: Header=BB3_10 Depth=3
	s_or_b32 exec_lo, exec_lo, s7
	v_cmp_eq_u64_e64 s7, s[46:47], v[12:13]
	v_cmp_gt_i64_e64 s8, v[6:7], v[40:41]
	s_wait_loadcnt 0x0
	ds_store_b32 v46, v25
	s_and_b32 s7, s53, s7
	s_or_b32 s6, s6, s8
	s_delay_alu instid0(SALU_CYCLE_1) | instskip(NEXT) | instid1(SALU_CYCLE_1)
	s_or_b32 s6, s6, s7
	s_nor_b32 s6, s1, s6
	s_delay_alu instid0(SALU_CYCLE_1) | instskip(NEXT) | instid1(SALU_CYCLE_1)
	s_and_saveexec_b32 s8, s6
	s_xor_b32 s6, exec_lo, s8
	s_cbranch_execz .LBB3_16
; %bb.15:                               ;   in Loop: Header=BB3_10 Depth=3
	global_load_b32 v25, v[42:43], off offset:64
	s_wait_loadcnt 0x0
	ds_store_b32 v46, v25 offset:64
.LBB3_16:                               ;   in Loop: Header=BB3_10 Depth=3
	s_wait_xcnt 0x0
	s_and_not1_saveexec_b32 s6, s6
	s_cbranch_execz .LBB3_22
; %bb.17:                               ;   in Loop: Header=BB3_10 Depth=3
	s_xor_b32 s7, s7, -1
	s_delay_alu instid0(SALU_CYCLE_1) | instskip(NEXT) | instid1(SALU_CYCLE_1)
	s_and_saveexec_b32 s8, s7
	s_xor_b32 s7, exec_lo, s8
; %bb.18:                               ;   in Loop: Header=BB3_10 Depth=3
	ds_store_b32 v46, v50 offset:64
; %bb.19:                               ;   in Loop: Header=BB3_10 Depth=3
	s_and_not1_saveexec_b32 s7, s7
; %bb.20:                               ;   in Loop: Header=BB3_10 Depth=3
	ds_store_b32 v46, v51 offset:64
; %bb.21:                               ;   in Loop: Header=BB3_10 Depth=3
	s_or_b32 exec_lo, exec_lo, s7
.LBB3_22:                               ;   in Loop: Header=BB3_10 Depth=3
	s_delay_alu instid0(SALU_CYCLE_1) | instskip(SKIP_2) | instid1(VALU_DEP_2)
	s_or_b32 exec_lo, exec_lo, s6
	v_add_nc_u64_e32 v[40:41], 16, v[40:41]
	v_cmp_eq_u64_e64 s7, s[46:47], v[14:15]
                                        ; implicit-def: $vgpr25
	v_cmp_le_i64_e64 s6, s[36:37], v[40:41]
	v_cmp_lt_i64_e64 s8, v[40:41], v[2:3]
	v_add_nc_u64_e32 v[40:41], v[34:35], v[16:17]
	s_and_b32 s7, s53, s7
	s_or_b32 s8, s6, s8
	s_delay_alu instid0(SALU_CYCLE_1) | instskip(NEXT) | instid1(SALU_CYCLE_1)
	s_or_b32 s8, s8, s7
	s_nor_b32 s8, s0, s8
	s_delay_alu instid0(SALU_CYCLE_1) | instskip(NEXT) | instid1(SALU_CYCLE_1)
	s_and_saveexec_b32 s57, s8
	s_xor_b32 s8, exec_lo, s57
	s_cbranch_execz .LBB3_24
; %bb.23:                               ;   in Loop: Header=BB3_10 Depth=3
	global_load_b32 v25, v[40:41], off
.LBB3_24:                               ;   in Loop: Header=BB3_10 Depth=3
	s_wait_xcnt 0x0
	s_and_not1_saveexec_b32 s8, s8
	s_cbranch_execz .LBB3_26
; %bb.25:                               ;   in Loop: Header=BB3_10 Depth=3
	s_wait_loadcnt 0x0
	v_cndmask_b32_e64 v25, 0, 1.0, s7
.LBB3_26:                               ;   in Loop: Header=BB3_10 Depth=3
	s_or_b32 exec_lo, exec_lo, s8
	s_or_b32 s5, s6, s5
	s_wait_loadcnt 0x0
	ds_store_b32 v46, v25 offset:2048
	s_or_b32 s5, s5, s56
	s_delay_alu instid0(SALU_CYCLE_1) | instskip(NEXT) | instid1(SALU_CYCLE_1)
	s_nor_b32 s5, s1, s5
	s_and_saveexec_b32 s6, s5
	s_delay_alu instid0(SALU_CYCLE_1)
	s_xor_b32 s5, exec_lo, s6
	s_cbranch_execz .LBB3_28
; %bb.27:                               ;   in Loop: Header=BB3_10 Depth=3
	global_load_b32 v25, v[40:41], off offset:64
	s_wait_loadcnt 0x0
	ds_store_b32 v46, v25 offset:2112
.LBB3_28:                               ;   in Loop: Header=BB3_10 Depth=3
	s_wait_xcnt 0x0
	s_and_not1_saveexec_b32 s5, s5
	s_cbranch_execz .LBB3_34
; %bb.29:                               ;   in Loop: Header=BB3_10 Depth=3
	s_xor_b32 s6, s56, -1
	s_delay_alu instid0(SALU_CYCLE_1) | instskip(NEXT) | instid1(SALU_CYCLE_1)
	s_and_saveexec_b32 s7, s6
	s_xor_b32 s6, exec_lo, s7
; %bb.30:                               ;   in Loop: Header=BB3_10 Depth=3
	ds_store_b32 v46, v50 offset:2112
; %bb.31:                               ;   in Loop: Header=BB3_10 Depth=3
	s_and_not1_saveexec_b32 s6, s6
; %bb.32:                               ;   in Loop: Header=BB3_10 Depth=3
	ds_store_b32 v46, v51 offset:2112
; %bb.33:                               ;   in Loop: Header=BB3_10 Depth=3
	s_or_b32 exec_lo, exec_lo, s6
.LBB3_34:                               ;   in Loop: Header=BB3_10 Depth=3
	s_delay_alu instid0(SALU_CYCLE_1) | instskip(SKIP_3) | instid1(VALU_DEP_3)
	s_or_b32 exec_lo, exec_lo, s5
	v_add_nc_u64_e32 v[42:43], s[46:47], v[2:3]
	v_add_nc_u64_e32 v[40:41], v[28:29], v[16:17]
	v_mov_b32_e32 v25, 0
	v_cmp_gt_i64_e64 s5, s[36:37], v[42:43]
	s_and_b32 s7, vcc_lo, s5
	s_delay_alu instid0(SALU_CYCLE_1)
	s_and_saveexec_b32 s6, s7
	s_cbranch_execz .LBB3_36
; %bb.35:                               ;   in Loop: Header=BB3_10 Depth=3
	global_load_b32 v25, v[40:41], off offset:-64
.LBB3_36:                               ;   in Loop: Header=BB3_10 Depth=3
	s_wait_xcnt 0x0
	s_or_b32 exec_lo, exec_lo, s6
	v_cmp_gt_i64_e64 s6, s[42:43], v[42:43]
	s_wait_loadcnt 0x0
	ds_store_b32 v48, v25
	s_and_b32 s7, vcc_lo, s6
	s_delay_alu instid0(SALU_CYCLE_1) | instskip(NEXT) | instid1(SALU_CYCLE_1)
	s_xor_b32 s7, s7, -1
	s_and_saveexec_b32 s8, s7
	s_delay_alu instid0(SALU_CYCLE_1)
	s_xor_b32 s7, exec_lo, s8
; %bb.37:                               ;   in Loop: Header=BB3_10 Depth=3
	ds_store_b32 v48, v50 offset:64
                                        ; implicit-def: $vgpr40_vgpr41
; %bb.38:                               ;   in Loop: Header=BB3_10 Depth=3
	s_and_not1_saveexec_b32 s7, s7
	s_cbranch_execz .LBB3_40
; %bb.39:                               ;   in Loop: Header=BB3_10 Depth=3
	global_load_b32 v25, v[40:41], off
	s_wait_loadcnt 0x0
	ds_store_b32 v48, v25 offset:64
.LBB3_40:                               ;   in Loop: Header=BB3_10 Depth=3
	s_wait_xcnt 0x0
	s_or_b32 exec_lo, exec_lo, s7
	v_add_nc_u64_e32 v[40:41], v[30:31], v[16:17]
	v_mov_b32_e32 v25, 0
	s_and_b32 s7, s4, s5
	s_delay_alu instid0(SALU_CYCLE_1)
	s_and_saveexec_b32 s5, s7
	s_cbranch_execz .LBB3_42
; %bb.41:                               ;   in Loop: Header=BB3_10 Depth=3
	global_load_b32 v25, v[40:41], off offset:-64
.LBB3_42:                               ;   in Loop: Header=BB3_10 Depth=3
	s_wait_xcnt 0x0
	s_or_b32 exec_lo, exec_lo, s5
	s_and_b32 s5, s4, s6
	s_wait_loadcnt 0x0
	ds_store_b32 v48, v25 offset:2048
	s_xor_b32 s5, s5, -1
	s_delay_alu instid0(SALU_CYCLE_1) | instskip(NEXT) | instid1(SALU_CYCLE_1)
	s_and_saveexec_b32 s6, s5
	s_xor_b32 s5, exec_lo, s6
; %bb.43:                               ;   in Loop: Header=BB3_10 Depth=3
	ds_store_b32 v48, v50 offset:2112
                                        ; implicit-def: $vgpr40_vgpr41
; %bb.44:                               ;   in Loop: Header=BB3_10 Depth=3
	s_and_not1_saveexec_b32 s5, s5
	s_cbranch_execz .LBB3_9
; %bb.45:                               ;   in Loop: Header=BB3_10 Depth=3
	global_load_b32 v25, v[40:41], off
	s_wait_loadcnt 0x0
	ds_store_b32 v48, v25 offset:2112
	s_branch .LBB3_9
.LBB3_46:                               ;   in Loop: Header=BB3_7 Depth=2
	v_mov_b32_e32 v39, 0
	s_delay_alu instid0(VALU_DEP_1)
	v_dual_mov_b32 v38, v39 :: v_dual_mov_b32 v37, v39
	v_mov_b32_e32 v36, v39
.LBB3_47:                               ;   in Loop: Header=BB3_7 Depth=2
	v_mul_u64_e32 v[28:29], s[24:25], v[26:27]
	v_cmp_gt_i32_e32 vcc_lo, s30, v26
	s_and_b32 s5, s2, vcc_lo
	s_delay_alu instid0(VALU_DEP_2)
	v_lshl_add_u64 v[28:29], v[28:29], 2, s[44:45]
	s_and_saveexec_b32 s4, s5
	s_cbranch_execz .LBB3_49
; %bb.48:                               ;   in Loop: Header=BB3_7 Depth=2
	s_delay_alu instid0(VALU_DEP_1)
	v_lshl_add_u64 v[30:31], v[2:3], 2, v[28:29]
	global_load_b32 v25, v[30:31], off
	s_wait_loadcnt 0x0
	v_fmac_f32_e32 v25, s31, v38
	global_store_b32 v[30:31], v25, off
.LBB3_49:                               ;   in Loop: Header=BB3_7 Depth=2
	s_wait_xcnt 0x0
	s_or_b32 exec_lo, exec_lo, s4
	s_and_b32 s5, s3, vcc_lo
	s_delay_alu instid0(SALU_CYCLE_1)
	s_and_saveexec_b32 s4, s5
	s_cbranch_execz .LBB3_51
; %bb.50:                               ;   in Loop: Header=BB3_7 Depth=2
	v_lshl_add_u64 v[28:29], v[8:9], 2, v[28:29]
	global_load_b32 v25, v[28:29], off
	s_wait_loadcnt 0x0
	v_fmac_f32_e32 v25, s31, v39
	global_store_b32 v[28:29], v25, off
.LBB3_51:                               ;   in Loop: Header=BB3_7 Depth=2
	s_wait_xcnt 0x0
	s_or_b32 exec_lo, exec_lo, s4
	v_add_nc_u32_e32 v26, 16, v26
	s_delay_alu instid0(VALU_DEP_1) | instskip(SKIP_1) | instid1(VALU_DEP_2)
	v_ashrrev_i32_e32 v27, 31, v26
	v_cmp_gt_i32_e32 vcc_lo, s30, v26
	v_mul_u64_e32 v[28:29], s[24:25], v[26:27]
	s_and_b32 s5, s2, vcc_lo
	s_delay_alu instid0(VALU_DEP_1)
	v_lshl_add_u64 v[26:27], v[28:29], 2, s[44:45]
	s_and_saveexec_b32 s4, s5
	s_cbranch_execz .LBB3_53
; %bb.52:                               ;   in Loop: Header=BB3_7 Depth=2
	s_delay_alu instid0(VALU_DEP_1)
	v_lshl_add_u64 v[28:29], v[2:3], 2, v[26:27]
	global_load_b32 v25, v[28:29], off
	s_wait_loadcnt 0x0
	v_fmac_f32_e32 v25, s31, v36
	global_store_b32 v[28:29], v25, off
.LBB3_53:                               ;   in Loop: Header=BB3_7 Depth=2
	s_wait_xcnt 0x0
	s_or_b32 exec_lo, exec_lo, s4
	s_and_b32 s5, s3, vcc_lo
	s_delay_alu instid0(SALU_CYCLE_1)
	s_and_saveexec_b32 s4, s5
	s_cbranch_execz .LBB3_6
; %bb.54:                               ;   in Loop: Header=BB3_7 Depth=2
	v_lshl_add_u64 v[26:27], v[8:9], 2, v[26:27]
	global_load_b32 v25, v[26:27], off
	s_wait_loadcnt 0x0
	v_fmac_f32_e32 v25, s31, v37
	global_store_b32 v[26:27], v25, off
	s_branch .LBB3_6
.LBB3_55:
	s_sendmsg sendmsg(MSG_DEALLOC_VGPRS)
	s_endpgm
	.section	.rodata,"a",@progbits
	.p2align	6, 0x0
	.amdhsa_kernel _ZL30rocblas_trmm_outofplace_kernelIfLi32ELi2ELb1ELb1ELb0ELb0EfKffEv17rocblas_diagonal_iiT6_lPT7_lllS4_lllPT8_llli
		.amdhsa_group_segment_fixed_size 8192
		.amdhsa_private_segment_fixed_size 0
		.amdhsa_kernarg_size 384
		.amdhsa_user_sgpr_count 2
		.amdhsa_user_sgpr_dispatch_ptr 0
		.amdhsa_user_sgpr_queue_ptr 0
		.amdhsa_user_sgpr_kernarg_segment_ptr 1
		.amdhsa_user_sgpr_dispatch_id 0
		.amdhsa_user_sgpr_kernarg_preload_length 0
		.amdhsa_user_sgpr_kernarg_preload_offset 0
		.amdhsa_user_sgpr_private_segment_size 0
		.amdhsa_wavefront_size32 1
		.amdhsa_uses_dynamic_stack 0
		.amdhsa_enable_private_segment 0
		.amdhsa_system_sgpr_workgroup_id_x 1
		.amdhsa_system_sgpr_workgroup_id_y 1
		.amdhsa_system_sgpr_workgroup_id_z 1
		.amdhsa_system_sgpr_workgroup_info 0
		.amdhsa_system_vgpr_workitem_id 1
		.amdhsa_next_free_vgpr 75
		.amdhsa_next_free_sgpr 58
		.amdhsa_named_barrier_count 0
		.amdhsa_reserve_vcc 1
		.amdhsa_float_round_mode_32 0
		.amdhsa_float_round_mode_16_64 0
		.amdhsa_float_denorm_mode_32 3
		.amdhsa_float_denorm_mode_16_64 3
		.amdhsa_fp16_overflow 0
		.amdhsa_memory_ordered 1
		.amdhsa_forward_progress 1
		.amdhsa_inst_pref_size 25
		.amdhsa_round_robin_scheduling 0
		.amdhsa_exception_fp_ieee_invalid_op 0
		.amdhsa_exception_fp_denorm_src 0
		.amdhsa_exception_fp_ieee_div_zero 0
		.amdhsa_exception_fp_ieee_overflow 0
		.amdhsa_exception_fp_ieee_underflow 0
		.amdhsa_exception_fp_ieee_inexact 0
		.amdhsa_exception_int_div_zero 0
	.end_amdhsa_kernel
	.section	.text._ZL30rocblas_trmm_outofplace_kernelIfLi32ELi2ELb1ELb1ELb0ELb0EfKffEv17rocblas_diagonal_iiT6_lPT7_lllS4_lllPT8_llli,"axG",@progbits,_ZL30rocblas_trmm_outofplace_kernelIfLi32ELi2ELb1ELb1ELb0ELb0EfKffEv17rocblas_diagonal_iiT6_lPT7_lllS4_lllPT8_llli,comdat
.Lfunc_end3:
	.size	_ZL30rocblas_trmm_outofplace_kernelIfLi32ELi2ELb1ELb1ELb0ELb0EfKffEv17rocblas_diagonal_iiT6_lPT7_lllS4_lllPT8_llli, .Lfunc_end3-_ZL30rocblas_trmm_outofplace_kernelIfLi32ELi2ELb1ELb1ELb0ELb0EfKffEv17rocblas_diagonal_iiT6_lPT7_lllS4_lllPT8_llli
                                        ; -- End function
	.set _ZL30rocblas_trmm_outofplace_kernelIfLi32ELi2ELb1ELb1ELb0ELb0EfKffEv17rocblas_diagonal_iiT6_lPT7_lllS4_lllPT8_llli.num_vgpr, 75
	.set _ZL30rocblas_trmm_outofplace_kernelIfLi32ELi2ELb1ELb1ELb0ELb0EfKffEv17rocblas_diagonal_iiT6_lPT7_lllS4_lllPT8_llli.num_agpr, 0
	.set _ZL30rocblas_trmm_outofplace_kernelIfLi32ELi2ELb1ELb1ELb0ELb0EfKffEv17rocblas_diagonal_iiT6_lPT7_lllS4_lllPT8_llli.numbered_sgpr, 58
	.set _ZL30rocblas_trmm_outofplace_kernelIfLi32ELi2ELb1ELb1ELb0ELb0EfKffEv17rocblas_diagonal_iiT6_lPT7_lllS4_lllPT8_llli.num_named_barrier, 0
	.set _ZL30rocblas_trmm_outofplace_kernelIfLi32ELi2ELb1ELb1ELb0ELb0EfKffEv17rocblas_diagonal_iiT6_lPT7_lllS4_lllPT8_llli.private_seg_size, 0
	.set _ZL30rocblas_trmm_outofplace_kernelIfLi32ELi2ELb1ELb1ELb0ELb0EfKffEv17rocblas_diagonal_iiT6_lPT7_lllS4_lllPT8_llli.uses_vcc, 1
	.set _ZL30rocblas_trmm_outofplace_kernelIfLi32ELi2ELb1ELb1ELb0ELb0EfKffEv17rocblas_diagonal_iiT6_lPT7_lllS4_lllPT8_llli.uses_flat_scratch, 0
	.set _ZL30rocblas_trmm_outofplace_kernelIfLi32ELi2ELb1ELb1ELb0ELb0EfKffEv17rocblas_diagonal_iiT6_lPT7_lllS4_lllPT8_llli.has_dyn_sized_stack, 0
	.set _ZL30rocblas_trmm_outofplace_kernelIfLi32ELi2ELb1ELb1ELb0ELb0EfKffEv17rocblas_diagonal_iiT6_lPT7_lllS4_lllPT8_llli.has_recursion, 0
	.set _ZL30rocblas_trmm_outofplace_kernelIfLi32ELi2ELb1ELb1ELb0ELb0EfKffEv17rocblas_diagonal_iiT6_lPT7_lllS4_lllPT8_llli.has_indirect_call, 0
	.section	.AMDGPU.csdata,"",@progbits
; Kernel info:
; codeLenInByte = 3104
; TotalNumSgprs: 60
; NumVgprs: 75
; ScratchSize: 0
; MemoryBound: 0
; FloatMode: 240
; IeeeMode: 1
; LDSByteSize: 8192 bytes/workgroup (compile time only)
; SGPRBlocks: 0
; VGPRBlocks: 4
; NumSGPRsForWavesPerEU: 60
; NumVGPRsForWavesPerEU: 75
; NamedBarCnt: 0
; Occupancy: 12
; WaveLimiterHint : 0
; COMPUTE_PGM_RSRC2:SCRATCH_EN: 0
; COMPUTE_PGM_RSRC2:USER_SGPR: 2
; COMPUTE_PGM_RSRC2:TRAP_HANDLER: 0
; COMPUTE_PGM_RSRC2:TGID_X_EN: 1
; COMPUTE_PGM_RSRC2:TGID_Y_EN: 1
; COMPUTE_PGM_RSRC2:TGID_Z_EN: 1
; COMPUTE_PGM_RSRC2:TIDIG_COMP_CNT: 1
	.section	.text._ZL30rocblas_trmm_outofplace_kernelIfLi32ELi2ELb1ELb0ELb1ELb0EPKfS0_fEv17rocblas_diagonal_iiT6_lPT7_lllS5_lllPT8_llli,"axG",@progbits,_ZL30rocblas_trmm_outofplace_kernelIfLi32ELi2ELb1ELb0ELb1ELb0EPKfS0_fEv17rocblas_diagonal_iiT6_lPT7_lllS5_lllPT8_llli,comdat
	.globl	_ZL30rocblas_trmm_outofplace_kernelIfLi32ELi2ELb1ELb0ELb1ELb0EPKfS0_fEv17rocblas_diagonal_iiT6_lPT7_lllS5_lllPT8_llli ; -- Begin function _ZL30rocblas_trmm_outofplace_kernelIfLi32ELi2ELb1ELb0ELb1ELb0EPKfS0_fEv17rocblas_diagonal_iiT6_lPT7_lllS5_lllPT8_llli
	.p2align	8
	.type	_ZL30rocblas_trmm_outofplace_kernelIfLi32ELi2ELb1ELb0ELb1ELb0EPKfS0_fEv17rocblas_diagonal_iiT6_lPT7_lllS5_lllPT8_llli,@function
_ZL30rocblas_trmm_outofplace_kernelIfLi32ELi2ELb1ELb0ELb1ELb0EPKfS0_fEv17rocblas_diagonal_iiT6_lPT7_lllS5_lllPT8_llli: ; @_ZL30rocblas_trmm_outofplace_kernelIfLi32ELi2ELb1ELb0ELb1ELb0EPKfS0_fEv17rocblas_diagonal_iiT6_lPT7_lllS5_lllPT8_llli
; %bb.0:
	s_load_b32 s11, s[0:1], 0x80
	s_bfe_u32 s2, ttmp6, 0x40014
	s_lshr_b32 s3, ttmp7, 16
	s_add_co_i32 s2, s2, 1
	s_bfe_u32 s5, ttmp6, 0x40008
	s_mul_i32 s4, s3, s2
	s_getreg_b32 s2, hwreg(HW_REG_IB_STS2, 6, 4)
	s_add_co_i32 s5, s5, s4
	s_cmp_eq_u32 s2, 0
	s_mov_b32 s35, 0
	s_cselect_b32 s34, s3, s5
	s_wait_kmcnt 0x0
	s_cmp_ge_u32 s34, s11
	s_cbranch_scc1 .LBB4_56
; %bb.1:
	s_clause 0x1
	s_load_b96 s[8:10], s[0:1], 0x0
	s_load_b256 s[36:43], s[0:1], 0x50
	s_bfe_u32 s4, ttmp6, 0x4000c
	s_and_b32 s3, ttmp6, 15
	s_add_co_i32 s4, s4, 1
	s_bfe_u32 s5, ttmp6, 0x40010
	s_mul_i32 s4, ttmp9, s4
	s_and_b32 s6, ttmp7, 0xffff
	s_add_co_i32 s5, s5, 1
	s_add_co_i32 s3, s3, s4
	s_bfe_u32 s7, ttmp6, 0x40004
	s_mul_i32 s5, s6, s5
	v_and_b32_e32 v1, 0x3ff, v0
	s_add_co_i32 s7, s7, s5
	v_bfe_u32 v44, v0, 10, 10
	s_load_b128 s[28:31], s[0:1], 0x70
	s_delay_alu instid0(VALU_DEP_2) | instskip(NEXT) | instid1(VALU_DEP_2)
	v_dual_mov_b32 v47, 0 :: v_dual_lshlrev_b32 v45, 2, v1
	v_dual_mov_b32 v51, 1.0 :: v_dual_lshlrev_b32 v0, 7, v44
	s_wait_kmcnt 0x0
	s_add_co_i32 s12, s10, -1
	s_mov_b32 s44, s10
	s_ashr_i32 s13, s12, 31
	v_add_nc_u32_e32 v52, 0x400, v45
	s_lshr_b32 s4, s13, 27
	v_add_nc_u32_e32 v46, 0x1000, v0
	s_add_co_i32 s12, s12, s4
	s_lshl_b64 s[4:5], s[42:43], 2
	s_ashr_i32 s33, s12, 5
	s_cmp_eq_u32 s2, 0
	s_load_b512 s[12:27], s[0:1], 0x10
	s_cselect_b32 s48, s6, s7
	s_cselect_b32 s2, ttmp9, s3
	s_cmp_le_i32 s48, s33
	v_dual_add_nc_u32 v48, v45, v0 :: v_dual_add_nc_u32 v49, v46, v45
	s_cselect_b32 s49, -1, 0
	s_lshl_b32 s6, s2, 5
	s_add_nc_u64 s[40:41], s[40:41], s[4:5]
	v_add_nc_u32_e32 v2, s6, v1
	s_sub_co_i32 s50, s9, s6
	v_add_nc_u32_e32 v0, s6, v44
	s_cmp_gt_i32 s50, 0
	s_mov_b32 s42, s9
	v_ashrrev_i32_e32 v3, 31, v2
	s_cselect_b32 s51, -1, 0
	s_cmp_eq_u32 s8, 0x84
	v_lshl_add_u32 v50, s48, 5, v44
	s_cselect_b32 s52, -1, 0
	v_lshlrev_b64_e32 v[10:11], 2, v[2:3]
	s_wait_kmcnt 0x0
	v_mul_u64_e32 v[6:7], s[20:21], v[2:3]
	s_lshl_b64 s[2:3], s[18:19], 2
	s_lshl_b64 s[4:5], s[26:27], 2
	s_ashr_i32 s43, s9, 31
	s_add_nc_u64 s[4:5], s[24:25], s[4:5]
	s_add_nc_u64 s[18:19], s[0:1], 0x88
	v_add_nc_u64_e32 v[4:5], 64, v[10:11]
	v_add_nc_u64_e32 v[18:19], s[4:5], v[10:11]
	v_cmp_le_i32_e64 s0, s9, v2
	v_cmp_gt_i32_e64 s1, s9, v2
	v_add_nc_u32_e32 v53, 0x800, v45
	s_ashr_i32 s45, s10, 31
	s_lshl_b64 s[24:25], s[36:37], 2
	v_mad_nc_u64_u32 v[12:13], s20, v4, s[2:3]
	s_lshl_b64 s[22:23], s[22:23], 2
	s_delay_alu instid0(VALU_DEP_1) | instskip(SKIP_1) | instid1(VALU_DEP_1)
	v_mad_u32 v8, s21, v4, v13
	v_dual_add_nc_u32 v4, 16, v2 :: v_dual_ashrrev_i32 v1, 31, v0
	v_lshlrev_b64_e32 v[14:15], 2, v[0:1]
	v_lshl_add_u64 v[16:17], v[6:7], 2, s[2:3]
	v_add_nc_u64_e32 v[6:7], 16, v[2:3]
	s_delay_alu instid0(VALU_DEP_4)
	v_cmp_gt_i32_e64 s2, s9, v4
	v_mad_u32 v13, s20, v5, v8
	v_sub_nc_u64_e32 v[8:9], v[2:3], v[0:1]
	v_ashrrev_i32_e32 v5, 31, v4
	v_add_nc_u64_e32 v[16:17], v[16:17], v[14:15]
	s_add_nc_u64 s[20:21], s[42:43], -16
	v_cmp_le_i64_e64 s3, s[42:43], v[6:7]
	s_delay_alu instid0(VALU_DEP_4) | instskip(NEXT) | instid1(VALU_DEP_3)
	v_add_nc_u64_e32 v[10:11], 16, v[8:9]
	v_add_nc_u64_e32 v[16:17], s[16:17], v[16:17]
	;; [unrolled: 1-line block ×3, first 2 shown]
	v_add_nc_u64_e32 v[12:13], -16, v[8:9]
	v_add_nc_u64_e32 v[14:15], 64, v[18:19]
	s_delay_alu instid0(VALU_DEP_3)
	v_add_nc_u64_e32 v[18:19], s[16:17], v[20:21]
	s_lshl_b64 s[16:17], s[38:39], 2
	s_branch .LBB4_4
.LBB4_2:                                ;   in Loop: Header=BB4_4 Depth=1
	s_add_co_i32 s34, s34, 0x10000
	s_delay_alu instid0(SALU_CYCLE_1)
	s_cmp_ge_u32 s34, s11
	s_cselect_b32 s4, -1, 0
.LBB4_3:                                ;   in Loop: Header=BB4_4 Depth=1
	s_delay_alu instid0(SALU_CYCLE_1)
	s_and_b32 vcc_lo, exec_lo, s4
	s_cbranch_vccnz .LBB4_56
.LBB4_4:                                ; =>This Loop Header: Depth=1
                                        ;     Child Loop BB4_8 Depth 2
                                        ;       Child Loop BB4_11 Depth 3
	s_mul_u64 s[4:5], s[14:15], s[34:35]
	s_delay_alu instid0(SALU_CYCLE_1) | instskip(NEXT) | instid1(SALU_CYCLE_1)
	s_lshl_b64 s[4:5], s[4:5], 2
	s_add_nc_u64 s[4:5], s[12:13], s[4:5]
	global_load_b32 v54, v47, s[4:5]
	s_wait_xcnt 0x0
	s_mov_b32 s4, -1
	s_wait_loadcnt 0x0
	v_cmp_eq_f32_e32 vcc_lo, 0, v54
	s_cbranch_vccnz .LBB4_3
; %bb.5:                                ;   in Loop: Header=BB4_4 Depth=1
	s_and_not1_b32 vcc_lo, exec_lo, s49
	s_cbranch_vccnz .LBB4_2
; %bb.6:                                ;   in Loop: Header=BB4_4 Depth=1
	s_load_b32 s9, s[18:19], 0x4
	v_mad_nc_u64_u32 v[20:21], s16, s34, v[14:15]
	v_mad_nc_u64_u32 v[22:23], s22, s34, v[18:19]
	;; [unrolled: 1-line block ×3, first 2 shown]
	s_mul_i32 s6, s23, s34
	s_mul_u64 s[4:5], s[30:31], s[34:35]
	v_mov_b32_e32 v26, v50
	s_lshl_b64 s[4:5], s[4:5], 2
	s_mov_b32 s54, s48
	s_add_nc_u64 s[26:27], s[40:41], s[4:5]
	s_delay_alu instid0(VALU_DEP_4) | instskip(NEXT) | instid1(VALU_DEP_3)
	v_mad_u32 v21, s17, s34, v21
	v_dual_add_nc_u32 v23, s6, v23 :: v_dual_add_nc_u32 v25, s6, v25
	s_wait_kmcnt 0x0
	s_lshl_b32 s53, s9, 5
	s_branch .LBB4_8
.LBB4_7:                                ;   in Loop: Header=BB4_8 Depth=2
	s_wait_xcnt 0x0
	s_or_b32 exec_lo, exec_lo, s4
	v_add_nc_u32_e32 v26, s53, v26
	s_add_co_i32 s54, s9, s54
	s_delay_alu instid0(SALU_CYCLE_1)
	s_cmp_gt_i32 s54, s33
	s_cbranch_scc1 .LBB4_2
.LBB4_8:                                ;   Parent Loop BB4_4 Depth=1
                                        ; =>  This Loop Header: Depth=2
                                        ;       Child Loop BB4_11 Depth 3
	v_lshl_add_u32 v28, s54, 5, v44
	s_and_not1_b32 vcc_lo, exec_lo, s51
	s_delay_alu instid0(VALU_DEP_1)
	v_ashrrev_i32_e32 v29, 31, v28
	s_cbranch_vccnz .LBB4_47
; %bb.9:                                ;   in Loop: Header=BB4_8 Depth=2
	v_ashrrev_i32_e32 v27, 31, v26
	v_mad_nc_u64_u32 v[30:31], s24, v26, v[20:21]
	s_delay_alu instid0(VALU_DEP_3) | instskip(SKIP_3) | instid1(VALU_DEP_2)
	v_sub_nc_u64_e32 v[36:37], s[44:45], v[28:29]
	s_mov_b64 s[38:39], 0
	s_mov_b64 s[46:47], 0
	v_lshl_add_u64 v[34:35], v[26:27], 2, 64
	v_cmp_lt_i64_e64 s4, 16, v[36:37]
	s_delay_alu instid0(VALU_DEP_2) | instskip(SKIP_2) | instid1(VALU_DEP_3)
	v_mad_nc_u64_u32 v[32:33], s36, v34, v[20:21]
	v_cmp_lt_i64_e32 vcc_lo, 0, v[36:37]
	v_mad_u32 v31, s25, v26, v31
	v_mad_u32 v33, s37, v34, v33
	v_mov_b32_e32 v34, 0
	s_delay_alu instid0(VALU_DEP_3) | instskip(NEXT) | instid1(VALU_DEP_2)
	v_mad_u32 v31, s24, v27, v31
	v_dual_mov_b32 v37, v34 :: v_dual_mov_b32 v36, v34
	s_delay_alu instid0(VALU_DEP_4)
	v_mad_u32 v33, s36, v35, v33
	v_mov_b32_e32 v35, v34
	s_branch .LBB4_11
.LBB4_10:                               ;   in Loop: Header=BB4_11 Depth=3
	s_wait_xcnt 0x0
	s_or_b32 exec_lo, exec_lo, s5
	s_wait_dscnt 0x0
	s_barrier_signal -1
	s_barrier_wait -1
	ds_load_b128 v[38:41], v46
	ds_load_2addr_b32 v[42:43], v45 offset1:16
	ds_load_b128 v[56:59], v46 offset:2048
	ds_load_2addr_b32 v[68:69], v45 offset0:32 offset1:48
	ds_load_2addr_b32 v[70:71], v45 offset0:64 offset1:80
	;; [unrolled: 1-line block ×3, first 2 shown]
	ds_load_b128 v[60:63], v46 offset:16
	ds_load_2addr_b32 v[74:75], v45 offset0:128 offset1:144
	ds_load_b128 v[64:67], v46 offset:2064
	s_add_nc_u64 s[46:47], s[46:47], 32
	s_add_nc_u64 s[38:39], s[38:39], 0x80
	s_cmp_ge_i32 s46, s50
	s_wait_dscnt 0x7
	v_pk_fma_f32 v[36:37], v[42:43], v[38:39], v[36:37] op_sel_hi:[1,0,1]
	s_wait_dscnt 0x6
	v_pk_fma_f32 v[34:35], v[42:43], v[56:57], v[34:35] op_sel_hi:[1,0,1]
	ds_load_2addr_b32 v[42:43], v45 offset0:160 offset1:176
	s_wait_dscnt 0x6
	v_pk_fma_f32 v[36:37], v[68:69], v[38:39], v[36:37] op_sel:[0,1,0]
	v_pk_fma_f32 v[34:35], v[68:69], v[56:57], v[34:35] op_sel:[0,1,0]
	ds_load_2addr_b32 v[56:57], v45 offset0:192 offset1:208
	v_dual_mov_b32 v38, v41 :: v_dual_mov_b32 v68, v59
	s_wait_dscnt 0x6
	v_pk_fma_f32 v[36:37], v[70:71], v[40:41], v[36:37] op_sel_hi:[1,0,1]
	v_pk_fma_f32 v[34:35], v[70:71], v[58:59], v[34:35] op_sel_hi:[1,0,1]
	ds_load_2addr_b32 v[58:59], v45 offset0:224 offset1:240
	s_wait_dscnt 0x6
	v_pk_fma_f32 v[70:71], v[72:73], v[38:39], v[36:37] op_sel_hi:[1,0,1]
	v_pk_fma_f32 v[68:69], v[72:73], v[68:69], v[34:35] op_sel_hi:[1,0,1]
	ds_load_b128 v[34:37], v46 offset:32
	ds_load_2addr_b32 v[72:73], v52 offset1:16
	ds_load_b128 v[38:41], v46 offset:2080
	s_wait_dscnt 0x7
	v_pk_fma_f32 v[70:71], v[74:75], v[60:61], v[70:71] op_sel_hi:[1,0,1]
	s_wait_dscnt 0x6
	v_pk_fma_f32 v[68:69], v[74:75], v[64:65], v[68:69] op_sel_hi:[1,0,1]
	ds_load_2addr_b32 v[74:75], v52 offset0:32 offset1:48
	s_wait_dscnt 0x6
	v_pk_fma_f32 v[60:61], v[42:43], v[60:61], v[70:71] op_sel:[0,1,0]
	v_pk_fma_f32 v[42:43], v[42:43], v[64:65], v[68:69] op_sel:[0,1,0]
	ds_load_2addr_b32 v[64:65], v52 offset0:64 offset1:80
	v_dual_mov_b32 v68, v63 :: v_dual_mov_b32 v70, v67
	s_wait_dscnt 0x6
	v_pk_fma_f32 v[60:61], v[56:57], v[62:63], v[60:61] op_sel_hi:[1,0,1]
	v_pk_fma_f32 v[42:43], v[56:57], v[66:67], v[42:43] op_sel_hi:[1,0,1]
	ds_load_2addr_b32 v[66:67], v52 offset0:96 offset1:112
	s_wait_dscnt 0x6
	v_pk_fma_f32 v[68:69], v[58:59], v[68:69], v[60:61] op_sel_hi:[1,0,1]
	v_pk_fma_f32 v[42:43], v[58:59], v[70:71], v[42:43] op_sel_hi:[1,0,1]
	ds_load_b128 v[56:59], v46 offset:48
	ds_load_2addr_b32 v[70:71], v52 offset0:128 offset1:144
	ds_load_b128 v[60:63], v46 offset:2096
	s_wait_dscnt 0x7
	v_pk_fma_f32 v[68:69], v[72:73], v[34:35], v[68:69] op_sel_hi:[1,0,1]
	s_wait_dscnt 0x6
	v_pk_fma_f32 v[42:43], v[72:73], v[38:39], v[42:43] op_sel_hi:[1,0,1]
	ds_load_2addr_b32 v[72:73], v52 offset0:160 offset1:176
	s_wait_dscnt 0x6
	v_pk_fma_f32 v[34:35], v[74:75], v[34:35], v[68:69] op_sel:[0,1,0]
	v_pk_fma_f32 v[38:39], v[74:75], v[38:39], v[42:43] op_sel:[0,1,0]
	ds_load_2addr_b32 v[42:43], v52 offset0:192 offset1:208
	v_dual_mov_b32 v68, v37 :: v_dual_mov_b32 v74, v41
	s_wait_dscnt 0x6
	v_pk_fma_f32 v[34:35], v[64:65], v[36:37], v[34:35] op_sel_hi:[1,0,1]
	v_pk_fma_f32 v[36:37], v[64:65], v[40:41], v[38:39] op_sel_hi:[1,0,1]
	ds_load_2addr_b32 v[64:65], v52 offset0:224 offset1:240
	s_wait_dscnt 0x6
	v_pk_fma_f32 v[68:69], v[66:67], v[68:69], v[34:35] op_sel_hi:[1,0,1]
	v_pk_fma_f32 v[66:67], v[66:67], v[74:75], v[36:37] op_sel_hi:[1,0,1]
	ds_load_b128 v[34:37], v46 offset:64
	ds_load_2addr_b32 v[74:75], v53 offset1:16
	ds_load_b128 v[38:41], v46 offset:2112
	ds_load_2addr_b32 v[76:77], v53 offset0:96 offset1:112
	s_wait_dscnt 0x8
	v_pk_fma_f32 v[68:69], v[70:71], v[56:57], v[68:69] op_sel_hi:[1,0,1]
	s_wait_dscnt 0x7
	v_pk_fma_f32 v[66:67], v[70:71], v[60:61], v[66:67] op_sel_hi:[1,0,1]
	ds_load_2addr_b32 v[70:71], v53 offset0:32 offset1:48
	s_wait_dscnt 0x7
	v_pk_fma_f32 v[56:57], v[72:73], v[56:57], v[68:69] op_sel:[0,1,0]
	v_pk_fma_f32 v[60:61], v[72:73], v[60:61], v[66:67] op_sel:[0,1,0]
	ds_load_2addr_b32 v[66:67], v53 offset0:64 offset1:80
	v_dual_mov_b32 v68, v59 :: v_dual_mov_b32 v72, v63
	s_wait_dscnt 0x7
	v_pk_fma_f32 v[56:57], v[42:43], v[58:59], v[56:57] op_sel_hi:[1,0,1]
	v_pk_fma_f32 v[42:43], v[42:43], v[62:63], v[60:61] op_sel_hi:[1,0,1]
	s_wait_dscnt 0x6
	s_delay_alu instid0(VALU_DEP_2) | instskip(NEXT) | instid1(VALU_DEP_2)
	v_pk_fma_f32 v[68:69], v[64:65], v[68:69], v[56:57] op_sel_hi:[1,0,1]
	v_pk_fma_f32 v[42:43], v[64:65], v[72:73], v[42:43] op_sel_hi:[1,0,1]
	ds_load_b128 v[56:59], v46 offset:80
	ds_load_2addr_b32 v[64:65], v53 offset0:128 offset1:144
	ds_load_b128 v[60:63], v46 offset:2128
	ds_load_2addr_b32 v[72:73], v53 offset0:160 offset1:176
	v_add_nc_u32_e32 v27, 0xc00, v45
	s_wait_dscnt 0x8
	v_pk_fma_f32 v[68:69], v[74:75], v[34:35], v[68:69] op_sel_hi:[1,0,1]
	s_wait_dscnt 0x7
	v_pk_fma_f32 v[42:43], v[74:75], v[38:39], v[42:43] op_sel_hi:[1,0,1]
	s_wait_dscnt 0x5
	s_delay_alu instid0(VALU_DEP_2) | instskip(SKIP_1) | instid1(VALU_DEP_3)
	v_pk_fma_f32 v[34:35], v[70:71], v[34:35], v[68:69] op_sel:[0,1,0]
	v_mov_b32_e32 v68, v37
	v_pk_fma_f32 v[38:39], v[70:71], v[38:39], v[42:43] op_sel:[0,1,0]
	ds_load_2addr_b32 v[42:43], v53 offset0:192 offset1:208
	v_mov_b32_e32 v70, v41
	s_wait_dscnt 0x5
	v_pk_fma_f32 v[34:35], v[66:67], v[36:37], v[34:35] op_sel_hi:[1,0,1]
	v_pk_fma_f32 v[36:37], v[66:67], v[40:41], v[38:39] op_sel_hi:[1,0,1]
	ds_load_2addr_b32 v[66:67], v53 offset0:224 offset1:240
	v_pk_fma_f32 v[68:69], v[76:77], v[68:69], v[34:35] op_sel_hi:[1,0,1]
	v_pk_fma_f32 v[70:71], v[76:77], v[70:71], v[36:37] op_sel_hi:[1,0,1]
	s_wait_dscnt 0x4
	s_delay_alu instid0(VALU_DEP_2) | instskip(SKIP_1) | instid1(VALU_DEP_2)
	v_pk_fma_f32 v[68:69], v[64:65], v[56:57], v[68:69] op_sel_hi:[1,0,1]
	s_wait_dscnt 0x3
	v_pk_fma_f32 v[64:65], v[64:65], v[60:61], v[70:71] op_sel_hi:[1,0,1]
	s_wait_dscnt 0x2
	s_delay_alu instid0(VALU_DEP_2)
	v_pk_fma_f32 v[56:57], v[72:73], v[56:57], v[68:69] op_sel:[0,1,0]
	v_mov_b32_e32 v68, v59
	ds_load_b128 v[34:37], v46 offset:96
	ds_load_b128 v[38:41], v46 offset:2144
	ds_load_2addr_b32 v[74:75], v27 offset1:16
	ds_load_2addr_b32 v[70:71], v27 offset0:32 offset1:48
	v_pk_fma_f32 v[60:61], v[72:73], v[60:61], v[64:65] op_sel:[0,1,0]
	s_wait_dscnt 0x5
	v_pk_fma_f32 v[56:57], v[42:43], v[58:59], v[56:57] op_sel_hi:[1,0,1]
	ds_load_2addr_b32 v[64:65], v27 offset0:64 offset1:80
	v_mov_b32_e32 v72, v63
	ds_load_2addr_b32 v[76:77], v27 offset0:96 offset1:112
	v_pk_fma_f32 v[42:43], v[42:43], v[62:63], v[60:61] op_sel_hi:[1,0,1]
	s_wait_dscnt 0x6
	v_pk_fma_f32 v[68:69], v[66:67], v[68:69], v[56:57] op_sel_hi:[1,0,1]
	s_wait_dscnt 0x3
	s_delay_alu instid0(VALU_DEP_1) | instskip(SKIP_1) | instid1(VALU_DEP_1)
	v_pk_fma_f32 v[68:69], v[74:75], v[34:35], v[68:69] op_sel_hi:[1,0,1]
	s_wait_dscnt 0x2
	v_pk_fma_f32 v[34:35], v[70:71], v[34:35], v[68:69] op_sel:[0,1,0]
	v_mov_b32_e32 v68, v37
	v_pk_fma_f32 v[42:43], v[66:67], v[72:73], v[42:43] op_sel_hi:[1,0,1]
	ds_load_b128 v[56:59], v46 offset:112
	ds_load_b128 v[60:63], v46 offset:2160
	ds_load_2addr_b32 v[66:67], v27 offset0:128 offset1:144
	ds_load_2addr_b32 v[72:73], v27 offset0:160 offset1:176
	s_wait_dscnt 0x5
	v_pk_fma_f32 v[34:35], v[64:65], v[36:37], v[34:35] op_sel_hi:[1,0,1]
	v_pk_fma_f32 v[42:43], v[74:75], v[38:39], v[42:43] op_sel_hi:[1,0,1]
	s_wait_dscnt 0x4
	s_delay_alu instid0(VALU_DEP_2) | instskip(NEXT) | instid1(VALU_DEP_2)
	v_pk_fma_f32 v[34:35], v[76:77], v[68:69], v[34:35] op_sel_hi:[1,0,1]
	v_pk_fma_f32 v[38:39], v[70:71], v[38:39], v[42:43] op_sel:[0,1,0]
	ds_load_2addr_b32 v[42:43], v27 offset0:192 offset1:208
	v_mov_b32_e32 v70, v41
	v_pk_fma_f32 v[36:37], v[64:65], v[40:41], v[38:39] op_sel_hi:[1,0,1]
	ds_load_2addr_b32 v[38:39], v27 offset0:224 offset1:240
	s_wait_dscnt 0x0
	s_barrier_signal -1
	v_mov_b32_e32 v40, v59
	v_pk_fma_f32 v[36:37], v[76:77], v[70:71], v[36:37] op_sel_hi:[1,0,1]
	v_pk_fma_f32 v[34:35], v[66:67], v[56:57], v[34:35] op_sel_hi:[1,0,1]
	s_barrier_wait -1
	s_delay_alu instid0(VALU_DEP_2) | instskip(NEXT) | instid1(VALU_DEP_2)
	v_pk_fma_f32 v[36:37], v[66:67], v[60:61], v[36:37] op_sel_hi:[1,0,1]
	v_pk_fma_f32 v[34:35], v[72:73], v[56:57], v[34:35] op_sel:[0,1,0]
	v_mov_b32_e32 v56, v63
	s_delay_alu instid0(VALU_DEP_3) | instskip(NEXT) | instid1(VALU_DEP_3)
	v_pk_fma_f32 v[36:37], v[72:73], v[60:61], v[36:37] op_sel:[0,1,0]
	v_pk_fma_f32 v[34:35], v[42:43], v[58:59], v[34:35] op_sel_hi:[1,0,1]
	s_delay_alu instid0(VALU_DEP_2) | instskip(NEXT) | instid1(VALU_DEP_2)
	v_pk_fma_f32 v[42:43], v[42:43], v[62:63], v[36:37] op_sel_hi:[1,0,1]
	v_pk_fma_f32 v[36:37], v[38:39], v[40:41], v[34:35] op_sel_hi:[1,0,1]
	s_delay_alu instid0(VALU_DEP_2)
	v_pk_fma_f32 v[34:35], v[38:39], v[56:57], v[42:43] op_sel_hi:[1,0,1]
	s_cbranch_scc1 .LBB4_48
.LBB4_11:                               ;   Parent Loop BB4_4 Depth=1
                                        ;     Parent Loop BB4_8 Depth=2
                                        ; =>    This Inner Loop Header: Depth=3
	v_add_nc_u64_e32 v[42:43], s[46:47], v[0:1]
	v_cmp_eq_u64_e64 s7, s[46:47], v[8:9]
	v_add_nc_u64_e32 v[38:39], s[38:39], v[24:25]
                                        ; implicit-def: $vgpr27
	s_delay_alu instid0(VALU_DEP_3) | instskip(SKIP_3) | instid1(SALU_CYCLE_1)
	v_cmp_le_i64_e64 s6, s[42:43], v[42:43]
	v_cmp_lt_i64_e64 s5, v[42:43], v[2:3]
	s_and_b32 s55, s52, s7
	s_or_b32 s7, s6, s5
	s_or_b32 s7, s7, s55
	s_delay_alu instid0(SALU_CYCLE_1) | instskip(NEXT) | instid1(SALU_CYCLE_1)
	s_nor_b32 s7, s0, s7
	s_and_saveexec_b32 s8, s7
	s_delay_alu instid0(SALU_CYCLE_1)
	s_xor_b32 s7, exec_lo, s8
	s_cbranch_execz .LBB4_13
; %bb.12:                               ;   in Loop: Header=BB4_11 Depth=3
	global_load_b32 v27, v[38:39], off
.LBB4_13:                               ;   in Loop: Header=BB4_11 Depth=3
	s_wait_xcnt 0x0
	s_and_not1_saveexec_b32 s7, s7
	s_cbranch_execz .LBB4_15
; %bb.14:                               ;   in Loop: Header=BB4_11 Depth=3
	s_wait_loadcnt 0x0
	v_cndmask_b32_e64 v27, 0, 1.0, s55
.LBB4_15:                               ;   in Loop: Header=BB4_11 Depth=3
	s_or_b32 exec_lo, exec_lo, s7
	v_cmp_eq_u64_e64 s7, s[46:47], v[10:11]
	v_cmp_gt_i64_e64 s8, v[6:7], v[42:43]
	v_add_nc_u64_e32 v[40:41], s[38:39], v[22:23]
	s_wait_loadcnt 0x0
	ds_store_b32 v48, v27
	s_and_b32 s7, s52, s7
	s_or_b32 s6, s6, s8
	s_delay_alu instid0(SALU_CYCLE_1) | instskip(NEXT) | instid1(SALU_CYCLE_1)
	s_or_b32 s6, s6, s7
	s_nor_b32 s6, s3, s6
	s_delay_alu instid0(SALU_CYCLE_1) | instskip(NEXT) | instid1(SALU_CYCLE_1)
	s_and_saveexec_b32 s8, s6
	s_xor_b32 s6, exec_lo, s8
	s_cbranch_execz .LBB4_17
; %bb.16:                               ;   in Loop: Header=BB4_11 Depth=3
	global_load_b32 v27, v[40:41], off
	s_wait_loadcnt 0x0
	ds_store_b32 v48, v27 offset:64
.LBB4_17:                               ;   in Loop: Header=BB4_11 Depth=3
	s_wait_xcnt 0x0
	s_and_not1_saveexec_b32 s6, s6
	s_cbranch_execz .LBB4_23
; %bb.18:                               ;   in Loop: Header=BB4_11 Depth=3
	s_xor_b32 s7, s7, -1
	s_delay_alu instid0(SALU_CYCLE_1) | instskip(NEXT) | instid1(SALU_CYCLE_1)
	s_and_saveexec_b32 s8, s7
	s_xor_b32 s7, exec_lo, s8
; %bb.19:                               ;   in Loop: Header=BB4_11 Depth=3
	ds_store_b32 v48, v47 offset:64
; %bb.20:                               ;   in Loop: Header=BB4_11 Depth=3
	s_and_not1_saveexec_b32 s7, s7
; %bb.21:                               ;   in Loop: Header=BB4_11 Depth=3
	ds_store_b32 v48, v51 offset:64
; %bb.22:                               ;   in Loop: Header=BB4_11 Depth=3
	s_or_b32 exec_lo, exec_lo, s7
.LBB4_23:                               ;   in Loop: Header=BB4_11 Depth=3
	s_delay_alu instid0(SALU_CYCLE_1) | instskip(SKIP_2) | instid1(VALU_DEP_2)
	s_or_b32 exec_lo, exec_lo, s6
	v_add_nc_u64_e32 v[42:43], 16, v[42:43]
	v_cmp_eq_u64_e64 s7, s[46:47], v[12:13]
                                        ; implicit-def: $vgpr27
	v_cmp_le_i64_e64 s6, s[42:43], v[42:43]
	v_cmp_lt_i64_e64 s8, v[42:43], v[2:3]
	s_and_b32 s7, s52, s7
	s_or_b32 s8, s6, s8
	s_delay_alu instid0(SALU_CYCLE_1) | instskip(NEXT) | instid1(SALU_CYCLE_1)
	s_or_b32 s8, s8, s7
	s_nor_b32 s8, s0, s8
	s_delay_alu instid0(SALU_CYCLE_1) | instskip(NEXT) | instid1(SALU_CYCLE_1)
	s_and_saveexec_b32 s56, s8
	s_xor_b32 s8, exec_lo, s56
	s_cbranch_execz .LBB4_25
; %bb.24:                               ;   in Loop: Header=BB4_11 Depth=3
	global_load_b32 v27, v[38:39], off offset:64
.LBB4_25:                               ;   in Loop: Header=BB4_11 Depth=3
	s_wait_xcnt 0x0
	s_and_not1_saveexec_b32 s8, s8
	s_cbranch_execz .LBB4_27
; %bb.26:                               ;   in Loop: Header=BB4_11 Depth=3
	s_wait_loadcnt 0x0
	v_cndmask_b32_e64 v27, 0, 1.0, s7
.LBB4_27:                               ;   in Loop: Header=BB4_11 Depth=3
	s_or_b32 exec_lo, exec_lo, s8
	s_or_b32 s5, s6, s5
	s_wait_loadcnt 0x0
	ds_store_b32 v48, v27 offset:2048
	s_or_b32 s5, s5, s55
	s_delay_alu instid0(SALU_CYCLE_1) | instskip(NEXT) | instid1(SALU_CYCLE_1)
	s_nor_b32 s5, s3, s5
	s_and_saveexec_b32 s6, s5
	s_delay_alu instid0(SALU_CYCLE_1)
	s_xor_b32 s5, exec_lo, s6
	s_cbranch_execz .LBB4_29
; %bb.28:                               ;   in Loop: Header=BB4_11 Depth=3
	global_load_b32 v27, v[40:41], off offset:64
	s_wait_loadcnt 0x0
	ds_store_b32 v48, v27 offset:2112
.LBB4_29:                               ;   in Loop: Header=BB4_11 Depth=3
	s_wait_xcnt 0x0
	s_and_not1_saveexec_b32 s5, s5
	s_cbranch_execz .LBB4_35
; %bb.30:                               ;   in Loop: Header=BB4_11 Depth=3
	s_xor_b32 s6, s55, -1
	s_delay_alu instid0(SALU_CYCLE_1) | instskip(NEXT) | instid1(SALU_CYCLE_1)
	s_and_saveexec_b32 s7, s6
	s_xor_b32 s6, exec_lo, s7
; %bb.31:                               ;   in Loop: Header=BB4_11 Depth=3
	ds_store_b32 v48, v47 offset:2112
; %bb.32:                               ;   in Loop: Header=BB4_11 Depth=3
	s_and_not1_saveexec_b32 s6, s6
; %bb.33:                               ;   in Loop: Header=BB4_11 Depth=3
	ds_store_b32 v48, v51 offset:2112
; %bb.34:                               ;   in Loop: Header=BB4_11 Depth=3
	s_or_b32 exec_lo, exec_lo, s6
.LBB4_35:                               ;   in Loop: Header=BB4_11 Depth=3
	s_delay_alu instid0(SALU_CYCLE_1) | instskip(SKIP_3) | instid1(VALU_DEP_3)
	s_or_b32 exec_lo, exec_lo, s5
	v_add_nc_u64_e32 v[40:41], s[46:47], v[2:3]
	v_add_nc_u64_e32 v[38:39], s[38:39], v[30:31]
	v_mov_b32_e32 v27, 0
	v_cmp_gt_i64_e64 s5, s[42:43], v[40:41]
	s_and_b32 s7, vcc_lo, s5
	s_delay_alu instid0(SALU_CYCLE_1)
	s_and_saveexec_b32 s6, s7
	s_cbranch_execz .LBB4_37
; %bb.36:                               ;   in Loop: Header=BB4_11 Depth=3
	global_load_b32 v27, v[38:39], off offset:-64
.LBB4_37:                               ;   in Loop: Header=BB4_11 Depth=3
	s_wait_xcnt 0x0
	s_or_b32 exec_lo, exec_lo, s6
	v_cmp_gt_i64_e64 s6, s[20:21], v[40:41]
	s_wait_loadcnt 0x0
	ds_store_b32 v49, v27
	s_and_b32 s7, vcc_lo, s6
	s_delay_alu instid0(SALU_CYCLE_1) | instskip(NEXT) | instid1(SALU_CYCLE_1)
	s_xor_b32 s7, s7, -1
	s_and_saveexec_b32 s8, s7
	s_delay_alu instid0(SALU_CYCLE_1)
	s_xor_b32 s7, exec_lo, s8
; %bb.38:                               ;   in Loop: Header=BB4_11 Depth=3
	ds_store_b32 v49, v47 offset:64
                                        ; implicit-def: $vgpr38_vgpr39
; %bb.39:                               ;   in Loop: Header=BB4_11 Depth=3
	s_and_not1_saveexec_b32 s7, s7
	s_cbranch_execz .LBB4_41
; %bb.40:                               ;   in Loop: Header=BB4_11 Depth=3
	global_load_b32 v27, v[38:39], off
	s_wait_loadcnt 0x0
	ds_store_b32 v49, v27 offset:64
.LBB4_41:                               ;   in Loop: Header=BB4_11 Depth=3
	s_wait_xcnt 0x0
	s_or_b32 exec_lo, exec_lo, s7
	v_add_nc_u64_e32 v[38:39], s[38:39], v[32:33]
	v_mov_b32_e32 v27, 0
	s_and_b32 s7, s4, s5
	s_delay_alu instid0(SALU_CYCLE_1)
	s_and_saveexec_b32 s5, s7
	s_cbranch_execz .LBB4_43
; %bb.42:                               ;   in Loop: Header=BB4_11 Depth=3
	global_load_b32 v27, v[38:39], off offset:-64
.LBB4_43:                               ;   in Loop: Header=BB4_11 Depth=3
	s_wait_xcnt 0x0
	s_or_b32 exec_lo, exec_lo, s5
	s_and_b32 s5, s4, s6
	s_wait_loadcnt 0x0
	ds_store_b32 v49, v27 offset:2048
	s_xor_b32 s5, s5, -1
	s_delay_alu instid0(SALU_CYCLE_1) | instskip(NEXT) | instid1(SALU_CYCLE_1)
	s_and_saveexec_b32 s6, s5
	s_xor_b32 s5, exec_lo, s6
; %bb.44:                               ;   in Loop: Header=BB4_11 Depth=3
	ds_store_b32 v49, v47 offset:2112
                                        ; implicit-def: $vgpr38_vgpr39
; %bb.45:                               ;   in Loop: Header=BB4_11 Depth=3
	s_and_not1_saveexec_b32 s5, s5
	s_cbranch_execz .LBB4_10
; %bb.46:                               ;   in Loop: Header=BB4_11 Depth=3
	global_load_b32 v27, v[38:39], off
	s_wait_loadcnt 0x0
	ds_store_b32 v49, v27 offset:2112
	s_branch .LBB4_10
.LBB4_47:                               ;   in Loop: Header=BB4_8 Depth=2
	v_mov_b32_e32 v37, 0
	s_delay_alu instid0(VALU_DEP_1)
	v_dual_mov_b32 v36, v37 :: v_dual_mov_b32 v35, v37
	v_mov_b32_e32 v34, v37
.LBB4_48:                               ;   in Loop: Header=BB4_8 Depth=2
	v_mul_u64_e32 v[30:31], s[28:29], v[28:29]
	v_cmp_gt_i32_e32 vcc_lo, s10, v28
	s_and_b32 s5, s1, vcc_lo
	s_delay_alu instid0(VALU_DEP_2)
	v_lshl_add_u64 v[30:31], v[30:31], 2, s[26:27]
	s_and_saveexec_b32 s4, s5
	s_cbranch_execz .LBB4_50
; %bb.49:                               ;   in Loop: Header=BB4_8 Depth=2
	s_delay_alu instid0(VALU_DEP_1)
	v_lshl_add_u64 v[32:33], v[2:3], 2, v[30:31]
	global_load_b32 v27, v[32:33], off
	s_wait_loadcnt 0x0
	v_fmac_f32_e32 v27, v54, v36
	global_store_b32 v[32:33], v27, off
.LBB4_50:                               ;   in Loop: Header=BB4_8 Depth=2
	s_wait_xcnt 0x0
	s_or_b32 exec_lo, exec_lo, s4
	s_and_b32 s5, s2, vcc_lo
	s_delay_alu instid0(SALU_CYCLE_1)
	s_and_saveexec_b32 s4, s5
	s_cbranch_execz .LBB4_52
; %bb.51:                               ;   in Loop: Header=BB4_8 Depth=2
	v_lshl_add_u64 v[30:31], v[4:5], 2, v[30:31]
	global_load_b32 v27, v[30:31], off
	s_wait_loadcnt 0x0
	v_fmac_f32_e32 v27, v54, v37
	global_store_b32 v[30:31], v27, off
.LBB4_52:                               ;   in Loop: Header=BB4_8 Depth=2
	s_wait_xcnt 0x0
	s_or_b32 exec_lo, exec_lo, s4
	v_add_nc_u32_e32 v28, 16, v28
	s_delay_alu instid0(VALU_DEP_1) | instskip(SKIP_1) | instid1(VALU_DEP_2)
	v_ashrrev_i32_e32 v29, 31, v28
	v_cmp_gt_i32_e32 vcc_lo, s10, v28
	v_mul_u64_e32 v[30:31], s[28:29], v[28:29]
	s_and_b32 s5, s1, vcc_lo
	s_delay_alu instid0(VALU_DEP_1)
	v_lshl_add_u64 v[28:29], v[30:31], 2, s[26:27]
	s_and_saveexec_b32 s4, s5
	s_cbranch_execz .LBB4_54
; %bb.53:                               ;   in Loop: Header=BB4_8 Depth=2
	s_delay_alu instid0(VALU_DEP_1)
	v_lshl_add_u64 v[30:31], v[2:3], 2, v[28:29]
	global_load_b32 v27, v[30:31], off
	s_wait_loadcnt 0x0
	v_fmac_f32_e32 v27, v54, v34
	global_store_b32 v[30:31], v27, off
.LBB4_54:                               ;   in Loop: Header=BB4_8 Depth=2
	s_wait_xcnt 0x0
	s_or_b32 exec_lo, exec_lo, s4
	s_and_b32 s5, s2, vcc_lo
	s_delay_alu instid0(SALU_CYCLE_1)
	s_and_saveexec_b32 s4, s5
	s_cbranch_execz .LBB4_7
; %bb.55:                               ;   in Loop: Header=BB4_8 Depth=2
	v_lshl_add_u64 v[28:29], v[4:5], 2, v[28:29]
	global_load_b32 v27, v[28:29], off
	s_wait_loadcnt 0x0
	v_fmac_f32_e32 v27, v54, v35
	global_store_b32 v[28:29], v27, off
	s_branch .LBB4_7
.LBB4_56:
	s_sendmsg sendmsg(MSG_DEALLOC_VGPRS)
	s_endpgm
	.section	.rodata,"a",@progbits
	.p2align	6, 0x0
	.amdhsa_kernel _ZL30rocblas_trmm_outofplace_kernelIfLi32ELi2ELb1ELb0ELb1ELb0EPKfS0_fEv17rocblas_diagonal_iiT6_lPT7_lllS5_lllPT8_llli
		.amdhsa_group_segment_fixed_size 8192
		.amdhsa_private_segment_fixed_size 0
		.amdhsa_kernarg_size 392
		.amdhsa_user_sgpr_count 2
		.amdhsa_user_sgpr_dispatch_ptr 0
		.amdhsa_user_sgpr_queue_ptr 0
		.amdhsa_user_sgpr_kernarg_segment_ptr 1
		.amdhsa_user_sgpr_dispatch_id 0
		.amdhsa_user_sgpr_kernarg_preload_length 0
		.amdhsa_user_sgpr_kernarg_preload_offset 0
		.amdhsa_user_sgpr_private_segment_size 0
		.amdhsa_wavefront_size32 1
		.amdhsa_uses_dynamic_stack 0
		.amdhsa_enable_private_segment 0
		.amdhsa_system_sgpr_workgroup_id_x 1
		.amdhsa_system_sgpr_workgroup_id_y 1
		.amdhsa_system_sgpr_workgroup_id_z 1
		.amdhsa_system_sgpr_workgroup_info 0
		.amdhsa_system_vgpr_workitem_id 1
		.amdhsa_next_free_vgpr 78
		.amdhsa_next_free_sgpr 57
		.amdhsa_named_barrier_count 0
		.amdhsa_reserve_vcc 1
		.amdhsa_float_round_mode_32 0
		.amdhsa_float_round_mode_16_64 0
		.amdhsa_float_denorm_mode_32 3
		.amdhsa_float_denorm_mode_16_64 3
		.amdhsa_fp16_overflow 0
		.amdhsa_memory_ordered 1
		.amdhsa_forward_progress 1
		.amdhsa_inst_pref_size 26
		.amdhsa_round_robin_scheduling 0
		.amdhsa_exception_fp_ieee_invalid_op 0
		.amdhsa_exception_fp_denorm_src 0
		.amdhsa_exception_fp_ieee_div_zero 0
		.amdhsa_exception_fp_ieee_overflow 0
		.amdhsa_exception_fp_ieee_underflow 0
		.amdhsa_exception_fp_ieee_inexact 0
		.amdhsa_exception_int_div_zero 0
	.end_amdhsa_kernel
	.section	.text._ZL30rocblas_trmm_outofplace_kernelIfLi32ELi2ELb1ELb0ELb1ELb0EPKfS0_fEv17rocblas_diagonal_iiT6_lPT7_lllS5_lllPT8_llli,"axG",@progbits,_ZL30rocblas_trmm_outofplace_kernelIfLi32ELi2ELb1ELb0ELb1ELb0EPKfS0_fEv17rocblas_diagonal_iiT6_lPT7_lllS5_lllPT8_llli,comdat
.Lfunc_end4:
	.size	_ZL30rocblas_trmm_outofplace_kernelIfLi32ELi2ELb1ELb0ELb1ELb0EPKfS0_fEv17rocblas_diagonal_iiT6_lPT7_lllS5_lllPT8_llli, .Lfunc_end4-_ZL30rocblas_trmm_outofplace_kernelIfLi32ELi2ELb1ELb0ELb1ELb0EPKfS0_fEv17rocblas_diagonal_iiT6_lPT7_lllS5_lllPT8_llli
                                        ; -- End function
	.set _ZL30rocblas_trmm_outofplace_kernelIfLi32ELi2ELb1ELb0ELb1ELb0EPKfS0_fEv17rocblas_diagonal_iiT6_lPT7_lllS5_lllPT8_llli.num_vgpr, 78
	.set _ZL30rocblas_trmm_outofplace_kernelIfLi32ELi2ELb1ELb0ELb1ELb0EPKfS0_fEv17rocblas_diagonal_iiT6_lPT7_lllS5_lllPT8_llli.num_agpr, 0
	.set _ZL30rocblas_trmm_outofplace_kernelIfLi32ELi2ELb1ELb0ELb1ELb0EPKfS0_fEv17rocblas_diagonal_iiT6_lPT7_lllS5_lllPT8_llli.numbered_sgpr, 57
	.set _ZL30rocblas_trmm_outofplace_kernelIfLi32ELi2ELb1ELb0ELb1ELb0EPKfS0_fEv17rocblas_diagonal_iiT6_lPT7_lllS5_lllPT8_llli.num_named_barrier, 0
	.set _ZL30rocblas_trmm_outofplace_kernelIfLi32ELi2ELb1ELb0ELb1ELb0EPKfS0_fEv17rocblas_diagonal_iiT6_lPT7_lllS5_lllPT8_llli.private_seg_size, 0
	.set _ZL30rocblas_trmm_outofplace_kernelIfLi32ELi2ELb1ELb0ELb1ELb0EPKfS0_fEv17rocblas_diagonal_iiT6_lPT7_lllS5_lllPT8_llli.uses_vcc, 1
	.set _ZL30rocblas_trmm_outofplace_kernelIfLi32ELi2ELb1ELb0ELb1ELb0EPKfS0_fEv17rocblas_diagonal_iiT6_lPT7_lllS5_lllPT8_llli.uses_flat_scratch, 0
	.set _ZL30rocblas_trmm_outofplace_kernelIfLi32ELi2ELb1ELb0ELb1ELb0EPKfS0_fEv17rocblas_diagonal_iiT6_lPT7_lllS5_lllPT8_llli.has_dyn_sized_stack, 0
	.set _ZL30rocblas_trmm_outofplace_kernelIfLi32ELi2ELb1ELb0ELb1ELb0EPKfS0_fEv17rocblas_diagonal_iiT6_lPT7_lllS5_lllPT8_llli.has_recursion, 0
	.set _ZL30rocblas_trmm_outofplace_kernelIfLi32ELi2ELb1ELb0ELb1ELb0EPKfS0_fEv17rocblas_diagonal_iiT6_lPT7_lllS5_lllPT8_llli.has_indirect_call, 0
	.section	.AMDGPU.csdata,"",@progbits
; Kernel info:
; codeLenInByte = 3208
; TotalNumSgprs: 59
; NumVgprs: 78
; ScratchSize: 0
; MemoryBound: 0
; FloatMode: 240
; IeeeMode: 1
; LDSByteSize: 8192 bytes/workgroup (compile time only)
; SGPRBlocks: 0
; VGPRBlocks: 4
; NumSGPRsForWavesPerEU: 59
; NumVGPRsForWavesPerEU: 78
; NamedBarCnt: 0
; Occupancy: 12
; WaveLimiterHint : 0
; COMPUTE_PGM_RSRC2:SCRATCH_EN: 0
; COMPUTE_PGM_RSRC2:USER_SGPR: 2
; COMPUTE_PGM_RSRC2:TRAP_HANDLER: 0
; COMPUTE_PGM_RSRC2:TGID_X_EN: 1
; COMPUTE_PGM_RSRC2:TGID_Y_EN: 1
; COMPUTE_PGM_RSRC2:TGID_Z_EN: 1
; COMPUTE_PGM_RSRC2:TIDIG_COMP_CNT: 1
	.section	.text._ZL30rocblas_trmm_outofplace_kernelIfLi32ELi2ELb1ELb0ELb1ELb0EfKffEv17rocblas_diagonal_iiT6_lPT7_lllS4_lllPT8_llli,"axG",@progbits,_ZL30rocblas_trmm_outofplace_kernelIfLi32ELi2ELb1ELb0ELb1ELb0EfKffEv17rocblas_diagonal_iiT6_lPT7_lllS4_lllPT8_llli,comdat
	.globl	_ZL30rocblas_trmm_outofplace_kernelIfLi32ELi2ELb1ELb0ELb1ELb0EfKffEv17rocblas_diagonal_iiT6_lPT7_lllS4_lllPT8_llli ; -- Begin function _ZL30rocblas_trmm_outofplace_kernelIfLi32ELi2ELb1ELb0ELb1ELb0EfKffEv17rocblas_diagonal_iiT6_lPT7_lllS4_lllPT8_llli
	.p2align	8
	.type	_ZL30rocblas_trmm_outofplace_kernelIfLi32ELi2ELb1ELb0ELb1ELb0EfKffEv17rocblas_diagonal_iiT6_lPT7_lllS4_lllPT8_llli,@function
_ZL30rocblas_trmm_outofplace_kernelIfLi32ELi2ELb1ELb0ELb1ELb0EfKffEv17rocblas_diagonal_iiT6_lPT7_lllS4_lllPT8_llli: ; @_ZL30rocblas_trmm_outofplace_kernelIfLi32ELi2ELb1ELb0ELb1ELb0EfKffEv17rocblas_diagonal_iiT6_lPT7_lllS4_lllPT8_llli
; %bb.0:
	s_load_b32 s33, s[0:1], 0x78
	s_bfe_u32 s2, ttmp6, 0x40014
	s_lshr_b32 s3, ttmp7, 16
	s_add_co_i32 s2, s2, 1
	s_bfe_u32 s5, ttmp6, 0x40008
	s_mul_i32 s4, s3, s2
	s_getreg_b32 s2, hwreg(HW_REG_IB_STS2, 6, 4)
	s_add_co_i32 s5, s5, s4
	s_cmp_eq_u32 s2, 0
	s_cselect_b32 s34, s3, s5
	s_wait_kmcnt 0x0
	s_cmp_ge_u32 s34, s33
	s_cbranch_scc1 .LBB5_55
; %bb.1:
	s_load_b128 s[28:31], s[0:1], 0x0
	s_wait_kmcnt 0x0
	s_cmp_eq_f32 s31, 0
	s_cbranch_scc1 .LBB5_55
; %bb.2:
	s_add_co_i32 s3, s30, -1
	s_bfe_u32 s6, ttmp6, 0x4000c
	s_ashr_i32 s5, s3, 31
	s_bfe_u32 s7, ttmp6, 0x40010
	s_lshr_b32 s5, s5, 27
	s_add_co_i32 s6, s6, 1
	s_add_co_i32 s3, s3, s5
	;; [unrolled: 1-line block ×3, first 2 shown]
	s_ashr_i32 s44, s3, 5
	s_and_b32 s3, ttmp7, 0xffff
	s_and_b32 s4, ttmp6, 15
	s_mul_i32 s5, ttmp9, s6
	s_mul_i32 s6, s3, s7
	s_bfe_u32 s7, ttmp6, 0x40004
	s_add_co_i32 s4, s4, s5
	s_add_co_i32 s7, s7, s6
	s_cmp_eq_u32 s2, 0
	v_and_b32_e32 v1, 0x3ff, v0
	s_cselect_b32 s45, s3, s7
	s_cselect_b32 s2, ttmp9, s4
	s_cmp_le_i32 s45, s44
	s_load_b512 s[4:19], s[0:1], 0x18
	s_cselect_b32 s46, -1, 0
	s_lshl_b32 s37, s2, 5
	v_bfe_u32 v44, v0, 10, 10
	v_dual_add_nc_u32 v2, s37, v1 :: v_dual_lshlrev_b32 v45, 2, v1
	s_sub_co_i32 s47, s29, s37
	s_load_b256 s[20:27], s[0:1], 0x58
	s_delay_alu instid0(VALU_DEP_1)
	v_dual_lshlrev_b32 v0, 7, v44 :: v_dual_ashrrev_i32 v3, 31, v2
	s_cmp_gt_i32 s47, 0
	v_mov_b32_e32 v46, 0
	s_cselect_b32 s48, -1, 0
	s_cmp_eq_u32 s28, 0x84
	v_lshlrev_b64_e32 v[10:11], 2, v[2:3]
	s_cselect_b32 s49, -1, 0
	v_dual_mov_b32 v48, 1.0 :: v_dual_add_nc_u32 v47, 0x1000, v0
	v_add_nc_u32_e32 v49, v45, v0
	v_add_nc_u32_e32 v0, s37, v44
	s_wait_kmcnt 0x0
	v_mul_u64_e32 v[6:7], s[8:9], v[2:3]
	v_add_nc_u64_e32 v[4:5], 64, v[10:11]
	s_lshl_b64 s[2:3], s[6:7], 2
	v_dual_add_nc_u32 v51, v47, v45 :: v_dual_ashrrev_i32 v1, 31, v0
	s_mov_b32 s36, s29
	s_ashr_i32 s37, s29, 31
	s_lshl_b64 s[6:7], s[22:23], 2
	s_delay_alu instid0(VALU_DEP_2)
	v_mad_nc_u64_u32 v[12:13], s8, v4, s[2:3]
	s_lshl_b64 s[22:23], s[14:15], 2
	s_add_nc_u64 s[14:15], s[20:21], s[6:7]
	s_add_nc_u64 s[6:7], s[12:13], s[22:23]
	;; [unrolled: 1-line block ×3, first 2 shown]
	v_add_nc_u64_e32 v[18:19], s[6:7], v[10:11]
	v_lshl_add_u32 v50, s45, 5, v44
	v_cmp_le_i32_e64 s0, s29, v2
	v_cmp_gt_i32_e64 s1, s29, v2
	v_add_nc_u32_e32 v52, 0x400, v45
	v_add_nc_u32_e32 v53, 0x800, v45
	v_mad_u32 v8, s9, v4, v13
	v_add_nc_u32_e32 v4, 16, v2
	v_lshlrev_b64_e32 v[14:15], 2, v[0:1]
	v_add_nc_u32_e32 v54, 0xc00, v45
	s_mov_b32 s35, 0
	s_mov_b32 s38, s30
	s_ashr_i32 s39, s30, 31
	s_add_nc_u64 s[20:21], s[36:37], -16
	s_lshl_b64 s[12:13], s[18:19], 2
	s_lshl_b64 s[18:19], s[16:17], 2
	;; [unrolled: 1-line block ×3, first 2 shown]
	v_mad_u32 v13, s8, v5, v8
	v_sub_nc_u64_e32 v[8:9], v[2:3], v[0:1]
	v_lshl_add_u64 v[16:17], v[6:7], 2, s[2:3]
	v_add_nc_u64_e32 v[6:7], 16, v[2:3]
	v_cmp_gt_i32_e64 s2, s29, v4
	v_ashrrev_i32_e32 v5, 31, v4
	s_delay_alu instid0(VALU_DEP_4)
	v_add_nc_u64_e32 v[16:17], v[16:17], v[14:15]
	v_add_nc_u64_e32 v[10:11], 16, v[8:9]
	v_cmp_le_i64_e64 s3, s[36:37], v[6:7]
	v_add_nc_u64_e32 v[20:21], v[12:13], v[14:15]
	v_add_nc_u64_e32 v[12:13], -16, v[8:9]
	v_add_nc_u64_e32 v[14:15], 64, v[18:19]
	v_add_nc_u64_e32 v[16:17], s[4:5], v[16:17]
	s_delay_alu instid0(VALU_DEP_4)
	v_add_nc_u64_e32 v[18:19], s[4:5], v[20:21]
	s_branch .LBB5_4
.LBB5_3:                                ;   in Loop: Header=BB5_4 Depth=1
	s_add_co_i32 s34, s34, 0x10000
	s_delay_alu instid0(SALU_CYCLE_1)
	s_cmp_ge_u32 s34, s33
	s_cbranch_scc1 .LBB5_55
.LBB5_4:                                ; =>This Loop Header: Depth=1
                                        ;     Child Loop BB5_7 Depth 2
                                        ;       Child Loop BB5_10 Depth 3
	s_and_not1_b32 vcc_lo, exec_lo, s46
	s_cbranch_vccnz .LBB5_3
; %bb.5:                                ;   in Loop: Header=BB5_4 Depth=1
	s_load_b32 s9, s[40:41], 0x4
	v_mad_nc_u64_u32 v[20:21], s12, s34, v[14:15]
	s_delay_alu instid0(VALU_DEP_2)
	v_mad_nc_u64_u32 v[22:23], s10, s34, v[18:19]
	v_mad_nc_u64_u32 v[24:25], s10, s34, v[16:17]
	s_mul_i32 s6, s11, s34
	s_mul_u64 s[4:5], s[26:27], s[34:35]
	v_mov_b32_e32 v26, v50
	s_lshl_b64 s[4:5], s[4:5], 2
	s_mov_b32 s51, s45
	s_add_nc_u64 s[22:23], s[14:15], s[4:5]
	s_delay_alu instid0(VALU_DEP_4) | instskip(NEXT) | instid1(VALU_DEP_3)
	v_mad_u32 v21, s13, s34, v21
	v_dual_add_nc_u32 v23, s6, v23 :: v_dual_add_nc_u32 v25, s6, v25
	s_wait_kmcnt 0x0
	s_lshl_b32 s50, s9, 5
	s_branch .LBB5_7
.LBB5_6:                                ;   in Loop: Header=BB5_7 Depth=2
	s_wait_xcnt 0x0
	s_or_b32 exec_lo, exec_lo, s4
	v_add_nc_u32_e32 v26, s50, v26
	s_add_co_i32 s51, s9, s51
	s_delay_alu instid0(SALU_CYCLE_1)
	s_cmp_gt_i32 s51, s44
	s_cbranch_scc1 .LBB5_3
.LBB5_7:                                ;   Parent Loop BB5_4 Depth=1
                                        ; =>  This Loop Header: Depth=2
                                        ;       Child Loop BB5_10 Depth 3
	v_lshl_add_u32 v28, s51, 5, v44
	s_and_not1_b32 vcc_lo, exec_lo, s48
	s_delay_alu instid0(VALU_DEP_1)
	v_ashrrev_i32_e32 v29, 31, v28
	s_cbranch_vccnz .LBB5_46
; %bb.8:                                ;   in Loop: Header=BB5_7 Depth=2
	v_ashrrev_i32_e32 v27, 31, v26
	v_mad_nc_u64_u32 v[30:31], s18, v26, v[20:21]
	s_delay_alu instid0(VALU_DEP_3) | instskip(SKIP_3) | instid1(VALU_DEP_2)
	v_sub_nc_u64_e32 v[36:37], s[38:39], v[28:29]
	s_mov_b64 s[28:29], 0
	s_mov_b64 s[42:43], 0
	v_lshl_add_u64 v[34:35], v[26:27], 2, 64
	v_cmp_lt_i64_e64 s4, 16, v[36:37]
	s_delay_alu instid0(VALU_DEP_2) | instskip(SKIP_2) | instid1(VALU_DEP_3)
	v_mad_nc_u64_u32 v[32:33], s16, v34, v[20:21]
	v_cmp_lt_i64_e32 vcc_lo, 0, v[36:37]
	v_mad_u32 v31, s19, v26, v31
	v_mad_u32 v33, s17, v34, v33
	v_mov_b32_e32 v34, 0
	s_delay_alu instid0(VALU_DEP_3) | instskip(NEXT) | instid1(VALU_DEP_2)
	v_mad_u32 v31, s18, v27, v31
	v_dual_mov_b32 v37, v34 :: v_dual_mov_b32 v36, v34
	s_delay_alu instid0(VALU_DEP_4)
	v_mad_u32 v33, s16, v35, v33
	v_mov_b32_e32 v35, v34
	s_branch .LBB5_10
.LBB5_9:                                ;   in Loop: Header=BB5_10 Depth=3
	s_wait_xcnt 0x0
	s_or_b32 exec_lo, exec_lo, s5
	s_wait_dscnt 0x0
	s_barrier_signal -1
	s_barrier_wait -1
	ds_load_b128 v[38:41], v47
	ds_load_2addr_b32 v[42:43], v45 offset1:16
	ds_load_b128 v[56:59], v47 offset:2048
	ds_load_2addr_b32 v[68:69], v45 offset0:32 offset1:48
	ds_load_2addr_b32 v[70:71], v45 offset0:64 offset1:80
	;; [unrolled: 1-line block ×3, first 2 shown]
	ds_load_b128 v[60:63], v47 offset:16
	ds_load_2addr_b32 v[74:75], v45 offset0:128 offset1:144
	ds_load_b128 v[64:67], v47 offset:2064
	s_add_nc_u64 s[42:43], s[42:43], 32
	s_add_nc_u64 s[28:29], s[28:29], 0x80
	s_cmp_ge_i32 s42, s47
	s_wait_dscnt 0x7
	v_pk_fma_f32 v[36:37], v[42:43], v[38:39], v[36:37] op_sel_hi:[1,0,1]
	s_wait_dscnt 0x6
	v_pk_fma_f32 v[34:35], v[42:43], v[56:57], v[34:35] op_sel_hi:[1,0,1]
	ds_load_2addr_b32 v[42:43], v45 offset0:160 offset1:176
	s_wait_dscnt 0x6
	v_pk_fma_f32 v[36:37], v[68:69], v[38:39], v[36:37] op_sel:[0,1,0]
	v_pk_fma_f32 v[34:35], v[68:69], v[56:57], v[34:35] op_sel:[0,1,0]
	ds_load_2addr_b32 v[56:57], v45 offset0:192 offset1:208
	v_dual_mov_b32 v38, v41 :: v_dual_mov_b32 v68, v59
	s_wait_dscnt 0x6
	v_pk_fma_f32 v[36:37], v[70:71], v[40:41], v[36:37] op_sel_hi:[1,0,1]
	v_pk_fma_f32 v[34:35], v[70:71], v[58:59], v[34:35] op_sel_hi:[1,0,1]
	ds_load_2addr_b32 v[58:59], v45 offset0:224 offset1:240
	s_wait_dscnt 0x6
	v_pk_fma_f32 v[70:71], v[72:73], v[38:39], v[36:37] op_sel_hi:[1,0,1]
	v_pk_fma_f32 v[68:69], v[72:73], v[68:69], v[34:35] op_sel_hi:[1,0,1]
	ds_load_b128 v[34:37], v47 offset:32
	ds_load_2addr_b32 v[72:73], v52 offset1:16
	ds_load_b128 v[38:41], v47 offset:2080
	s_wait_dscnt 0x7
	v_pk_fma_f32 v[70:71], v[74:75], v[60:61], v[70:71] op_sel_hi:[1,0,1]
	s_wait_dscnt 0x6
	v_pk_fma_f32 v[68:69], v[74:75], v[64:65], v[68:69] op_sel_hi:[1,0,1]
	ds_load_2addr_b32 v[74:75], v52 offset0:32 offset1:48
	s_wait_dscnt 0x6
	v_pk_fma_f32 v[60:61], v[42:43], v[60:61], v[70:71] op_sel:[0,1,0]
	v_pk_fma_f32 v[42:43], v[42:43], v[64:65], v[68:69] op_sel:[0,1,0]
	ds_load_2addr_b32 v[64:65], v52 offset0:64 offset1:80
	v_dual_mov_b32 v68, v63 :: v_dual_mov_b32 v70, v67
	s_wait_dscnt 0x6
	v_pk_fma_f32 v[60:61], v[56:57], v[62:63], v[60:61] op_sel_hi:[1,0,1]
	v_pk_fma_f32 v[42:43], v[56:57], v[66:67], v[42:43] op_sel_hi:[1,0,1]
	ds_load_2addr_b32 v[66:67], v52 offset0:96 offset1:112
	s_wait_dscnt 0x6
	v_pk_fma_f32 v[68:69], v[58:59], v[68:69], v[60:61] op_sel_hi:[1,0,1]
	v_pk_fma_f32 v[42:43], v[58:59], v[70:71], v[42:43] op_sel_hi:[1,0,1]
	ds_load_b128 v[56:59], v47 offset:48
	ds_load_2addr_b32 v[70:71], v52 offset0:128 offset1:144
	ds_load_b128 v[60:63], v47 offset:2096
	s_wait_dscnt 0x7
	v_pk_fma_f32 v[68:69], v[72:73], v[34:35], v[68:69] op_sel_hi:[1,0,1]
	s_wait_dscnt 0x6
	v_pk_fma_f32 v[42:43], v[72:73], v[38:39], v[42:43] op_sel_hi:[1,0,1]
	ds_load_2addr_b32 v[72:73], v52 offset0:160 offset1:176
	s_wait_dscnt 0x6
	v_pk_fma_f32 v[34:35], v[74:75], v[34:35], v[68:69] op_sel:[0,1,0]
	v_pk_fma_f32 v[38:39], v[74:75], v[38:39], v[42:43] op_sel:[0,1,0]
	ds_load_2addr_b32 v[42:43], v52 offset0:192 offset1:208
	v_dual_mov_b32 v68, v37 :: v_dual_mov_b32 v74, v41
	s_wait_dscnt 0x6
	v_pk_fma_f32 v[34:35], v[64:65], v[36:37], v[34:35] op_sel_hi:[1,0,1]
	v_pk_fma_f32 v[36:37], v[64:65], v[40:41], v[38:39] op_sel_hi:[1,0,1]
	ds_load_2addr_b32 v[64:65], v52 offset0:224 offset1:240
	s_wait_dscnt 0x6
	v_pk_fma_f32 v[68:69], v[66:67], v[68:69], v[34:35] op_sel_hi:[1,0,1]
	v_pk_fma_f32 v[66:67], v[66:67], v[74:75], v[36:37] op_sel_hi:[1,0,1]
	ds_load_b128 v[34:37], v47 offset:64
	ds_load_2addr_b32 v[74:75], v53 offset1:16
	ds_load_b128 v[38:41], v47 offset:2112
	ds_load_2addr_b32 v[76:77], v53 offset0:96 offset1:112
	s_wait_dscnt 0x8
	v_pk_fma_f32 v[68:69], v[70:71], v[56:57], v[68:69] op_sel_hi:[1,0,1]
	s_wait_dscnt 0x7
	v_pk_fma_f32 v[66:67], v[70:71], v[60:61], v[66:67] op_sel_hi:[1,0,1]
	ds_load_2addr_b32 v[70:71], v53 offset0:32 offset1:48
	s_wait_dscnt 0x7
	v_pk_fma_f32 v[56:57], v[72:73], v[56:57], v[68:69] op_sel:[0,1,0]
	v_pk_fma_f32 v[60:61], v[72:73], v[60:61], v[66:67] op_sel:[0,1,0]
	ds_load_2addr_b32 v[66:67], v53 offset0:64 offset1:80
	v_dual_mov_b32 v68, v59 :: v_dual_mov_b32 v72, v63
	s_wait_dscnt 0x7
	v_pk_fma_f32 v[56:57], v[42:43], v[58:59], v[56:57] op_sel_hi:[1,0,1]
	v_pk_fma_f32 v[42:43], v[42:43], v[62:63], v[60:61] op_sel_hi:[1,0,1]
	s_wait_dscnt 0x6
	s_delay_alu instid0(VALU_DEP_2) | instskip(NEXT) | instid1(VALU_DEP_2)
	v_pk_fma_f32 v[68:69], v[64:65], v[68:69], v[56:57] op_sel_hi:[1,0,1]
	v_pk_fma_f32 v[42:43], v[64:65], v[72:73], v[42:43] op_sel_hi:[1,0,1]
	ds_load_b128 v[56:59], v47 offset:80
	ds_load_2addr_b32 v[64:65], v53 offset0:128 offset1:144
	ds_load_b128 v[60:63], v47 offset:2128
	ds_load_2addr_b32 v[72:73], v53 offset0:160 offset1:176
	s_wait_dscnt 0x8
	v_pk_fma_f32 v[68:69], v[74:75], v[34:35], v[68:69] op_sel_hi:[1,0,1]
	s_wait_dscnt 0x7
	v_pk_fma_f32 v[42:43], v[74:75], v[38:39], v[42:43] op_sel_hi:[1,0,1]
	s_wait_dscnt 0x5
	s_delay_alu instid0(VALU_DEP_2) | instskip(NEXT) | instid1(VALU_DEP_2)
	v_pk_fma_f32 v[34:35], v[70:71], v[34:35], v[68:69] op_sel:[0,1,0]
	v_pk_fma_f32 v[38:39], v[70:71], v[38:39], v[42:43] op_sel:[0,1,0]
	ds_load_2addr_b32 v[42:43], v53 offset0:192 offset1:208
	v_dual_mov_b32 v68, v37 :: v_dual_mov_b32 v70, v41
	s_wait_dscnt 0x5
	v_pk_fma_f32 v[34:35], v[66:67], v[36:37], v[34:35] op_sel_hi:[1,0,1]
	v_pk_fma_f32 v[36:37], v[66:67], v[40:41], v[38:39] op_sel_hi:[1,0,1]
	ds_load_2addr_b32 v[66:67], v53 offset0:224 offset1:240
	v_pk_fma_f32 v[68:69], v[76:77], v[68:69], v[34:35] op_sel_hi:[1,0,1]
	v_pk_fma_f32 v[70:71], v[76:77], v[70:71], v[36:37] op_sel_hi:[1,0,1]
	ds_load_b128 v[34:37], v47 offset:96
	ds_load_2addr_b32 v[74:75], v54 offset1:16
	ds_load_b128 v[38:41], v47 offset:2144
	ds_load_2addr_b32 v[76:77], v54 offset0:96 offset1:112
	s_wait_dscnt 0x8
	v_pk_fma_f32 v[68:69], v[64:65], v[56:57], v[68:69] op_sel_hi:[1,0,1]
	s_wait_dscnt 0x7
	v_pk_fma_f32 v[64:65], v[64:65], v[60:61], v[70:71] op_sel_hi:[1,0,1]
	ds_load_2addr_b32 v[70:71], v54 offset0:32 offset1:48
	s_wait_dscnt 0x7
	v_pk_fma_f32 v[56:57], v[72:73], v[56:57], v[68:69] op_sel:[0,1,0]
	v_pk_fma_f32 v[60:61], v[72:73], v[60:61], v[64:65] op_sel:[0,1,0]
	ds_load_2addr_b32 v[64:65], v54 offset0:64 offset1:80
	v_dual_mov_b32 v68, v59 :: v_dual_mov_b32 v72, v63
	s_wait_dscnt 0x7
	v_pk_fma_f32 v[56:57], v[42:43], v[58:59], v[56:57] op_sel_hi:[1,0,1]
	v_pk_fma_f32 v[42:43], v[42:43], v[62:63], v[60:61] op_sel_hi:[1,0,1]
	s_wait_dscnt 0x6
	s_delay_alu instid0(VALU_DEP_2) | instskip(NEXT) | instid1(VALU_DEP_2)
	v_pk_fma_f32 v[68:69], v[66:67], v[68:69], v[56:57] op_sel_hi:[1,0,1]
	v_pk_fma_f32 v[42:43], v[66:67], v[72:73], v[42:43] op_sel_hi:[1,0,1]
	ds_load_b128 v[56:59], v47 offset:112
	ds_load_2addr_b32 v[66:67], v54 offset0:128 offset1:144
	ds_load_b128 v[60:63], v47 offset:2160
	ds_load_2addr_b32 v[72:73], v54 offset0:160 offset1:176
	s_wait_dscnt 0x8
	v_pk_fma_f32 v[68:69], v[74:75], v[34:35], v[68:69] op_sel_hi:[1,0,1]
	s_wait_dscnt 0x7
	v_pk_fma_f32 v[42:43], v[74:75], v[38:39], v[42:43] op_sel_hi:[1,0,1]
	s_wait_dscnt 0x5
	s_delay_alu instid0(VALU_DEP_2) | instskip(NEXT) | instid1(VALU_DEP_2)
	v_pk_fma_f32 v[34:35], v[70:71], v[34:35], v[68:69] op_sel:[0,1,0]
	v_pk_fma_f32 v[38:39], v[70:71], v[38:39], v[42:43] op_sel:[0,1,0]
	ds_load_2addr_b32 v[42:43], v54 offset0:192 offset1:208
	v_dual_mov_b32 v68, v37 :: v_dual_mov_b32 v70, v41
	s_wait_dscnt 0x5
	v_pk_fma_f32 v[34:35], v[64:65], v[36:37], v[34:35] op_sel_hi:[1,0,1]
	v_pk_fma_f32 v[36:37], v[64:65], v[40:41], v[38:39] op_sel_hi:[1,0,1]
	ds_load_2addr_b32 v[38:39], v54 offset0:224 offset1:240
	s_wait_dscnt 0x0
	s_barrier_signal -1
	v_pk_fma_f32 v[34:35], v[76:77], v[68:69], v[34:35] op_sel_hi:[1,0,1]
	v_pk_fma_f32 v[36:37], v[76:77], v[70:71], v[36:37] op_sel_hi:[1,0,1]
	v_mov_b32_e32 v40, v59
	s_barrier_wait -1
	s_delay_alu instid0(VALU_DEP_3) | instskip(NEXT) | instid1(VALU_DEP_3)
	v_pk_fma_f32 v[34:35], v[66:67], v[56:57], v[34:35] op_sel_hi:[1,0,1]
	v_pk_fma_f32 v[36:37], v[66:67], v[60:61], v[36:37] op_sel_hi:[1,0,1]
	s_delay_alu instid0(VALU_DEP_2) | instskip(NEXT) | instid1(VALU_DEP_2)
	v_pk_fma_f32 v[34:35], v[72:73], v[56:57], v[34:35] op_sel:[0,1,0]
	v_pk_fma_f32 v[36:37], v[72:73], v[60:61], v[36:37] op_sel:[0,1,0]
	v_mov_b32_e32 v56, v63
	s_delay_alu instid0(VALU_DEP_3) | instskip(NEXT) | instid1(VALU_DEP_3)
	v_pk_fma_f32 v[34:35], v[42:43], v[58:59], v[34:35] op_sel_hi:[1,0,1]
	v_pk_fma_f32 v[42:43], v[42:43], v[62:63], v[36:37] op_sel_hi:[1,0,1]
	s_delay_alu instid0(VALU_DEP_2) | instskip(NEXT) | instid1(VALU_DEP_2)
	v_pk_fma_f32 v[36:37], v[38:39], v[40:41], v[34:35] op_sel_hi:[1,0,1]
	v_pk_fma_f32 v[34:35], v[38:39], v[56:57], v[42:43] op_sel_hi:[1,0,1]
	s_cbranch_scc1 .LBB5_47
.LBB5_10:                               ;   Parent Loop BB5_4 Depth=1
                                        ;     Parent Loop BB5_7 Depth=2
                                        ; =>    This Inner Loop Header: Depth=3
	v_add_nc_u64_e32 v[42:43], s[42:43], v[0:1]
	v_cmp_eq_u64_e64 s7, s[42:43], v[8:9]
	v_add_nc_u64_e32 v[38:39], s[28:29], v[24:25]
                                        ; implicit-def: $vgpr27
	s_delay_alu instid0(VALU_DEP_3) | instskip(SKIP_3) | instid1(SALU_CYCLE_1)
	v_cmp_le_i64_e64 s6, s[36:37], v[42:43]
	v_cmp_lt_i64_e64 s5, v[42:43], v[2:3]
	s_and_b32 s52, s49, s7
	s_or_b32 s7, s6, s5
	s_or_b32 s7, s7, s52
	s_delay_alu instid0(SALU_CYCLE_1) | instskip(NEXT) | instid1(SALU_CYCLE_1)
	s_nor_b32 s7, s0, s7
	s_and_saveexec_b32 s8, s7
	s_delay_alu instid0(SALU_CYCLE_1)
	s_xor_b32 s7, exec_lo, s8
	s_cbranch_execz .LBB5_12
; %bb.11:                               ;   in Loop: Header=BB5_10 Depth=3
	global_load_b32 v27, v[38:39], off
.LBB5_12:                               ;   in Loop: Header=BB5_10 Depth=3
	s_wait_xcnt 0x0
	s_and_not1_saveexec_b32 s7, s7
	s_cbranch_execz .LBB5_14
; %bb.13:                               ;   in Loop: Header=BB5_10 Depth=3
	s_wait_loadcnt 0x0
	v_cndmask_b32_e64 v27, 0, 1.0, s52
.LBB5_14:                               ;   in Loop: Header=BB5_10 Depth=3
	s_or_b32 exec_lo, exec_lo, s7
	v_cmp_eq_u64_e64 s7, s[42:43], v[10:11]
	v_cmp_gt_i64_e64 s8, v[6:7], v[42:43]
	v_add_nc_u64_e32 v[40:41], s[28:29], v[22:23]
	s_wait_loadcnt 0x0
	ds_store_b32 v49, v27
	s_and_b32 s7, s49, s7
	s_or_b32 s6, s6, s8
	s_delay_alu instid0(SALU_CYCLE_1) | instskip(NEXT) | instid1(SALU_CYCLE_1)
	s_or_b32 s6, s6, s7
	s_nor_b32 s6, s3, s6
	s_delay_alu instid0(SALU_CYCLE_1) | instskip(NEXT) | instid1(SALU_CYCLE_1)
	s_and_saveexec_b32 s8, s6
	s_xor_b32 s6, exec_lo, s8
	s_cbranch_execz .LBB5_16
; %bb.15:                               ;   in Loop: Header=BB5_10 Depth=3
	global_load_b32 v27, v[40:41], off
	s_wait_loadcnt 0x0
	ds_store_b32 v49, v27 offset:64
.LBB5_16:                               ;   in Loop: Header=BB5_10 Depth=3
	s_wait_xcnt 0x0
	s_and_not1_saveexec_b32 s6, s6
	s_cbranch_execz .LBB5_22
; %bb.17:                               ;   in Loop: Header=BB5_10 Depth=3
	s_xor_b32 s7, s7, -1
	s_delay_alu instid0(SALU_CYCLE_1) | instskip(NEXT) | instid1(SALU_CYCLE_1)
	s_and_saveexec_b32 s8, s7
	s_xor_b32 s7, exec_lo, s8
; %bb.18:                               ;   in Loop: Header=BB5_10 Depth=3
	ds_store_b32 v49, v46 offset:64
; %bb.19:                               ;   in Loop: Header=BB5_10 Depth=3
	s_and_not1_saveexec_b32 s7, s7
; %bb.20:                               ;   in Loop: Header=BB5_10 Depth=3
	ds_store_b32 v49, v48 offset:64
; %bb.21:                               ;   in Loop: Header=BB5_10 Depth=3
	s_or_b32 exec_lo, exec_lo, s7
.LBB5_22:                               ;   in Loop: Header=BB5_10 Depth=3
	s_delay_alu instid0(SALU_CYCLE_1) | instskip(SKIP_2) | instid1(VALU_DEP_2)
	s_or_b32 exec_lo, exec_lo, s6
	v_add_nc_u64_e32 v[42:43], 16, v[42:43]
	v_cmp_eq_u64_e64 s7, s[42:43], v[12:13]
                                        ; implicit-def: $vgpr27
	v_cmp_le_i64_e64 s6, s[36:37], v[42:43]
	v_cmp_lt_i64_e64 s8, v[42:43], v[2:3]
	s_and_b32 s7, s49, s7
	s_or_b32 s8, s6, s8
	s_delay_alu instid0(SALU_CYCLE_1) | instskip(NEXT) | instid1(SALU_CYCLE_1)
	s_or_b32 s8, s8, s7
	s_nor_b32 s8, s0, s8
	s_delay_alu instid0(SALU_CYCLE_1) | instskip(NEXT) | instid1(SALU_CYCLE_1)
	s_and_saveexec_b32 s53, s8
	s_xor_b32 s8, exec_lo, s53
	s_cbranch_execz .LBB5_24
; %bb.23:                               ;   in Loop: Header=BB5_10 Depth=3
	global_load_b32 v27, v[38:39], off offset:64
.LBB5_24:                               ;   in Loop: Header=BB5_10 Depth=3
	s_wait_xcnt 0x0
	s_and_not1_saveexec_b32 s8, s8
	s_cbranch_execz .LBB5_26
; %bb.25:                               ;   in Loop: Header=BB5_10 Depth=3
	s_wait_loadcnt 0x0
	v_cndmask_b32_e64 v27, 0, 1.0, s7
.LBB5_26:                               ;   in Loop: Header=BB5_10 Depth=3
	s_or_b32 exec_lo, exec_lo, s8
	s_or_b32 s5, s6, s5
	s_wait_loadcnt 0x0
	ds_store_b32 v49, v27 offset:2048
	s_or_b32 s5, s5, s52
	s_delay_alu instid0(SALU_CYCLE_1) | instskip(NEXT) | instid1(SALU_CYCLE_1)
	s_nor_b32 s5, s3, s5
	s_and_saveexec_b32 s6, s5
	s_delay_alu instid0(SALU_CYCLE_1)
	s_xor_b32 s5, exec_lo, s6
	s_cbranch_execz .LBB5_28
; %bb.27:                               ;   in Loop: Header=BB5_10 Depth=3
	global_load_b32 v27, v[40:41], off offset:64
	s_wait_loadcnt 0x0
	ds_store_b32 v49, v27 offset:2112
.LBB5_28:                               ;   in Loop: Header=BB5_10 Depth=3
	s_wait_xcnt 0x0
	s_and_not1_saveexec_b32 s5, s5
	s_cbranch_execz .LBB5_34
; %bb.29:                               ;   in Loop: Header=BB5_10 Depth=3
	s_xor_b32 s6, s52, -1
	s_delay_alu instid0(SALU_CYCLE_1) | instskip(NEXT) | instid1(SALU_CYCLE_1)
	s_and_saveexec_b32 s7, s6
	s_xor_b32 s6, exec_lo, s7
; %bb.30:                               ;   in Loop: Header=BB5_10 Depth=3
	ds_store_b32 v49, v46 offset:2112
; %bb.31:                               ;   in Loop: Header=BB5_10 Depth=3
	s_and_not1_saveexec_b32 s6, s6
; %bb.32:                               ;   in Loop: Header=BB5_10 Depth=3
	ds_store_b32 v49, v48 offset:2112
; %bb.33:                               ;   in Loop: Header=BB5_10 Depth=3
	s_or_b32 exec_lo, exec_lo, s6
.LBB5_34:                               ;   in Loop: Header=BB5_10 Depth=3
	s_delay_alu instid0(SALU_CYCLE_1) | instskip(SKIP_3) | instid1(VALU_DEP_3)
	s_or_b32 exec_lo, exec_lo, s5
	v_add_nc_u64_e32 v[40:41], s[42:43], v[2:3]
	v_add_nc_u64_e32 v[38:39], s[28:29], v[30:31]
	v_mov_b32_e32 v27, 0
	v_cmp_gt_i64_e64 s5, s[36:37], v[40:41]
	s_and_b32 s7, vcc_lo, s5
	s_delay_alu instid0(SALU_CYCLE_1)
	s_and_saveexec_b32 s6, s7
	s_cbranch_execz .LBB5_36
; %bb.35:                               ;   in Loop: Header=BB5_10 Depth=3
	global_load_b32 v27, v[38:39], off offset:-64
.LBB5_36:                               ;   in Loop: Header=BB5_10 Depth=3
	s_wait_xcnt 0x0
	s_or_b32 exec_lo, exec_lo, s6
	v_cmp_gt_i64_e64 s6, s[20:21], v[40:41]
	s_wait_loadcnt 0x0
	ds_store_b32 v51, v27
	s_and_b32 s7, vcc_lo, s6
	s_delay_alu instid0(SALU_CYCLE_1) | instskip(NEXT) | instid1(SALU_CYCLE_1)
	s_xor_b32 s7, s7, -1
	s_and_saveexec_b32 s8, s7
	s_delay_alu instid0(SALU_CYCLE_1)
	s_xor_b32 s7, exec_lo, s8
; %bb.37:                               ;   in Loop: Header=BB5_10 Depth=3
	ds_store_b32 v51, v46 offset:64
                                        ; implicit-def: $vgpr38_vgpr39
; %bb.38:                               ;   in Loop: Header=BB5_10 Depth=3
	s_and_not1_saveexec_b32 s7, s7
	s_cbranch_execz .LBB5_40
; %bb.39:                               ;   in Loop: Header=BB5_10 Depth=3
	global_load_b32 v27, v[38:39], off
	s_wait_loadcnt 0x0
	ds_store_b32 v51, v27 offset:64
.LBB5_40:                               ;   in Loop: Header=BB5_10 Depth=3
	s_wait_xcnt 0x0
	s_or_b32 exec_lo, exec_lo, s7
	v_add_nc_u64_e32 v[38:39], s[28:29], v[32:33]
	v_mov_b32_e32 v27, 0
	s_and_b32 s7, s4, s5
	s_delay_alu instid0(SALU_CYCLE_1)
	s_and_saveexec_b32 s5, s7
	s_cbranch_execz .LBB5_42
; %bb.41:                               ;   in Loop: Header=BB5_10 Depth=3
	global_load_b32 v27, v[38:39], off offset:-64
.LBB5_42:                               ;   in Loop: Header=BB5_10 Depth=3
	s_wait_xcnt 0x0
	s_or_b32 exec_lo, exec_lo, s5
	s_and_b32 s5, s4, s6
	s_wait_loadcnt 0x0
	ds_store_b32 v51, v27 offset:2048
	s_xor_b32 s5, s5, -1
	s_delay_alu instid0(SALU_CYCLE_1) | instskip(NEXT) | instid1(SALU_CYCLE_1)
	s_and_saveexec_b32 s6, s5
	s_xor_b32 s5, exec_lo, s6
; %bb.43:                               ;   in Loop: Header=BB5_10 Depth=3
	ds_store_b32 v51, v46 offset:2112
                                        ; implicit-def: $vgpr38_vgpr39
; %bb.44:                               ;   in Loop: Header=BB5_10 Depth=3
	s_and_not1_saveexec_b32 s5, s5
	s_cbranch_execz .LBB5_9
; %bb.45:                               ;   in Loop: Header=BB5_10 Depth=3
	global_load_b32 v27, v[38:39], off
	s_wait_loadcnt 0x0
	ds_store_b32 v51, v27 offset:2112
	s_branch .LBB5_9
.LBB5_46:                               ;   in Loop: Header=BB5_7 Depth=2
	v_mov_b32_e32 v37, 0
	s_delay_alu instid0(VALU_DEP_1)
	v_dual_mov_b32 v36, v37 :: v_dual_mov_b32 v35, v37
	v_mov_b32_e32 v34, v37
.LBB5_47:                               ;   in Loop: Header=BB5_7 Depth=2
	v_mul_u64_e32 v[30:31], s[24:25], v[28:29]
	v_cmp_gt_i32_e32 vcc_lo, s30, v28
	s_and_b32 s5, s1, vcc_lo
	s_delay_alu instid0(VALU_DEP_2)
	v_lshl_add_u64 v[30:31], v[30:31], 2, s[22:23]
	s_and_saveexec_b32 s4, s5
	s_cbranch_execz .LBB5_49
; %bb.48:                               ;   in Loop: Header=BB5_7 Depth=2
	s_delay_alu instid0(VALU_DEP_1)
	v_lshl_add_u64 v[32:33], v[2:3], 2, v[30:31]
	global_load_b32 v27, v[32:33], off
	s_wait_loadcnt 0x0
	v_fmac_f32_e32 v27, s31, v36
	global_store_b32 v[32:33], v27, off
.LBB5_49:                               ;   in Loop: Header=BB5_7 Depth=2
	s_wait_xcnt 0x0
	s_or_b32 exec_lo, exec_lo, s4
	s_and_b32 s5, s2, vcc_lo
	s_delay_alu instid0(SALU_CYCLE_1)
	s_and_saveexec_b32 s4, s5
	s_cbranch_execz .LBB5_51
; %bb.50:                               ;   in Loop: Header=BB5_7 Depth=2
	v_lshl_add_u64 v[30:31], v[4:5], 2, v[30:31]
	global_load_b32 v27, v[30:31], off
	s_wait_loadcnt 0x0
	v_fmac_f32_e32 v27, s31, v37
	global_store_b32 v[30:31], v27, off
.LBB5_51:                               ;   in Loop: Header=BB5_7 Depth=2
	s_wait_xcnt 0x0
	s_or_b32 exec_lo, exec_lo, s4
	v_add_nc_u32_e32 v28, 16, v28
	s_delay_alu instid0(VALU_DEP_1) | instskip(SKIP_1) | instid1(VALU_DEP_2)
	v_ashrrev_i32_e32 v29, 31, v28
	v_cmp_gt_i32_e32 vcc_lo, s30, v28
	v_mul_u64_e32 v[30:31], s[24:25], v[28:29]
	s_and_b32 s5, s1, vcc_lo
	s_delay_alu instid0(VALU_DEP_1)
	v_lshl_add_u64 v[28:29], v[30:31], 2, s[22:23]
	s_and_saveexec_b32 s4, s5
	s_cbranch_execz .LBB5_53
; %bb.52:                               ;   in Loop: Header=BB5_7 Depth=2
	s_delay_alu instid0(VALU_DEP_1)
	v_lshl_add_u64 v[30:31], v[2:3], 2, v[28:29]
	global_load_b32 v27, v[30:31], off
	s_wait_loadcnt 0x0
	v_fmac_f32_e32 v27, s31, v34
	global_store_b32 v[30:31], v27, off
.LBB5_53:                               ;   in Loop: Header=BB5_7 Depth=2
	s_wait_xcnt 0x0
	s_or_b32 exec_lo, exec_lo, s4
	s_and_b32 s5, s2, vcc_lo
	s_delay_alu instid0(SALU_CYCLE_1)
	s_and_saveexec_b32 s4, s5
	s_cbranch_execz .LBB5_6
; %bb.54:                               ;   in Loop: Header=BB5_7 Depth=2
	v_lshl_add_u64 v[28:29], v[4:5], 2, v[28:29]
	global_load_b32 v27, v[28:29], off
	s_wait_loadcnt 0x0
	v_fmac_f32_e32 v27, s31, v35
	global_store_b32 v[28:29], v27, off
	s_branch .LBB5_6
.LBB5_55:
	s_sendmsg sendmsg(MSG_DEALLOC_VGPRS)
	s_endpgm
	.section	.rodata,"a",@progbits
	.p2align	6, 0x0
	.amdhsa_kernel _ZL30rocblas_trmm_outofplace_kernelIfLi32ELi2ELb1ELb0ELb1ELb0EfKffEv17rocblas_diagonal_iiT6_lPT7_lllS4_lllPT8_llli
		.amdhsa_group_segment_fixed_size 8192
		.amdhsa_private_segment_fixed_size 0
		.amdhsa_kernarg_size 384
		.amdhsa_user_sgpr_count 2
		.amdhsa_user_sgpr_dispatch_ptr 0
		.amdhsa_user_sgpr_queue_ptr 0
		.amdhsa_user_sgpr_kernarg_segment_ptr 1
		.amdhsa_user_sgpr_dispatch_id 0
		.amdhsa_user_sgpr_kernarg_preload_length 0
		.amdhsa_user_sgpr_kernarg_preload_offset 0
		.amdhsa_user_sgpr_private_segment_size 0
		.amdhsa_wavefront_size32 1
		.amdhsa_uses_dynamic_stack 0
		.amdhsa_enable_private_segment 0
		.amdhsa_system_sgpr_workgroup_id_x 1
		.amdhsa_system_sgpr_workgroup_id_y 1
		.amdhsa_system_sgpr_workgroup_id_z 1
		.amdhsa_system_sgpr_workgroup_info 0
		.amdhsa_system_vgpr_workitem_id 1
		.amdhsa_next_free_vgpr 78
		.amdhsa_next_free_sgpr 54
		.amdhsa_named_barrier_count 0
		.amdhsa_reserve_vcc 1
		.amdhsa_float_round_mode_32 0
		.amdhsa_float_round_mode_16_64 0
		.amdhsa_float_denorm_mode_32 3
		.amdhsa_float_denorm_mode_16_64 3
		.amdhsa_fp16_overflow 0
		.amdhsa_memory_ordered 1
		.amdhsa_forward_progress 1
		.amdhsa_inst_pref_size 25
		.amdhsa_round_robin_scheduling 0
		.amdhsa_exception_fp_ieee_invalid_op 0
		.amdhsa_exception_fp_denorm_src 0
		.amdhsa_exception_fp_ieee_div_zero 0
		.amdhsa_exception_fp_ieee_overflow 0
		.amdhsa_exception_fp_ieee_underflow 0
		.amdhsa_exception_fp_ieee_inexact 0
		.amdhsa_exception_int_div_zero 0
	.end_amdhsa_kernel
	.section	.text._ZL30rocblas_trmm_outofplace_kernelIfLi32ELi2ELb1ELb0ELb1ELb0EfKffEv17rocblas_diagonal_iiT6_lPT7_lllS4_lllPT8_llli,"axG",@progbits,_ZL30rocblas_trmm_outofplace_kernelIfLi32ELi2ELb1ELb0ELb1ELb0EfKffEv17rocblas_diagonal_iiT6_lPT7_lllS4_lllPT8_llli,comdat
.Lfunc_end5:
	.size	_ZL30rocblas_trmm_outofplace_kernelIfLi32ELi2ELb1ELb0ELb1ELb0EfKffEv17rocblas_diagonal_iiT6_lPT7_lllS4_lllPT8_llli, .Lfunc_end5-_ZL30rocblas_trmm_outofplace_kernelIfLi32ELi2ELb1ELb0ELb1ELb0EfKffEv17rocblas_diagonal_iiT6_lPT7_lllS4_lllPT8_llli
                                        ; -- End function
	.set _ZL30rocblas_trmm_outofplace_kernelIfLi32ELi2ELb1ELb0ELb1ELb0EfKffEv17rocblas_diagonal_iiT6_lPT7_lllS4_lllPT8_llli.num_vgpr, 78
	.set _ZL30rocblas_trmm_outofplace_kernelIfLi32ELi2ELb1ELb0ELb1ELb0EfKffEv17rocblas_diagonal_iiT6_lPT7_lllS4_lllPT8_llli.num_agpr, 0
	.set _ZL30rocblas_trmm_outofplace_kernelIfLi32ELi2ELb1ELb0ELb1ELb0EfKffEv17rocblas_diagonal_iiT6_lPT7_lllS4_lllPT8_llli.numbered_sgpr, 54
	.set _ZL30rocblas_trmm_outofplace_kernelIfLi32ELi2ELb1ELb0ELb1ELb0EfKffEv17rocblas_diagonal_iiT6_lPT7_lllS4_lllPT8_llli.num_named_barrier, 0
	.set _ZL30rocblas_trmm_outofplace_kernelIfLi32ELi2ELb1ELb0ELb1ELb0EfKffEv17rocblas_diagonal_iiT6_lPT7_lllS4_lllPT8_llli.private_seg_size, 0
	.set _ZL30rocblas_trmm_outofplace_kernelIfLi32ELi2ELb1ELb0ELb1ELb0EfKffEv17rocblas_diagonal_iiT6_lPT7_lllS4_lllPT8_llli.uses_vcc, 1
	.set _ZL30rocblas_trmm_outofplace_kernelIfLi32ELi2ELb1ELb0ELb1ELb0EfKffEv17rocblas_diagonal_iiT6_lPT7_lllS4_lllPT8_llli.uses_flat_scratch, 0
	.set _ZL30rocblas_trmm_outofplace_kernelIfLi32ELi2ELb1ELb0ELb1ELb0EfKffEv17rocblas_diagonal_iiT6_lPT7_lllS4_lllPT8_llli.has_dyn_sized_stack, 0
	.set _ZL30rocblas_trmm_outofplace_kernelIfLi32ELi2ELb1ELb0ELb1ELb0EfKffEv17rocblas_diagonal_iiT6_lPT7_lllS4_lllPT8_llli.has_recursion, 0
	.set _ZL30rocblas_trmm_outofplace_kernelIfLi32ELi2ELb1ELb0ELb1ELb0EfKffEv17rocblas_diagonal_iiT6_lPT7_lllS4_lllPT8_llli.has_indirect_call, 0
	.section	.AMDGPU.csdata,"",@progbits
; Kernel info:
; codeLenInByte = 3148
; TotalNumSgprs: 56
; NumVgprs: 78
; ScratchSize: 0
; MemoryBound: 0
; FloatMode: 240
; IeeeMode: 1
; LDSByteSize: 8192 bytes/workgroup (compile time only)
; SGPRBlocks: 0
; VGPRBlocks: 4
; NumSGPRsForWavesPerEU: 56
; NumVGPRsForWavesPerEU: 78
; NamedBarCnt: 0
; Occupancy: 12
; WaveLimiterHint : 0
; COMPUTE_PGM_RSRC2:SCRATCH_EN: 0
; COMPUTE_PGM_RSRC2:USER_SGPR: 2
; COMPUTE_PGM_RSRC2:TRAP_HANDLER: 0
; COMPUTE_PGM_RSRC2:TGID_X_EN: 1
; COMPUTE_PGM_RSRC2:TGID_Y_EN: 1
; COMPUTE_PGM_RSRC2:TGID_Z_EN: 1
; COMPUTE_PGM_RSRC2:TIDIG_COMP_CNT: 1
	.section	.text._ZL30rocblas_trmm_outofplace_kernelIfLi32ELi2ELb1ELb1ELb1ELb0EPKfS0_fEv17rocblas_diagonal_iiT6_lPT7_lllS5_lllPT8_llli,"axG",@progbits,_ZL30rocblas_trmm_outofplace_kernelIfLi32ELi2ELb1ELb1ELb1ELb0EPKfS0_fEv17rocblas_diagonal_iiT6_lPT7_lllS5_lllPT8_llli,comdat
	.globl	_ZL30rocblas_trmm_outofplace_kernelIfLi32ELi2ELb1ELb1ELb1ELb0EPKfS0_fEv17rocblas_diagonal_iiT6_lPT7_lllS5_lllPT8_llli ; -- Begin function _ZL30rocblas_trmm_outofplace_kernelIfLi32ELi2ELb1ELb1ELb1ELb0EPKfS0_fEv17rocblas_diagonal_iiT6_lPT7_lllS5_lllPT8_llli
	.p2align	8
	.type	_ZL30rocblas_trmm_outofplace_kernelIfLi32ELi2ELb1ELb1ELb1ELb0EPKfS0_fEv17rocblas_diagonal_iiT6_lPT7_lllS5_lllPT8_llli,@function
_ZL30rocblas_trmm_outofplace_kernelIfLi32ELi2ELb1ELb1ELb1ELb0EPKfS0_fEv17rocblas_diagonal_iiT6_lPT7_lllS5_lllPT8_llli: ; @_ZL30rocblas_trmm_outofplace_kernelIfLi32ELi2ELb1ELb1ELb1ELb0EPKfS0_fEv17rocblas_diagonal_iiT6_lPT7_lllS5_lllPT8_llli
; %bb.0:
	s_load_b32 s11, s[0:1], 0x80
	s_bfe_u32 s2, ttmp6, 0x40014
	s_lshr_b32 s3, ttmp7, 16
	s_add_co_i32 s2, s2, 1
	s_bfe_u32 s5, ttmp6, 0x40008
	s_mul_i32 s4, s3, s2
	s_getreg_b32 s2, hwreg(HW_REG_IB_STS2, 6, 4)
	s_add_co_i32 s5, s5, s4
	s_cmp_eq_u32 s2, 0
	s_mov_b32 s35, 0
	s_cselect_b32 s34, s3, s5
	s_wait_kmcnt 0x0
	s_cmp_ge_u32 s34, s11
	s_cbranch_scc1 .LBB6_55
; %bb.1:
	s_clause 0x2
	s_load_b96 s[8:10], s[0:1], 0x0
	s_load_b256 s[36:43], s[0:1], 0x50
	s_load_b512 s[12:27], s[0:1], 0x10
	s_bfe_u32 s4, ttmp6, 0x4000c
	s_and_b32 s3, ttmp6, 15
	s_add_co_i32 s4, s4, 1
	s_bfe_u32 s5, ttmp6, 0x40010
	s_mul_i32 s4, ttmp9, s4
	s_and_b32 s6, ttmp7, 0xffff
	s_add_co_i32 s5, s5, 1
	s_add_co_i32 s3, s3, s4
	s_bfe_u32 s7, ttmp6, 0x40004
	s_mul_i32 s5, s6, s5
	v_and_b32_e32 v2, 0x3ff, v0
	s_add_co_i32 s7, s7, s5
	v_bfe_u32 v0, v0, 10, 10
	v_dual_mov_b32 v1, 0 :: v_dual_mov_b32 v48, 1.0
	s_delay_alu instid0(VALU_DEP_3) | instskip(SKIP_2) | instid1(VALU_DEP_2)
	v_lshlrev_b32_e32 v6, 2, v2
	s_wait_kmcnt 0x0
	s_add_co_i32 s28, s10, -1
	v_dual_mov_b32 v3, v1 :: v_dual_lshlrev_b32 v12, 7, v0
	s_ashr_i32 s29, s28, 31
	v_mov_b32_e32 v7, v1
	s_lshr_b32 s4, s29, 27
	v_dual_mov_b32 v17, v1 :: v_dual_lshlrev_b32 v16, 2, v0
	s_add_co_i32 s28, s28, s4
	s_lshl_b64 s[4:5], s[42:43], 2
	s_ashr_i32 s33, s28, 5
	s_cmp_eq_u32 s2, 0
	s_load_b128 s[28:31], s[0:1], 0x70
	s_cselect_b32 s48, s6, s7
	s_cselect_b32 s2, ttmp9, s3
	s_cmp_le_i32 s48, s33
	s_add_nc_u64 s[40:41], s[40:41], s[4:5]
	s_cselect_b32 s49, -1, 0
	s_lshl_b32 s50, s2, 5
	s_cmp_gt_i32 s2, -1
	v_add_nc_u32_e32 v4, s50, v2
	s_cselect_b32 s51, -1, 0
	s_cmp_eq_u32 s8, 0x84
	v_add_nc_u32_e32 v49, 0x1000, v12
	s_cselect_b32 s52, -1, 0
	v_ashrrev_i32_e32 v5, 31, v4
	s_lshl_b64 s[2:3], s[18:19], 2
	s_lshl_b64 s[4:5], s[26:27], 2
	v_dual_add_nc_u32 v50, v6, v12 :: v_dual_add_nc_u32 v51, v49, v6
	s_delay_alu instid0(VALU_DEP_2)
	v_lshl_add_u64 v[8:9], v[4:5], 2, 64
	v_mul_u64_e32 v[10:11], s[20:21], v[4:5]
	s_add_nc_u64 s[4:5], s[24:25], s[4:5]
	v_sub_nc_u64_e32 v[12:13], v[4:5], v[0:1]
	v_add_nc_u64_e32 v[20:21], s[4:5], v[6:7]
	v_mad_nc_u64_u32 v[14:15], s20, v8, s[2:3]
	s_mov_b32 s42, s9
	s_ashr_i32 s43, s9, 31
	s_add_nc_u64 s[18:19], s[0:1], 0x88
	v_lshl_add_u32 v52, s48, 5, v0
	s_wait_xcnt 0x0
	v_cmp_le_i32_e64 s0, s9, v4
	v_cmp_gt_i32_e64 s1, s9, v4
	v_add_nc_u32_e32 v7, 0x400, v6
	v_add_nc_u32_e32 v53, 0x800, v6
	;; [unrolled: 1-line block ×3, first 2 shown]
	s_mov_b32 s44, s10
	v_mad_u32 v8, s21, v8, v15
	s_ashr_i32 s45, s10, 31
	s_lshl_b64 s[24:25], s[36:37], 2
	s_lshl_b64 s[22:23], s[22:23], 2
	s_delay_alu instid0(VALU_DEP_1) | instskip(SKIP_4) | instid1(VALU_DEP_3)
	v_mad_u32 v15, s20, v9, v8
	v_add_nc_u32_e32 v8, 16, v4
	s_add_nc_u64 s[20:21], s[42:43], -16
	v_lshl_add_u64 v[18:19], v[10:11], 2, s[2:3]
	v_add_nc_u64_e32 v[10:11], 16, v[4:5]
	v_cmp_gt_i32_e64 s2, s9, v8
	v_ashrrev_i32_e32 v9, 31, v8
	s_delay_alu instid0(VALU_DEP_4)
	v_add_nc_u64_e32 v[22:23], v[18:19], v[16:17]
	v_add_nc_u64_e32 v[24:25], v[14:15], v[16:17]
	;; [unrolled: 1-line block ×3, first 2 shown]
	v_cmp_le_i64_e64 s3, s[42:43], v[10:11]
	v_add_nc_u64_e32 v[16:17], 16, v[12:13]
	v_add_nc_u64_e32 v[18:19], -16, v[12:13]
	v_add_nc_u64_e32 v[20:21], s[16:17], v[22:23]
	v_add_nc_u64_e32 v[22:23], s[16:17], v[24:25]
	s_lshl_b64 s[16:17], s[38:39], 2
	s_branch .LBB6_4
.LBB6_2:                                ;   in Loop: Header=BB6_4 Depth=1
	s_add_co_i32 s34, s34, 0x10000
	s_delay_alu instid0(SALU_CYCLE_1)
	s_cmp_ge_u32 s34, s11
	s_cselect_b32 s4, -1, 0
.LBB6_3:                                ;   in Loop: Header=BB6_4 Depth=1
	s_delay_alu instid0(SALU_CYCLE_1)
	s_and_b32 vcc_lo, exec_lo, s4
	s_cbranch_vccnz .LBB6_55
.LBB6_4:                                ; =>This Loop Header: Depth=1
                                        ;     Child Loop BB6_8 Depth 2
                                        ;       Child Loop BB6_11 Depth 3
	s_mul_u64 s[4:5], s[14:15], s[34:35]
	s_delay_alu instid0(SALU_CYCLE_1) | instskip(NEXT) | instid1(SALU_CYCLE_1)
	s_lshl_b64 s[4:5], s[4:5], 2
	s_add_nc_u64 s[4:5], s[12:13], s[4:5]
	global_load_b32 v55, v1, s[4:5]
	s_wait_xcnt 0x0
	s_mov_b32 s4, -1
	s_wait_loadcnt 0x0
	v_cmp_eq_f32_e32 vcc_lo, 0, v55
	s_cbranch_vccnz .LBB6_3
; %bb.5:                                ;   in Loop: Header=BB6_4 Depth=1
	s_and_not1_b32 vcc_lo, exec_lo, s49
	s_cbranch_vccnz .LBB6_2
; %bb.6:                                ;   in Loop: Header=BB6_4 Depth=1
	s_load_b32 s9, s[18:19], 0x4
	v_mad_nc_u64_u32 v[24:25], s16, s34, v[14:15]
	v_mad_nc_u64_u32 v[26:27], s22, s34, v[22:23]
	;; [unrolled: 1-line block ×3, first 2 shown]
	s_mul_i32 s6, s23, s34
	s_wait_kmcnt 0x0
	s_mul_u64 s[4:5], s[30:31], s[34:35]
	v_mov_b32_e32 v30, v52
	s_lshl_b64 s[4:5], s[4:5], 2
	s_mov_b32 s54, s48
	s_add_nc_u64 s[26:27], s[40:41], s[4:5]
	s_delay_alu instid0(VALU_DEP_4) | instskip(NEXT) | instid1(VALU_DEP_3)
	v_mad_u32 v25, s17, s34, v25
	v_dual_add_nc_u32 v27, s6, v27 :: v_dual_add_nc_u32 v29, s6, v29
	s_lshl_b32 s53, s9, 5
	s_branch .LBB6_8
.LBB6_7:                                ;   in Loop: Header=BB6_8 Depth=2
	s_wait_xcnt 0x0
	s_or_b32 exec_lo, exec_lo, s4
	v_add_nc_u32_e32 v30, s53, v30
	s_add_co_i32 s54, s9, s54
	s_delay_alu instid0(SALU_CYCLE_1)
	s_cmp_gt_i32 s54, s33
	s_cbranch_scc1 .LBB6_2
.LBB6_8:                                ;   Parent Loop BB6_4 Depth=1
                                        ; =>  This Loop Header: Depth=2
                                        ;       Child Loop BB6_11 Depth 3
	v_lshl_add_u32 v32, s54, 5, v0
	v_mov_b32_e32 v41, 0
	s_and_not1_b32 vcc_lo, exec_lo, s51
	s_delay_alu instid0(VALU_DEP_1)
	v_dual_mov_b32 v40, v41 :: v_dual_ashrrev_i32 v33, 31, v32
	v_dual_mov_b32 v39, v41 :: v_dual_mov_b32 v38, v41
	s_cbranch_vccnz .LBB6_47
; %bb.9:                                ;   in Loop: Header=BB6_8 Depth=2
	v_ashrrev_i32_e32 v31, 31, v30
	v_mad_nc_u64_u32 v[34:35], s24, v30, v[24:25]
	v_sub_nc_u64_e32 v[40:41], s[44:45], v[32:33]
	s_mov_b64 s[38:39], 0
	s_mov_b64 s[46:47], 0
	v_lshl_add_u64 v[38:39], v[30:31], 2, 64
	s_delay_alu instid0(VALU_DEP_2) | instskip(NEXT) | instid1(VALU_DEP_2)
	v_cmp_lt_i64_e64 s4, 16, v[40:41]
	v_mad_nc_u64_u32 v[36:37], s36, v38, v[24:25]
	v_cmp_lt_i64_e32 vcc_lo, 0, v[40:41]
	v_mad_u32 v35, s25, v30, v35
	s_delay_alu instid0(VALU_DEP_3) | instskip(SKIP_1) | instid1(VALU_DEP_3)
	v_mad_u32 v37, s37, v38, v37
	v_mov_b32_e32 v38, 0
	v_mad_u32 v35, s24, v31, v35
	s_delay_alu instid0(VALU_DEP_2) | instskip(NEXT) | instid1(VALU_DEP_4)
	v_dual_mov_b32 v41, v38 :: v_dual_mov_b32 v40, v38
	v_mad_u32 v37, s36, v39, v37
	v_mov_b32_e32 v39, v38
	s_branch .LBB6_11
.LBB6_10:                               ;   in Loop: Header=BB6_11 Depth=3
	s_wait_xcnt 0x0
	s_or_b32 exec_lo, exec_lo, s5
	s_wait_dscnt 0x0
	s_barrier_signal -1
	s_barrier_wait -1
	ds_load_b128 v[42:45], v49
	ds_load_2addr_b32 v[46:47], v6 offset1:16
	ds_load_b128 v[56:59], v49 offset:2048
	ds_load_2addr_b32 v[68:69], v6 offset0:32 offset1:48
	ds_load_2addr_b32 v[70:71], v6 offset0:64 offset1:80
	;; [unrolled: 1-line block ×3, first 2 shown]
	ds_load_b128 v[60:63], v49 offset:16
	ds_load_2addr_b32 v[74:75], v6 offset0:128 offset1:144
	ds_load_b128 v[64:67], v49 offset:2064
	s_add_nc_u64 s[46:47], s[46:47], 32
	s_add_nc_u64 s[38:39], s[38:39], 0x80
	s_sub_co_i32 s5, s46, 32
	s_delay_alu instid0(SALU_CYCLE_1)
	s_cmp_ge_i32 s5, s50
	s_wait_dscnt 0x7
	v_pk_fma_f32 v[40:41], v[46:47], v[42:43], v[40:41] op_sel_hi:[1,0,1]
	s_wait_dscnt 0x6
	v_pk_fma_f32 v[38:39], v[46:47], v[56:57], v[38:39] op_sel_hi:[1,0,1]
	ds_load_2addr_b32 v[46:47], v6 offset0:160 offset1:176
	s_wait_dscnt 0x6
	v_pk_fma_f32 v[40:41], v[68:69], v[42:43], v[40:41] op_sel:[0,1,0]
	v_pk_fma_f32 v[38:39], v[68:69], v[56:57], v[38:39] op_sel:[0,1,0]
	ds_load_2addr_b32 v[56:57], v6 offset0:192 offset1:208
	v_dual_mov_b32 v42, v45 :: v_dual_mov_b32 v68, v59
	s_wait_dscnt 0x6
	v_pk_fma_f32 v[40:41], v[70:71], v[44:45], v[40:41] op_sel_hi:[1,0,1]
	v_pk_fma_f32 v[38:39], v[70:71], v[58:59], v[38:39] op_sel_hi:[1,0,1]
	ds_load_2addr_b32 v[58:59], v6 offset0:224 offset1:240
	s_wait_dscnt 0x6
	v_pk_fma_f32 v[70:71], v[72:73], v[42:43], v[40:41] op_sel_hi:[1,0,1]
	v_pk_fma_f32 v[68:69], v[72:73], v[68:69], v[38:39] op_sel_hi:[1,0,1]
	ds_load_b128 v[38:41], v49 offset:32
	ds_load_2addr_b32 v[72:73], v7 offset1:16
	ds_load_b128 v[42:45], v49 offset:2080
	s_wait_dscnt 0x7
	v_pk_fma_f32 v[70:71], v[74:75], v[60:61], v[70:71] op_sel_hi:[1,0,1]
	s_wait_dscnt 0x6
	v_pk_fma_f32 v[68:69], v[74:75], v[64:65], v[68:69] op_sel_hi:[1,0,1]
	ds_load_2addr_b32 v[74:75], v7 offset0:32 offset1:48
	s_wait_dscnt 0x6
	v_pk_fma_f32 v[60:61], v[46:47], v[60:61], v[70:71] op_sel:[0,1,0]
	v_pk_fma_f32 v[46:47], v[46:47], v[64:65], v[68:69] op_sel:[0,1,0]
	ds_load_2addr_b32 v[64:65], v7 offset0:64 offset1:80
	v_dual_mov_b32 v68, v63 :: v_dual_mov_b32 v70, v67
	s_wait_dscnt 0x6
	v_pk_fma_f32 v[60:61], v[56:57], v[62:63], v[60:61] op_sel_hi:[1,0,1]
	v_pk_fma_f32 v[46:47], v[56:57], v[66:67], v[46:47] op_sel_hi:[1,0,1]
	ds_load_2addr_b32 v[66:67], v7 offset0:96 offset1:112
	s_wait_dscnt 0x6
	v_pk_fma_f32 v[68:69], v[58:59], v[68:69], v[60:61] op_sel_hi:[1,0,1]
	v_pk_fma_f32 v[46:47], v[58:59], v[70:71], v[46:47] op_sel_hi:[1,0,1]
	ds_load_b128 v[56:59], v49 offset:48
	ds_load_2addr_b32 v[70:71], v7 offset0:128 offset1:144
	ds_load_b128 v[60:63], v49 offset:2096
	s_wait_dscnt 0x7
	v_pk_fma_f32 v[68:69], v[72:73], v[38:39], v[68:69] op_sel_hi:[1,0,1]
	s_wait_dscnt 0x6
	v_pk_fma_f32 v[46:47], v[72:73], v[42:43], v[46:47] op_sel_hi:[1,0,1]
	ds_load_2addr_b32 v[72:73], v7 offset0:160 offset1:176
	s_wait_dscnt 0x6
	v_pk_fma_f32 v[38:39], v[74:75], v[38:39], v[68:69] op_sel:[0,1,0]
	v_pk_fma_f32 v[42:43], v[74:75], v[42:43], v[46:47] op_sel:[0,1,0]
	ds_load_2addr_b32 v[46:47], v7 offset0:192 offset1:208
	v_dual_mov_b32 v68, v41 :: v_dual_mov_b32 v74, v45
	s_wait_dscnt 0x6
	v_pk_fma_f32 v[38:39], v[64:65], v[40:41], v[38:39] op_sel_hi:[1,0,1]
	v_pk_fma_f32 v[40:41], v[64:65], v[44:45], v[42:43] op_sel_hi:[1,0,1]
	ds_load_2addr_b32 v[64:65], v7 offset0:224 offset1:240
	s_wait_dscnt 0x6
	v_pk_fma_f32 v[68:69], v[66:67], v[68:69], v[38:39] op_sel_hi:[1,0,1]
	v_pk_fma_f32 v[66:67], v[66:67], v[74:75], v[40:41] op_sel_hi:[1,0,1]
	ds_load_b128 v[38:41], v49 offset:64
	ds_load_2addr_b32 v[74:75], v53 offset1:16
	ds_load_b128 v[42:45], v49 offset:2112
	ds_load_2addr_b32 v[76:77], v53 offset0:96 offset1:112
	s_wait_dscnt 0x8
	v_pk_fma_f32 v[68:69], v[70:71], v[56:57], v[68:69] op_sel_hi:[1,0,1]
	s_wait_dscnt 0x7
	v_pk_fma_f32 v[66:67], v[70:71], v[60:61], v[66:67] op_sel_hi:[1,0,1]
	ds_load_2addr_b32 v[70:71], v53 offset0:32 offset1:48
	s_wait_dscnt 0x7
	v_pk_fma_f32 v[56:57], v[72:73], v[56:57], v[68:69] op_sel:[0,1,0]
	v_pk_fma_f32 v[60:61], v[72:73], v[60:61], v[66:67] op_sel:[0,1,0]
	ds_load_2addr_b32 v[66:67], v53 offset0:64 offset1:80
	v_dual_mov_b32 v68, v59 :: v_dual_mov_b32 v72, v63
	s_wait_dscnt 0x7
	v_pk_fma_f32 v[56:57], v[46:47], v[58:59], v[56:57] op_sel_hi:[1,0,1]
	v_pk_fma_f32 v[46:47], v[46:47], v[62:63], v[60:61] op_sel_hi:[1,0,1]
	s_wait_dscnt 0x6
	s_delay_alu instid0(VALU_DEP_2) | instskip(NEXT) | instid1(VALU_DEP_2)
	v_pk_fma_f32 v[68:69], v[64:65], v[68:69], v[56:57] op_sel_hi:[1,0,1]
	v_pk_fma_f32 v[46:47], v[64:65], v[72:73], v[46:47] op_sel_hi:[1,0,1]
	ds_load_b128 v[56:59], v49 offset:80
	ds_load_2addr_b32 v[64:65], v53 offset0:128 offset1:144
	ds_load_b128 v[60:63], v49 offset:2128
	ds_load_2addr_b32 v[72:73], v53 offset0:160 offset1:176
	s_wait_dscnt 0x8
	v_pk_fma_f32 v[68:69], v[74:75], v[38:39], v[68:69] op_sel_hi:[1,0,1]
	s_wait_dscnt 0x7
	v_pk_fma_f32 v[46:47], v[74:75], v[42:43], v[46:47] op_sel_hi:[1,0,1]
	s_wait_dscnt 0x5
	s_delay_alu instid0(VALU_DEP_2) | instskip(NEXT) | instid1(VALU_DEP_2)
	v_pk_fma_f32 v[38:39], v[70:71], v[38:39], v[68:69] op_sel:[0,1,0]
	v_pk_fma_f32 v[42:43], v[70:71], v[42:43], v[46:47] op_sel:[0,1,0]
	ds_load_2addr_b32 v[46:47], v53 offset0:192 offset1:208
	v_dual_mov_b32 v68, v41 :: v_dual_mov_b32 v70, v45
	s_wait_dscnt 0x5
	v_pk_fma_f32 v[38:39], v[66:67], v[40:41], v[38:39] op_sel_hi:[1,0,1]
	v_pk_fma_f32 v[40:41], v[66:67], v[44:45], v[42:43] op_sel_hi:[1,0,1]
	ds_load_2addr_b32 v[66:67], v53 offset0:224 offset1:240
	v_pk_fma_f32 v[68:69], v[76:77], v[68:69], v[38:39] op_sel_hi:[1,0,1]
	v_pk_fma_f32 v[70:71], v[76:77], v[70:71], v[40:41] op_sel_hi:[1,0,1]
	ds_load_b128 v[38:41], v49 offset:96
	ds_load_2addr_b32 v[74:75], v54 offset1:16
	ds_load_b128 v[42:45], v49 offset:2144
	ds_load_2addr_b32 v[76:77], v54 offset0:96 offset1:112
	s_wait_dscnt 0x8
	v_pk_fma_f32 v[68:69], v[64:65], v[56:57], v[68:69] op_sel_hi:[1,0,1]
	s_wait_dscnt 0x7
	v_pk_fma_f32 v[64:65], v[64:65], v[60:61], v[70:71] op_sel_hi:[1,0,1]
	ds_load_2addr_b32 v[70:71], v54 offset0:32 offset1:48
	s_wait_dscnt 0x7
	v_pk_fma_f32 v[56:57], v[72:73], v[56:57], v[68:69] op_sel:[0,1,0]
	v_pk_fma_f32 v[60:61], v[72:73], v[60:61], v[64:65] op_sel:[0,1,0]
	ds_load_2addr_b32 v[64:65], v54 offset0:64 offset1:80
	v_dual_mov_b32 v68, v59 :: v_dual_mov_b32 v72, v63
	s_wait_dscnt 0x7
	v_pk_fma_f32 v[56:57], v[46:47], v[58:59], v[56:57] op_sel_hi:[1,0,1]
	v_pk_fma_f32 v[46:47], v[46:47], v[62:63], v[60:61] op_sel_hi:[1,0,1]
	s_wait_dscnt 0x6
	s_delay_alu instid0(VALU_DEP_2) | instskip(NEXT) | instid1(VALU_DEP_2)
	v_pk_fma_f32 v[68:69], v[66:67], v[68:69], v[56:57] op_sel_hi:[1,0,1]
	v_pk_fma_f32 v[46:47], v[66:67], v[72:73], v[46:47] op_sel_hi:[1,0,1]
	ds_load_b128 v[56:59], v49 offset:112
	ds_load_2addr_b32 v[66:67], v54 offset0:128 offset1:144
	ds_load_b128 v[60:63], v49 offset:2160
	ds_load_2addr_b32 v[72:73], v54 offset0:160 offset1:176
	s_wait_dscnt 0x8
	v_pk_fma_f32 v[68:69], v[74:75], v[38:39], v[68:69] op_sel_hi:[1,0,1]
	s_wait_dscnt 0x7
	v_pk_fma_f32 v[46:47], v[74:75], v[42:43], v[46:47] op_sel_hi:[1,0,1]
	s_wait_dscnt 0x5
	s_delay_alu instid0(VALU_DEP_2) | instskip(NEXT) | instid1(VALU_DEP_2)
	v_pk_fma_f32 v[38:39], v[70:71], v[38:39], v[68:69] op_sel:[0,1,0]
	v_pk_fma_f32 v[42:43], v[70:71], v[42:43], v[46:47] op_sel:[0,1,0]
	ds_load_2addr_b32 v[46:47], v54 offset0:192 offset1:208
	v_dual_mov_b32 v68, v41 :: v_dual_mov_b32 v70, v45
	s_wait_dscnt 0x5
	v_pk_fma_f32 v[38:39], v[64:65], v[40:41], v[38:39] op_sel_hi:[1,0,1]
	v_pk_fma_f32 v[40:41], v[64:65], v[44:45], v[42:43] op_sel_hi:[1,0,1]
	ds_load_2addr_b32 v[42:43], v54 offset0:224 offset1:240
	s_wait_dscnt 0x0
	s_barrier_signal -1
	v_pk_fma_f32 v[38:39], v[76:77], v[68:69], v[38:39] op_sel_hi:[1,0,1]
	v_pk_fma_f32 v[40:41], v[76:77], v[70:71], v[40:41] op_sel_hi:[1,0,1]
	v_mov_b32_e32 v44, v59
	s_barrier_wait -1
	s_delay_alu instid0(VALU_DEP_3) | instskip(NEXT) | instid1(VALU_DEP_3)
	v_pk_fma_f32 v[38:39], v[66:67], v[56:57], v[38:39] op_sel_hi:[1,0,1]
	v_pk_fma_f32 v[40:41], v[66:67], v[60:61], v[40:41] op_sel_hi:[1,0,1]
	s_delay_alu instid0(VALU_DEP_2) | instskip(NEXT) | instid1(VALU_DEP_2)
	v_pk_fma_f32 v[38:39], v[72:73], v[56:57], v[38:39] op_sel:[0,1,0]
	v_pk_fma_f32 v[40:41], v[72:73], v[60:61], v[40:41] op_sel:[0,1,0]
	v_mov_b32_e32 v56, v63
	s_delay_alu instid0(VALU_DEP_3) | instskip(NEXT) | instid1(VALU_DEP_3)
	v_pk_fma_f32 v[38:39], v[46:47], v[58:59], v[38:39] op_sel_hi:[1,0,1]
	v_pk_fma_f32 v[46:47], v[46:47], v[62:63], v[40:41] op_sel_hi:[1,0,1]
	s_delay_alu instid0(VALU_DEP_2) | instskip(NEXT) | instid1(VALU_DEP_2)
	v_pk_fma_f32 v[40:41], v[42:43], v[44:45], v[38:39] op_sel_hi:[1,0,1]
	v_pk_fma_f32 v[38:39], v[42:43], v[56:57], v[46:47] op_sel_hi:[1,0,1]
	s_cbranch_scc1 .LBB6_47
.LBB6_11:                               ;   Parent Loop BB6_4 Depth=1
                                        ;     Parent Loop BB6_8 Depth=2
                                        ; =>    This Inner Loop Header: Depth=3
	v_add_nc_u64_e32 v[46:47], s[46:47], v[0:1]
	v_cmp_eq_u64_e64 s7, s[46:47], v[12:13]
	v_add_nc_u64_e32 v[42:43], s[38:39], v[28:29]
                                        ; implicit-def: $vgpr31
	s_delay_alu instid0(VALU_DEP_3) | instskip(SKIP_3) | instid1(SALU_CYCLE_1)
	v_cmp_le_i64_e64 s6, s[42:43], v[46:47]
	v_cmp_gt_i64_e64 s5, v[46:47], v[4:5]
	s_and_b32 s55, s52, s7
	s_or_b32 s7, s6, s5
	s_or_b32 s7, s7, s55
	s_delay_alu instid0(SALU_CYCLE_1) | instskip(NEXT) | instid1(SALU_CYCLE_1)
	s_nor_b32 s7, s0, s7
	s_and_saveexec_b32 s8, s7
	s_delay_alu instid0(SALU_CYCLE_1)
	s_xor_b32 s7, exec_lo, s8
	s_cbranch_execz .LBB6_13
; %bb.12:                               ;   in Loop: Header=BB6_11 Depth=3
	global_load_b32 v31, v[42:43], off
.LBB6_13:                               ;   in Loop: Header=BB6_11 Depth=3
	s_wait_xcnt 0x0
	s_and_not1_saveexec_b32 s7, s7
	s_cbranch_execz .LBB6_15
; %bb.14:                               ;   in Loop: Header=BB6_11 Depth=3
	s_wait_loadcnt 0x0
	v_cndmask_b32_e64 v31, 0, 1.0, s55
.LBB6_15:                               ;   in Loop: Header=BB6_11 Depth=3
	s_or_b32 exec_lo, exec_lo, s7
	v_cmp_eq_u64_e64 s7, s[46:47], v[16:17]
	v_cmp_lt_i64_e64 s8, v[10:11], v[46:47]
	v_add_nc_u64_e32 v[44:45], s[38:39], v[26:27]
	s_wait_loadcnt 0x0
	ds_store_b32 v50, v31
	s_and_b32 s7, s52, s7
	s_or_b32 s6, s6, s8
	s_delay_alu instid0(SALU_CYCLE_1) | instskip(NEXT) | instid1(SALU_CYCLE_1)
	s_or_b32 s6, s6, s7
	s_nor_b32 s6, s3, s6
	s_delay_alu instid0(SALU_CYCLE_1) | instskip(NEXT) | instid1(SALU_CYCLE_1)
	s_and_saveexec_b32 s8, s6
	s_xor_b32 s6, exec_lo, s8
	s_cbranch_execz .LBB6_17
; %bb.16:                               ;   in Loop: Header=BB6_11 Depth=3
	global_load_b32 v31, v[44:45], off
	s_wait_loadcnt 0x0
	ds_store_b32 v50, v31 offset:64
.LBB6_17:                               ;   in Loop: Header=BB6_11 Depth=3
	s_wait_xcnt 0x0
	s_and_not1_saveexec_b32 s6, s6
	s_cbranch_execz .LBB6_23
; %bb.18:                               ;   in Loop: Header=BB6_11 Depth=3
	s_xor_b32 s7, s7, -1
	s_delay_alu instid0(SALU_CYCLE_1) | instskip(NEXT) | instid1(SALU_CYCLE_1)
	s_and_saveexec_b32 s8, s7
	s_xor_b32 s7, exec_lo, s8
; %bb.19:                               ;   in Loop: Header=BB6_11 Depth=3
	ds_store_b32 v50, v1 offset:64
; %bb.20:                               ;   in Loop: Header=BB6_11 Depth=3
	s_and_not1_saveexec_b32 s7, s7
; %bb.21:                               ;   in Loop: Header=BB6_11 Depth=3
	ds_store_b32 v50, v48 offset:64
; %bb.22:                               ;   in Loop: Header=BB6_11 Depth=3
	s_or_b32 exec_lo, exec_lo, s7
.LBB6_23:                               ;   in Loop: Header=BB6_11 Depth=3
	s_delay_alu instid0(SALU_CYCLE_1) | instskip(SKIP_2) | instid1(VALU_DEP_2)
	s_or_b32 exec_lo, exec_lo, s6
	v_add_nc_u64_e32 v[46:47], 16, v[46:47]
	v_cmp_eq_u64_e64 s7, s[46:47], v[18:19]
                                        ; implicit-def: $vgpr31
	v_cmp_le_i64_e64 s6, s[42:43], v[46:47]
	v_cmp_gt_i64_e64 s8, v[46:47], v[4:5]
	s_and_b32 s7, s52, s7
	s_or_b32 s8, s6, s8
	s_delay_alu instid0(SALU_CYCLE_1) | instskip(NEXT) | instid1(SALU_CYCLE_1)
	s_or_b32 s8, s8, s7
	s_nor_b32 s8, s0, s8
	s_delay_alu instid0(SALU_CYCLE_1) | instskip(NEXT) | instid1(SALU_CYCLE_1)
	s_and_saveexec_b32 s56, s8
	s_xor_b32 s8, exec_lo, s56
	s_cbranch_execz .LBB6_25
; %bb.24:                               ;   in Loop: Header=BB6_11 Depth=3
	global_load_b32 v31, v[42:43], off offset:64
.LBB6_25:                               ;   in Loop: Header=BB6_11 Depth=3
	s_wait_xcnt 0x0
	s_and_not1_saveexec_b32 s8, s8
	s_cbranch_execz .LBB6_27
; %bb.26:                               ;   in Loop: Header=BB6_11 Depth=3
	s_wait_loadcnt 0x0
	v_cndmask_b32_e64 v31, 0, 1.0, s7
.LBB6_27:                               ;   in Loop: Header=BB6_11 Depth=3
	s_or_b32 exec_lo, exec_lo, s8
	s_or_b32 s5, s6, s5
	s_wait_loadcnt 0x0
	ds_store_b32 v50, v31 offset:2048
	s_or_b32 s5, s5, s55
	s_delay_alu instid0(SALU_CYCLE_1) | instskip(NEXT) | instid1(SALU_CYCLE_1)
	s_nor_b32 s5, s3, s5
	s_and_saveexec_b32 s6, s5
	s_delay_alu instid0(SALU_CYCLE_1)
	s_xor_b32 s5, exec_lo, s6
	s_cbranch_execz .LBB6_29
; %bb.28:                               ;   in Loop: Header=BB6_11 Depth=3
	global_load_b32 v31, v[44:45], off offset:64
	s_wait_loadcnt 0x0
	ds_store_b32 v50, v31 offset:2112
.LBB6_29:                               ;   in Loop: Header=BB6_11 Depth=3
	s_wait_xcnt 0x0
	s_and_not1_saveexec_b32 s5, s5
	s_cbranch_execz .LBB6_35
; %bb.30:                               ;   in Loop: Header=BB6_11 Depth=3
	s_xor_b32 s6, s55, -1
	s_delay_alu instid0(SALU_CYCLE_1) | instskip(NEXT) | instid1(SALU_CYCLE_1)
	s_and_saveexec_b32 s7, s6
	s_xor_b32 s6, exec_lo, s7
; %bb.31:                               ;   in Loop: Header=BB6_11 Depth=3
	ds_store_b32 v50, v1 offset:2112
; %bb.32:                               ;   in Loop: Header=BB6_11 Depth=3
	s_and_not1_saveexec_b32 s6, s6
; %bb.33:                               ;   in Loop: Header=BB6_11 Depth=3
	ds_store_b32 v50, v48 offset:2112
; %bb.34:                               ;   in Loop: Header=BB6_11 Depth=3
	s_or_b32 exec_lo, exec_lo, s6
.LBB6_35:                               ;   in Loop: Header=BB6_11 Depth=3
	s_delay_alu instid0(SALU_CYCLE_1) | instskip(SKIP_3) | instid1(VALU_DEP_3)
	s_or_b32 exec_lo, exec_lo, s5
	v_add_nc_u64_e32 v[44:45], s[46:47], v[2:3]
	v_add_nc_u64_e32 v[42:43], s[38:39], v[34:35]
	v_mov_b32_e32 v31, 0
	v_cmp_gt_i64_e64 s5, s[42:43], v[44:45]
	s_and_b32 s7, vcc_lo, s5
	s_delay_alu instid0(SALU_CYCLE_1)
	s_and_saveexec_b32 s6, s7
	s_cbranch_execz .LBB6_37
; %bb.36:                               ;   in Loop: Header=BB6_11 Depth=3
	global_load_b32 v31, v[42:43], off offset:-64
.LBB6_37:                               ;   in Loop: Header=BB6_11 Depth=3
	s_wait_xcnt 0x0
	s_or_b32 exec_lo, exec_lo, s6
	v_cmp_gt_i64_e64 s6, s[20:21], v[44:45]
	s_wait_loadcnt 0x0
	ds_store_b32 v51, v31
	s_and_b32 s7, vcc_lo, s6
	s_delay_alu instid0(SALU_CYCLE_1) | instskip(NEXT) | instid1(SALU_CYCLE_1)
	s_xor_b32 s7, s7, -1
	s_and_saveexec_b32 s8, s7
	s_delay_alu instid0(SALU_CYCLE_1)
	s_xor_b32 s7, exec_lo, s8
; %bb.38:                               ;   in Loop: Header=BB6_11 Depth=3
	ds_store_b32 v51, v1 offset:64
                                        ; implicit-def: $vgpr42_vgpr43
; %bb.39:                               ;   in Loop: Header=BB6_11 Depth=3
	s_and_not1_saveexec_b32 s7, s7
	s_cbranch_execz .LBB6_41
; %bb.40:                               ;   in Loop: Header=BB6_11 Depth=3
	global_load_b32 v31, v[42:43], off
	s_wait_loadcnt 0x0
	ds_store_b32 v51, v31 offset:64
.LBB6_41:                               ;   in Loop: Header=BB6_11 Depth=3
	s_wait_xcnt 0x0
	s_or_b32 exec_lo, exec_lo, s7
	v_add_nc_u64_e32 v[42:43], s[38:39], v[36:37]
	v_mov_b32_e32 v31, 0
	s_and_b32 s7, s4, s5
	s_delay_alu instid0(SALU_CYCLE_1)
	s_and_saveexec_b32 s5, s7
	s_cbranch_execz .LBB6_43
; %bb.42:                               ;   in Loop: Header=BB6_11 Depth=3
	global_load_b32 v31, v[42:43], off offset:-64
.LBB6_43:                               ;   in Loop: Header=BB6_11 Depth=3
	s_wait_xcnt 0x0
	s_or_b32 exec_lo, exec_lo, s5
	s_and_b32 s5, s4, s6
	s_wait_loadcnt 0x0
	ds_store_b32 v51, v31 offset:2048
	s_xor_b32 s5, s5, -1
	s_delay_alu instid0(SALU_CYCLE_1) | instskip(NEXT) | instid1(SALU_CYCLE_1)
	s_and_saveexec_b32 s6, s5
	s_xor_b32 s5, exec_lo, s6
; %bb.44:                               ;   in Loop: Header=BB6_11 Depth=3
	ds_store_b32 v51, v1 offset:2112
                                        ; implicit-def: $vgpr42_vgpr43
; %bb.45:                               ;   in Loop: Header=BB6_11 Depth=3
	s_and_not1_saveexec_b32 s5, s5
	s_cbranch_execz .LBB6_10
; %bb.46:                               ;   in Loop: Header=BB6_11 Depth=3
	global_load_b32 v31, v[42:43], off
	s_wait_loadcnt 0x0
	ds_store_b32 v51, v31 offset:2112
	s_branch .LBB6_10
.LBB6_47:                               ;   in Loop: Header=BB6_8 Depth=2
	s_delay_alu instid0(VALU_DEP_2) | instskip(SKIP_2) | instid1(VALU_DEP_2)
	v_mul_u64_e32 v[34:35], s[28:29], v[32:33]
	v_cmp_gt_i32_e32 vcc_lo, s10, v32
	s_and_b32 s5, s1, vcc_lo
	v_lshl_add_u64 v[34:35], v[34:35], 2, s[26:27]
	s_and_saveexec_b32 s4, s5
	s_cbranch_execz .LBB6_49
; %bb.48:                               ;   in Loop: Header=BB6_8 Depth=2
	s_delay_alu instid0(VALU_DEP_1)
	v_lshl_add_u64 v[36:37], v[4:5], 2, v[34:35]
	global_load_b32 v31, v[36:37], off
	s_wait_loadcnt 0x0
	v_fmac_f32_e32 v31, v55, v40
	global_store_b32 v[36:37], v31, off
.LBB6_49:                               ;   in Loop: Header=BB6_8 Depth=2
	s_wait_xcnt 0x0
	s_or_b32 exec_lo, exec_lo, s4
	s_and_b32 s5, s2, vcc_lo
	s_delay_alu instid0(SALU_CYCLE_1)
	s_and_saveexec_b32 s4, s5
	s_cbranch_execz .LBB6_51
; %bb.50:                               ;   in Loop: Header=BB6_8 Depth=2
	v_lshl_add_u64 v[34:35], v[8:9], 2, v[34:35]
	global_load_b32 v31, v[34:35], off
	s_wait_loadcnt 0x0
	v_fmac_f32_e32 v31, v55, v41
	global_store_b32 v[34:35], v31, off
.LBB6_51:                               ;   in Loop: Header=BB6_8 Depth=2
	s_wait_xcnt 0x0
	s_or_b32 exec_lo, exec_lo, s4
	v_add_nc_u32_e32 v32, 16, v32
	s_delay_alu instid0(VALU_DEP_1) | instskip(SKIP_1) | instid1(VALU_DEP_2)
	v_ashrrev_i32_e32 v33, 31, v32
	v_cmp_gt_i32_e32 vcc_lo, s10, v32
	v_mul_u64_e32 v[34:35], s[28:29], v[32:33]
	s_and_b32 s5, s1, vcc_lo
	s_delay_alu instid0(VALU_DEP_1)
	v_lshl_add_u64 v[32:33], v[34:35], 2, s[26:27]
	s_and_saveexec_b32 s4, s5
	s_cbranch_execz .LBB6_53
; %bb.52:                               ;   in Loop: Header=BB6_8 Depth=2
	s_delay_alu instid0(VALU_DEP_1)
	v_lshl_add_u64 v[34:35], v[4:5], 2, v[32:33]
	global_load_b32 v31, v[34:35], off
	s_wait_loadcnt 0x0
	v_fmac_f32_e32 v31, v55, v38
	global_store_b32 v[34:35], v31, off
.LBB6_53:                               ;   in Loop: Header=BB6_8 Depth=2
	s_wait_xcnt 0x0
	s_or_b32 exec_lo, exec_lo, s4
	s_and_b32 s5, s2, vcc_lo
	s_delay_alu instid0(SALU_CYCLE_1)
	s_and_saveexec_b32 s4, s5
	s_cbranch_execz .LBB6_7
; %bb.54:                               ;   in Loop: Header=BB6_8 Depth=2
	v_lshl_add_u64 v[32:33], v[8:9], 2, v[32:33]
	global_load_b32 v31, v[32:33], off
	s_wait_loadcnt 0x0
	v_fmac_f32_e32 v31, v55, v39
	global_store_b32 v[32:33], v31, off
	s_branch .LBB6_7
.LBB6_55:
	s_sendmsg sendmsg(MSG_DEALLOC_VGPRS)
	s_endpgm
	.section	.rodata,"a",@progbits
	.p2align	6, 0x0
	.amdhsa_kernel _ZL30rocblas_trmm_outofplace_kernelIfLi32ELi2ELb1ELb1ELb1ELb0EPKfS0_fEv17rocblas_diagonal_iiT6_lPT7_lllS5_lllPT8_llli
		.amdhsa_group_segment_fixed_size 8192
		.amdhsa_private_segment_fixed_size 0
		.amdhsa_kernarg_size 392
		.amdhsa_user_sgpr_count 2
		.amdhsa_user_sgpr_dispatch_ptr 0
		.amdhsa_user_sgpr_queue_ptr 0
		.amdhsa_user_sgpr_kernarg_segment_ptr 1
		.amdhsa_user_sgpr_dispatch_id 0
		.amdhsa_user_sgpr_kernarg_preload_length 0
		.amdhsa_user_sgpr_kernarg_preload_offset 0
		.amdhsa_user_sgpr_private_segment_size 0
		.amdhsa_wavefront_size32 1
		.amdhsa_uses_dynamic_stack 0
		.amdhsa_enable_private_segment 0
		.amdhsa_system_sgpr_workgroup_id_x 1
		.amdhsa_system_sgpr_workgroup_id_y 1
		.amdhsa_system_sgpr_workgroup_id_z 1
		.amdhsa_system_sgpr_workgroup_info 0
		.amdhsa_system_vgpr_workitem_id 1
		.amdhsa_next_free_vgpr 78
		.amdhsa_next_free_sgpr 57
		.amdhsa_named_barrier_count 0
		.amdhsa_reserve_vcc 1
		.amdhsa_float_round_mode_32 0
		.amdhsa_float_round_mode_16_64 0
		.amdhsa_float_denorm_mode_32 3
		.amdhsa_float_denorm_mode_16_64 3
		.amdhsa_fp16_overflow 0
		.amdhsa_memory_ordered 1
		.amdhsa_forward_progress 1
		.amdhsa_inst_pref_size 25
		.amdhsa_round_robin_scheduling 0
		.amdhsa_exception_fp_ieee_invalid_op 0
		.amdhsa_exception_fp_denorm_src 0
		.amdhsa_exception_fp_ieee_div_zero 0
		.amdhsa_exception_fp_ieee_overflow 0
		.amdhsa_exception_fp_ieee_underflow 0
		.amdhsa_exception_fp_ieee_inexact 0
		.amdhsa_exception_int_div_zero 0
	.end_amdhsa_kernel
	.section	.text._ZL30rocblas_trmm_outofplace_kernelIfLi32ELi2ELb1ELb1ELb1ELb0EPKfS0_fEv17rocblas_diagonal_iiT6_lPT7_lllS5_lllPT8_llli,"axG",@progbits,_ZL30rocblas_trmm_outofplace_kernelIfLi32ELi2ELb1ELb1ELb1ELb0EPKfS0_fEv17rocblas_diagonal_iiT6_lPT7_lllS5_lllPT8_llli,comdat
.Lfunc_end6:
	.size	_ZL30rocblas_trmm_outofplace_kernelIfLi32ELi2ELb1ELb1ELb1ELb0EPKfS0_fEv17rocblas_diagonal_iiT6_lPT7_lllS5_lllPT8_llli, .Lfunc_end6-_ZL30rocblas_trmm_outofplace_kernelIfLi32ELi2ELb1ELb1ELb1ELb0EPKfS0_fEv17rocblas_diagonal_iiT6_lPT7_lllS5_lllPT8_llli
                                        ; -- End function
	.set _ZL30rocblas_trmm_outofplace_kernelIfLi32ELi2ELb1ELb1ELb1ELb0EPKfS0_fEv17rocblas_diagonal_iiT6_lPT7_lllS5_lllPT8_llli.num_vgpr, 78
	.set _ZL30rocblas_trmm_outofplace_kernelIfLi32ELi2ELb1ELb1ELb1ELb0EPKfS0_fEv17rocblas_diagonal_iiT6_lPT7_lllS5_lllPT8_llli.num_agpr, 0
	.set _ZL30rocblas_trmm_outofplace_kernelIfLi32ELi2ELb1ELb1ELb1ELb0EPKfS0_fEv17rocblas_diagonal_iiT6_lPT7_lllS5_lllPT8_llli.numbered_sgpr, 57
	.set _ZL30rocblas_trmm_outofplace_kernelIfLi32ELi2ELb1ELb1ELb1ELb0EPKfS0_fEv17rocblas_diagonal_iiT6_lPT7_lllS5_lllPT8_llli.num_named_barrier, 0
	.set _ZL30rocblas_trmm_outofplace_kernelIfLi32ELi2ELb1ELb1ELb1ELb0EPKfS0_fEv17rocblas_diagonal_iiT6_lPT7_lllS5_lllPT8_llli.private_seg_size, 0
	.set _ZL30rocblas_trmm_outofplace_kernelIfLi32ELi2ELb1ELb1ELb1ELb0EPKfS0_fEv17rocblas_diagonal_iiT6_lPT7_lllS5_lllPT8_llli.uses_vcc, 1
	.set _ZL30rocblas_trmm_outofplace_kernelIfLi32ELi2ELb1ELb1ELb1ELb0EPKfS0_fEv17rocblas_diagonal_iiT6_lPT7_lllS5_lllPT8_llli.uses_flat_scratch, 0
	.set _ZL30rocblas_trmm_outofplace_kernelIfLi32ELi2ELb1ELb1ELb1ELb0EPKfS0_fEv17rocblas_diagonal_iiT6_lPT7_lllS5_lllPT8_llli.has_dyn_sized_stack, 0
	.set _ZL30rocblas_trmm_outofplace_kernelIfLi32ELi2ELb1ELb1ELb1ELb0EPKfS0_fEv17rocblas_diagonal_iiT6_lPT7_lllS5_lllPT8_llli.has_recursion, 0
	.set _ZL30rocblas_trmm_outofplace_kernelIfLi32ELi2ELb1ELb1ELb1ELb0EPKfS0_fEv17rocblas_diagonal_iiT6_lPT7_lllS5_lllPT8_llli.has_indirect_call, 0
	.section	.AMDGPU.csdata,"",@progbits
; Kernel info:
; codeLenInByte = 3200
; TotalNumSgprs: 59
; NumVgprs: 78
; ScratchSize: 0
; MemoryBound: 0
; FloatMode: 240
; IeeeMode: 1
; LDSByteSize: 8192 bytes/workgroup (compile time only)
; SGPRBlocks: 0
; VGPRBlocks: 4
; NumSGPRsForWavesPerEU: 59
; NumVGPRsForWavesPerEU: 78
; NamedBarCnt: 0
; Occupancy: 12
; WaveLimiterHint : 0
; COMPUTE_PGM_RSRC2:SCRATCH_EN: 0
; COMPUTE_PGM_RSRC2:USER_SGPR: 2
; COMPUTE_PGM_RSRC2:TRAP_HANDLER: 0
; COMPUTE_PGM_RSRC2:TGID_X_EN: 1
; COMPUTE_PGM_RSRC2:TGID_Y_EN: 1
; COMPUTE_PGM_RSRC2:TGID_Z_EN: 1
; COMPUTE_PGM_RSRC2:TIDIG_COMP_CNT: 1
	.section	.text._ZL30rocblas_trmm_outofplace_kernelIfLi32ELi2ELb1ELb1ELb1ELb0EfKffEv17rocblas_diagonal_iiT6_lPT7_lllS4_lllPT8_llli,"axG",@progbits,_ZL30rocblas_trmm_outofplace_kernelIfLi32ELi2ELb1ELb1ELb1ELb0EfKffEv17rocblas_diagonal_iiT6_lPT7_lllS4_lllPT8_llli,comdat
	.globl	_ZL30rocblas_trmm_outofplace_kernelIfLi32ELi2ELb1ELb1ELb1ELb0EfKffEv17rocblas_diagonal_iiT6_lPT7_lllS4_lllPT8_llli ; -- Begin function _ZL30rocblas_trmm_outofplace_kernelIfLi32ELi2ELb1ELb1ELb1ELb0EfKffEv17rocblas_diagonal_iiT6_lPT7_lllS4_lllPT8_llli
	.p2align	8
	.type	_ZL30rocblas_trmm_outofplace_kernelIfLi32ELi2ELb1ELb1ELb1ELb0EfKffEv17rocblas_diagonal_iiT6_lPT7_lllS4_lllPT8_llli,@function
_ZL30rocblas_trmm_outofplace_kernelIfLi32ELi2ELb1ELb1ELb1ELb0EfKffEv17rocblas_diagonal_iiT6_lPT7_lllS4_lllPT8_llli: ; @_ZL30rocblas_trmm_outofplace_kernelIfLi32ELi2ELb1ELb1ELb1ELb0EfKffEv17rocblas_diagonal_iiT6_lPT7_lllS4_lllPT8_llli
; %bb.0:
	s_load_b32 s33, s[0:1], 0x78
	s_bfe_u32 s2, ttmp6, 0x40014
	s_lshr_b32 s3, ttmp7, 16
	s_add_co_i32 s2, s2, 1
	s_bfe_u32 s5, ttmp6, 0x40008
	s_mul_i32 s4, s3, s2
	s_getreg_b32 s2, hwreg(HW_REG_IB_STS2, 6, 4)
	s_add_co_i32 s5, s5, s4
	s_cmp_eq_u32 s2, 0
	s_cselect_b32 s34, s3, s5
	s_wait_kmcnt 0x0
	s_cmp_ge_u32 s34, s33
	s_cbranch_scc1 .LBB7_54
; %bb.1:
	s_load_b128 s[28:31], s[0:1], 0x0
	s_wait_kmcnt 0x0
	s_cmp_eq_f32 s31, 0
	s_cbranch_scc1 .LBB7_54
; %bb.2:
	s_add_co_i32 s3, s30, -1
	s_bfe_u32 s6, ttmp6, 0x4000c
	s_ashr_i32 s5, s3, 31
	s_bfe_u32 s7, ttmp6, 0x40010
	s_lshr_b32 s5, s5, 27
	s_add_co_i32 s6, s6, 1
	s_add_co_i32 s3, s3, s5
	;; [unrolled: 1-line block ×3, first 2 shown]
	s_ashr_i32 s44, s3, 5
	s_and_b32 s3, ttmp7, 0xffff
	s_and_b32 s4, ttmp6, 15
	s_mul_i32 s5, ttmp9, s6
	s_mul_i32 s6, s3, s7
	s_bfe_u32 s7, ttmp6, 0x40004
	s_add_co_i32 s4, s4, s5
	s_add_co_i32 s7, s7, s6
	s_cmp_eq_u32 s2, 0
	v_and_b32_e32 v2, 0x3ff, v0
	s_cselect_b32 s45, s3, s7
	s_cselect_b32 s2, ttmp9, s4
	s_load_b512 s[4:19], s[0:1], 0x18
	s_cmp_le_i32 s45, s44
	v_mov_b32_e32 v1, 0
	s_cselect_b32 s46, -1, 0
	s_lshl_b32 s47, s2, 5
	s_cmp_gt_i32 s2, -1
	v_dual_add_nc_u32 v4, s47, v2 :: v_dual_lshlrev_b32 v6, 2, v2
	s_cselect_b32 s48, -1, 0
	s_cmp_eq_u32 s28, 0x84
	v_bfe_u32 v0, v0, 10, 10
	s_delay_alu instid0(VALU_DEP_2) | instskip(SKIP_2) | instid1(VALU_DEP_2)
	v_ashrrev_i32_e32 v5, 31, v4
	s_cselect_b32 s49, -1, 0
	s_load_b256 s[20:27], s[0:1], 0x58
	v_dual_mov_b32 v3, v1 :: v_dual_lshlrev_b32 v7, 7, v0
	s_delay_alu instid0(VALU_DEP_2)
	v_lshl_add_u64 v[10:11], v[4:5], 2, 64
	v_dual_mov_b32 v19, v1 :: v_dual_lshlrev_b32 v18, 2, v0
	v_add_nc_u64_e32 v[8:9], 16, v[4:5]
	s_wait_kmcnt 0x0
	v_mul_u64_e32 v[14:15], s[8:9], v[4:5]
	s_lshl_b64 s[2:3], s[6:7], 2
	v_add_nc_u32_e32 v49, 0x1000, v7
	v_mad_nc_u64_u32 v[16:17], s8, v10, s[2:3]
	v_add_nc_u32_e32 v48, v6, v7
	v_sub_nc_u64_e32 v[12:13], v[4:5], v[0:1]
	s_ashr_i32 s37, s29, 31
	s_mov_b32 s36, s29
	v_add_nc_u32_e32 v50, v49, v6
	v_add_nc_u32_e32 v52, 0x400, v6
	v_add_nc_u32_e32 v53, 0x800, v6
	v_add_nc_u32_e32 v54, 0xc00, v6
	s_mov_b32 s35, 0
	s_lshl_b64 s[6:7], s[22:23], 2
	v_mad_u32 v7, s9, v10, v17
	v_add_nc_u32_e32 v10, 16, v4
	s_add_nc_u64 s[20:21], s[20:21], s[6:7]
	s_lshl_b64 s[6:7], s[14:15], 2
	s_add_nc_u64 s[22:23], s[0:1], 0x80
	s_add_nc_u64 s[6:7], s[12:13], s[6:7]
	v_cmp_le_i64_e64 s1, s[36:37], v[8:9]
	v_cmp_le_i32_e64 s0, s29, v4
	v_mov_b32_e32 v51, 1.0
	s_ashr_i32 s39, s30, 31
	s_mov_b32 s38, s30
	v_mad_u32 v17, s8, v11, v7
	v_dual_mov_b32 v7, v1 :: v_dual_ashrrev_i32 v11, 31, v10
	s_add_nc_u64 s[40:41], s[36:37], -16
	s_lshl_b64 s[12:13], s[18:19], 2
	s_lshl_b64 s[14:15], s[16:17], 2
	s_delay_alu instid0(VALU_DEP_1)
	v_add_nc_u64_e32 v[20:21], s[6:7], v[6:7]
	v_lshl_add_u64 v[14:15], v[14:15], 2, s[2:3]
	v_cmp_gt_i32_e64 s2, s29, v4
	v_cmp_gt_i32_e64 s3, s29, v10
	v_lshl_add_u32 v7, s45, 5, v0
	v_add_nc_u64_e32 v[22:23], v[16:17], v[18:19]
	v_add_nc_u64_e32 v[24:25], v[14:15], v[18:19]
	;; [unrolled: 1-line block ×3, first 2 shown]
	v_add_nc_u64_e32 v[16:17], -16, v[12:13]
	v_add_nc_u64_e32 v[18:19], 64, v[20:21]
	s_lshl_b64 s[10:11], s[10:11], 2
	v_add_nc_u64_e32 v[20:21], s[4:5], v[22:23]
	v_add_nc_u64_e32 v[22:23], s[4:5], v[24:25]
	s_branch .LBB7_4
.LBB7_3:                                ;   in Loop: Header=BB7_4 Depth=1
	s_add_co_i32 s34, s34, 0x10000
	s_delay_alu instid0(SALU_CYCLE_1)
	s_cmp_ge_u32 s34, s33
	s_cbranch_scc1 .LBB7_54
.LBB7_4:                                ; =>This Loop Header: Depth=1
                                        ;     Child Loop BB7_7 Depth 2
                                        ;       Child Loop BB7_10 Depth 3
	s_and_not1_b32 vcc_lo, exec_lo, s46
	s_cbranch_vccnz .LBB7_3
; %bb.5:                                ;   in Loop: Header=BB7_4 Depth=1
	s_load_b32 s9, s[22:23], 0x4
	v_mad_nc_u64_u32 v[24:25], s12, s34, v[18:19]
	v_mad_nc_u64_u32 v[26:27], s10, s34, v[20:21]
	;; [unrolled: 1-line block ×3, first 2 shown]
	s_mul_i32 s6, s11, s34
	s_mul_u64 s[4:5], s[26:27], s[34:35]
	v_mov_b32_e32 v30, v7
	s_lshl_b64 s[4:5], s[4:5], 2
	s_mov_b32 s51, s45
	s_add_nc_u64 s[18:19], s[20:21], s[4:5]
	s_delay_alu instid0(VALU_DEP_4) | instskip(NEXT) | instid1(VALU_DEP_3)
	v_mad_u32 v25, s13, s34, v25
	v_dual_add_nc_u32 v27, s6, v27 :: v_dual_add_nc_u32 v29, s6, v29
	s_wait_kmcnt 0x0
	s_lshl_b32 s50, s9, 5
	s_branch .LBB7_7
.LBB7_6:                                ;   in Loop: Header=BB7_7 Depth=2
	s_wait_xcnt 0x0
	s_or_b32 exec_lo, exec_lo, s4
	v_add_nc_u32_e32 v30, s50, v30
	s_add_co_i32 s51, s9, s51
	s_delay_alu instid0(SALU_CYCLE_1)
	s_cmp_gt_i32 s51, s44
	s_cbranch_scc1 .LBB7_3
.LBB7_7:                                ;   Parent Loop BB7_4 Depth=1
                                        ; =>  This Loop Header: Depth=2
                                        ;       Child Loop BB7_10 Depth 3
	v_lshl_add_u32 v32, s51, 5, v0
	v_mov_b32_e32 v41, 0
	s_and_not1_b32 vcc_lo, exec_lo, s48
	s_delay_alu instid0(VALU_DEP_1)
	v_dual_mov_b32 v40, v41 :: v_dual_ashrrev_i32 v33, 31, v32
	v_dual_mov_b32 v39, v41 :: v_dual_mov_b32 v38, v41
	s_cbranch_vccnz .LBB7_46
; %bb.8:                                ;   in Loop: Header=BB7_7 Depth=2
	v_ashrrev_i32_e32 v31, 31, v30
	v_mad_nc_u64_u32 v[34:35], s14, v30, v[24:25]
	v_sub_nc_u64_e32 v[40:41], s[38:39], v[32:33]
	s_mov_b64 s[28:29], 0
	s_mov_b64 s[42:43], 0
	v_lshl_add_u64 v[38:39], v[30:31], 2, 64
	s_delay_alu instid0(VALU_DEP_2) | instskip(NEXT) | instid1(VALU_DEP_2)
	v_cmp_lt_i64_e64 s4, 16, v[40:41]
	v_mad_nc_u64_u32 v[36:37], s16, v38, v[24:25]
	v_cmp_lt_i64_e32 vcc_lo, 0, v[40:41]
	v_mad_u32 v35, s15, v30, v35
	s_delay_alu instid0(VALU_DEP_3) | instskip(SKIP_1) | instid1(VALU_DEP_3)
	v_mad_u32 v37, s17, v38, v37
	v_mov_b32_e32 v38, 0
	v_mad_u32 v35, s14, v31, v35
	s_delay_alu instid0(VALU_DEP_2) | instskip(NEXT) | instid1(VALU_DEP_4)
	v_dual_mov_b32 v41, v38 :: v_dual_mov_b32 v40, v38
	v_mad_u32 v37, s16, v39, v37
	v_mov_b32_e32 v39, v38
	s_branch .LBB7_10
.LBB7_9:                                ;   in Loop: Header=BB7_10 Depth=3
	s_wait_xcnt 0x0
	s_or_b32 exec_lo, exec_lo, s5
	s_wait_dscnt 0x0
	s_barrier_signal -1
	s_barrier_wait -1
	ds_load_b128 v[42:45], v49
	ds_load_2addr_b32 v[46:47], v6 offset1:16
	ds_load_b128 v[56:59], v49 offset:2048
	ds_load_2addr_b32 v[68:69], v6 offset0:32 offset1:48
	ds_load_2addr_b32 v[70:71], v6 offset0:64 offset1:80
	;; [unrolled: 1-line block ×3, first 2 shown]
	ds_load_b128 v[60:63], v49 offset:16
	ds_load_2addr_b32 v[74:75], v6 offset0:128 offset1:144
	ds_load_b128 v[64:67], v49 offset:2064
	s_add_nc_u64 s[42:43], s[42:43], 32
	s_add_nc_u64 s[28:29], s[28:29], 0x80
	s_sub_co_i32 s5, s42, 32
	s_delay_alu instid0(SALU_CYCLE_1)
	s_cmp_ge_i32 s5, s47
	s_wait_dscnt 0x7
	v_pk_fma_f32 v[40:41], v[46:47], v[42:43], v[40:41] op_sel_hi:[1,0,1]
	s_wait_dscnt 0x6
	v_pk_fma_f32 v[38:39], v[46:47], v[56:57], v[38:39] op_sel_hi:[1,0,1]
	ds_load_2addr_b32 v[46:47], v6 offset0:160 offset1:176
	s_wait_dscnt 0x6
	v_pk_fma_f32 v[40:41], v[68:69], v[42:43], v[40:41] op_sel:[0,1,0]
	v_pk_fma_f32 v[38:39], v[68:69], v[56:57], v[38:39] op_sel:[0,1,0]
	ds_load_2addr_b32 v[56:57], v6 offset0:192 offset1:208
	v_dual_mov_b32 v42, v45 :: v_dual_mov_b32 v68, v59
	s_wait_dscnt 0x6
	v_pk_fma_f32 v[40:41], v[70:71], v[44:45], v[40:41] op_sel_hi:[1,0,1]
	v_pk_fma_f32 v[38:39], v[70:71], v[58:59], v[38:39] op_sel_hi:[1,0,1]
	ds_load_2addr_b32 v[58:59], v6 offset0:224 offset1:240
	s_wait_dscnt 0x6
	v_pk_fma_f32 v[70:71], v[72:73], v[42:43], v[40:41] op_sel_hi:[1,0,1]
	v_pk_fma_f32 v[68:69], v[72:73], v[68:69], v[38:39] op_sel_hi:[1,0,1]
	ds_load_b128 v[38:41], v49 offset:32
	ds_load_2addr_b32 v[72:73], v52 offset1:16
	ds_load_b128 v[42:45], v49 offset:2080
	s_wait_dscnt 0x7
	v_pk_fma_f32 v[70:71], v[74:75], v[60:61], v[70:71] op_sel_hi:[1,0,1]
	s_wait_dscnt 0x6
	v_pk_fma_f32 v[68:69], v[74:75], v[64:65], v[68:69] op_sel_hi:[1,0,1]
	ds_load_2addr_b32 v[74:75], v52 offset0:32 offset1:48
	s_wait_dscnt 0x6
	v_pk_fma_f32 v[60:61], v[46:47], v[60:61], v[70:71] op_sel:[0,1,0]
	v_pk_fma_f32 v[46:47], v[46:47], v[64:65], v[68:69] op_sel:[0,1,0]
	ds_load_2addr_b32 v[64:65], v52 offset0:64 offset1:80
	v_dual_mov_b32 v68, v63 :: v_dual_mov_b32 v70, v67
	s_wait_dscnt 0x6
	v_pk_fma_f32 v[60:61], v[56:57], v[62:63], v[60:61] op_sel_hi:[1,0,1]
	v_pk_fma_f32 v[46:47], v[56:57], v[66:67], v[46:47] op_sel_hi:[1,0,1]
	ds_load_2addr_b32 v[66:67], v52 offset0:96 offset1:112
	s_wait_dscnt 0x6
	v_pk_fma_f32 v[68:69], v[58:59], v[68:69], v[60:61] op_sel_hi:[1,0,1]
	v_pk_fma_f32 v[46:47], v[58:59], v[70:71], v[46:47] op_sel_hi:[1,0,1]
	ds_load_b128 v[56:59], v49 offset:48
	ds_load_2addr_b32 v[70:71], v52 offset0:128 offset1:144
	ds_load_b128 v[60:63], v49 offset:2096
	s_wait_dscnt 0x7
	v_pk_fma_f32 v[68:69], v[72:73], v[38:39], v[68:69] op_sel_hi:[1,0,1]
	s_wait_dscnt 0x6
	v_pk_fma_f32 v[46:47], v[72:73], v[42:43], v[46:47] op_sel_hi:[1,0,1]
	ds_load_2addr_b32 v[72:73], v52 offset0:160 offset1:176
	s_wait_dscnt 0x6
	v_pk_fma_f32 v[38:39], v[74:75], v[38:39], v[68:69] op_sel:[0,1,0]
	v_pk_fma_f32 v[42:43], v[74:75], v[42:43], v[46:47] op_sel:[0,1,0]
	ds_load_2addr_b32 v[46:47], v52 offset0:192 offset1:208
	v_dual_mov_b32 v68, v41 :: v_dual_mov_b32 v74, v45
	s_wait_dscnt 0x6
	v_pk_fma_f32 v[38:39], v[64:65], v[40:41], v[38:39] op_sel_hi:[1,0,1]
	v_pk_fma_f32 v[40:41], v[64:65], v[44:45], v[42:43] op_sel_hi:[1,0,1]
	ds_load_2addr_b32 v[64:65], v52 offset0:224 offset1:240
	s_wait_dscnt 0x6
	v_pk_fma_f32 v[68:69], v[66:67], v[68:69], v[38:39] op_sel_hi:[1,0,1]
	v_pk_fma_f32 v[66:67], v[66:67], v[74:75], v[40:41] op_sel_hi:[1,0,1]
	ds_load_b128 v[38:41], v49 offset:64
	ds_load_2addr_b32 v[74:75], v53 offset1:16
	ds_load_b128 v[42:45], v49 offset:2112
	ds_load_2addr_b32 v[76:77], v53 offset0:96 offset1:112
	s_wait_dscnt 0x8
	v_pk_fma_f32 v[68:69], v[70:71], v[56:57], v[68:69] op_sel_hi:[1,0,1]
	s_wait_dscnt 0x7
	v_pk_fma_f32 v[66:67], v[70:71], v[60:61], v[66:67] op_sel_hi:[1,0,1]
	ds_load_2addr_b32 v[70:71], v53 offset0:32 offset1:48
	s_wait_dscnt 0x7
	v_pk_fma_f32 v[56:57], v[72:73], v[56:57], v[68:69] op_sel:[0,1,0]
	v_pk_fma_f32 v[60:61], v[72:73], v[60:61], v[66:67] op_sel:[0,1,0]
	ds_load_2addr_b32 v[66:67], v53 offset0:64 offset1:80
	v_dual_mov_b32 v68, v59 :: v_dual_mov_b32 v72, v63
	s_wait_dscnt 0x7
	v_pk_fma_f32 v[56:57], v[46:47], v[58:59], v[56:57] op_sel_hi:[1,0,1]
	v_pk_fma_f32 v[46:47], v[46:47], v[62:63], v[60:61] op_sel_hi:[1,0,1]
	s_wait_dscnt 0x6
	s_delay_alu instid0(VALU_DEP_2) | instskip(NEXT) | instid1(VALU_DEP_2)
	v_pk_fma_f32 v[68:69], v[64:65], v[68:69], v[56:57] op_sel_hi:[1,0,1]
	v_pk_fma_f32 v[46:47], v[64:65], v[72:73], v[46:47] op_sel_hi:[1,0,1]
	ds_load_b128 v[56:59], v49 offset:80
	ds_load_2addr_b32 v[64:65], v53 offset0:128 offset1:144
	ds_load_b128 v[60:63], v49 offset:2128
	ds_load_2addr_b32 v[72:73], v53 offset0:160 offset1:176
	s_wait_dscnt 0x8
	v_pk_fma_f32 v[68:69], v[74:75], v[38:39], v[68:69] op_sel_hi:[1,0,1]
	s_wait_dscnt 0x7
	v_pk_fma_f32 v[46:47], v[74:75], v[42:43], v[46:47] op_sel_hi:[1,0,1]
	s_wait_dscnt 0x5
	s_delay_alu instid0(VALU_DEP_2) | instskip(NEXT) | instid1(VALU_DEP_2)
	v_pk_fma_f32 v[38:39], v[70:71], v[38:39], v[68:69] op_sel:[0,1,0]
	v_pk_fma_f32 v[42:43], v[70:71], v[42:43], v[46:47] op_sel:[0,1,0]
	ds_load_2addr_b32 v[46:47], v53 offset0:192 offset1:208
	v_dual_mov_b32 v68, v41 :: v_dual_mov_b32 v70, v45
	s_wait_dscnt 0x5
	v_pk_fma_f32 v[38:39], v[66:67], v[40:41], v[38:39] op_sel_hi:[1,0,1]
	v_pk_fma_f32 v[40:41], v[66:67], v[44:45], v[42:43] op_sel_hi:[1,0,1]
	ds_load_2addr_b32 v[66:67], v53 offset0:224 offset1:240
	v_pk_fma_f32 v[68:69], v[76:77], v[68:69], v[38:39] op_sel_hi:[1,0,1]
	v_pk_fma_f32 v[70:71], v[76:77], v[70:71], v[40:41] op_sel_hi:[1,0,1]
	ds_load_b128 v[38:41], v49 offset:96
	ds_load_2addr_b32 v[74:75], v54 offset1:16
	ds_load_b128 v[42:45], v49 offset:2144
	ds_load_2addr_b32 v[76:77], v54 offset0:96 offset1:112
	s_wait_dscnt 0x8
	v_pk_fma_f32 v[68:69], v[64:65], v[56:57], v[68:69] op_sel_hi:[1,0,1]
	s_wait_dscnt 0x7
	v_pk_fma_f32 v[64:65], v[64:65], v[60:61], v[70:71] op_sel_hi:[1,0,1]
	ds_load_2addr_b32 v[70:71], v54 offset0:32 offset1:48
	s_wait_dscnt 0x7
	v_pk_fma_f32 v[56:57], v[72:73], v[56:57], v[68:69] op_sel:[0,1,0]
	v_pk_fma_f32 v[60:61], v[72:73], v[60:61], v[64:65] op_sel:[0,1,0]
	ds_load_2addr_b32 v[64:65], v54 offset0:64 offset1:80
	v_dual_mov_b32 v68, v59 :: v_dual_mov_b32 v72, v63
	s_wait_dscnt 0x7
	v_pk_fma_f32 v[56:57], v[46:47], v[58:59], v[56:57] op_sel_hi:[1,0,1]
	v_pk_fma_f32 v[46:47], v[46:47], v[62:63], v[60:61] op_sel_hi:[1,0,1]
	s_wait_dscnt 0x6
	s_delay_alu instid0(VALU_DEP_2) | instskip(NEXT) | instid1(VALU_DEP_2)
	v_pk_fma_f32 v[68:69], v[66:67], v[68:69], v[56:57] op_sel_hi:[1,0,1]
	v_pk_fma_f32 v[46:47], v[66:67], v[72:73], v[46:47] op_sel_hi:[1,0,1]
	ds_load_b128 v[56:59], v49 offset:112
	ds_load_2addr_b32 v[66:67], v54 offset0:128 offset1:144
	ds_load_b128 v[60:63], v49 offset:2160
	ds_load_2addr_b32 v[72:73], v54 offset0:160 offset1:176
	s_wait_dscnt 0x8
	v_pk_fma_f32 v[68:69], v[74:75], v[38:39], v[68:69] op_sel_hi:[1,0,1]
	s_wait_dscnt 0x7
	v_pk_fma_f32 v[46:47], v[74:75], v[42:43], v[46:47] op_sel_hi:[1,0,1]
	s_wait_dscnt 0x5
	s_delay_alu instid0(VALU_DEP_2) | instskip(NEXT) | instid1(VALU_DEP_2)
	v_pk_fma_f32 v[38:39], v[70:71], v[38:39], v[68:69] op_sel:[0,1,0]
	v_pk_fma_f32 v[42:43], v[70:71], v[42:43], v[46:47] op_sel:[0,1,0]
	ds_load_2addr_b32 v[46:47], v54 offset0:192 offset1:208
	v_dual_mov_b32 v68, v41 :: v_dual_mov_b32 v70, v45
	s_wait_dscnt 0x5
	v_pk_fma_f32 v[38:39], v[64:65], v[40:41], v[38:39] op_sel_hi:[1,0,1]
	v_pk_fma_f32 v[40:41], v[64:65], v[44:45], v[42:43] op_sel_hi:[1,0,1]
	ds_load_2addr_b32 v[42:43], v54 offset0:224 offset1:240
	s_wait_dscnt 0x0
	s_barrier_signal -1
	v_pk_fma_f32 v[38:39], v[76:77], v[68:69], v[38:39] op_sel_hi:[1,0,1]
	v_pk_fma_f32 v[40:41], v[76:77], v[70:71], v[40:41] op_sel_hi:[1,0,1]
	v_mov_b32_e32 v44, v59
	s_barrier_wait -1
	s_delay_alu instid0(VALU_DEP_3) | instskip(NEXT) | instid1(VALU_DEP_3)
	v_pk_fma_f32 v[38:39], v[66:67], v[56:57], v[38:39] op_sel_hi:[1,0,1]
	v_pk_fma_f32 v[40:41], v[66:67], v[60:61], v[40:41] op_sel_hi:[1,0,1]
	s_delay_alu instid0(VALU_DEP_2) | instskip(NEXT) | instid1(VALU_DEP_2)
	v_pk_fma_f32 v[38:39], v[72:73], v[56:57], v[38:39] op_sel:[0,1,0]
	v_pk_fma_f32 v[40:41], v[72:73], v[60:61], v[40:41] op_sel:[0,1,0]
	v_mov_b32_e32 v56, v63
	s_delay_alu instid0(VALU_DEP_3) | instskip(NEXT) | instid1(VALU_DEP_3)
	v_pk_fma_f32 v[38:39], v[46:47], v[58:59], v[38:39] op_sel_hi:[1,0,1]
	v_pk_fma_f32 v[46:47], v[46:47], v[62:63], v[40:41] op_sel_hi:[1,0,1]
	s_delay_alu instid0(VALU_DEP_2) | instskip(NEXT) | instid1(VALU_DEP_2)
	v_pk_fma_f32 v[40:41], v[42:43], v[44:45], v[38:39] op_sel_hi:[1,0,1]
	v_pk_fma_f32 v[38:39], v[42:43], v[56:57], v[46:47] op_sel_hi:[1,0,1]
	s_cbranch_scc1 .LBB7_46
.LBB7_10:                               ;   Parent Loop BB7_4 Depth=1
                                        ;     Parent Loop BB7_7 Depth=2
                                        ; =>    This Inner Loop Header: Depth=3
	v_add_nc_u64_e32 v[46:47], s[42:43], v[0:1]
	v_cmp_eq_u64_e64 s7, s[42:43], v[12:13]
	v_add_nc_u64_e32 v[42:43], s[28:29], v[28:29]
                                        ; implicit-def: $vgpr31
	s_delay_alu instid0(VALU_DEP_3) | instskip(SKIP_3) | instid1(SALU_CYCLE_1)
	v_cmp_le_i64_e64 s6, s[36:37], v[46:47]
	v_cmp_gt_i64_e64 s5, v[46:47], v[4:5]
	s_and_b32 s52, s49, s7
	s_or_b32 s7, s6, s5
	s_or_b32 s7, s7, s52
	s_delay_alu instid0(SALU_CYCLE_1) | instskip(NEXT) | instid1(SALU_CYCLE_1)
	s_nor_b32 s7, s0, s7
	s_and_saveexec_b32 s8, s7
	s_delay_alu instid0(SALU_CYCLE_1)
	s_xor_b32 s7, exec_lo, s8
	s_cbranch_execz .LBB7_12
; %bb.11:                               ;   in Loop: Header=BB7_10 Depth=3
	global_load_b32 v31, v[42:43], off
.LBB7_12:                               ;   in Loop: Header=BB7_10 Depth=3
	s_wait_xcnt 0x0
	s_and_not1_saveexec_b32 s7, s7
	s_cbranch_execz .LBB7_14
; %bb.13:                               ;   in Loop: Header=BB7_10 Depth=3
	s_wait_loadcnt 0x0
	v_cndmask_b32_e64 v31, 0, 1.0, s52
.LBB7_14:                               ;   in Loop: Header=BB7_10 Depth=3
	s_or_b32 exec_lo, exec_lo, s7
	v_cmp_eq_u64_e64 s7, s[42:43], v[14:15]
	v_cmp_lt_i64_e64 s8, v[8:9], v[46:47]
	v_add_nc_u64_e32 v[44:45], s[28:29], v[26:27]
	s_wait_loadcnt 0x0
	ds_store_b32 v48, v31
	s_and_b32 s7, s49, s7
	s_or_b32 s6, s6, s8
	s_delay_alu instid0(SALU_CYCLE_1) | instskip(NEXT) | instid1(SALU_CYCLE_1)
	s_or_b32 s6, s6, s7
	s_nor_b32 s6, s1, s6
	s_delay_alu instid0(SALU_CYCLE_1) | instskip(NEXT) | instid1(SALU_CYCLE_1)
	s_and_saveexec_b32 s8, s6
	s_xor_b32 s6, exec_lo, s8
	s_cbranch_execz .LBB7_16
; %bb.15:                               ;   in Loop: Header=BB7_10 Depth=3
	global_load_b32 v31, v[44:45], off
	s_wait_loadcnt 0x0
	ds_store_b32 v48, v31 offset:64
.LBB7_16:                               ;   in Loop: Header=BB7_10 Depth=3
	s_wait_xcnt 0x0
	s_and_not1_saveexec_b32 s6, s6
	s_cbranch_execz .LBB7_22
; %bb.17:                               ;   in Loop: Header=BB7_10 Depth=3
	s_xor_b32 s7, s7, -1
	s_delay_alu instid0(SALU_CYCLE_1) | instskip(NEXT) | instid1(SALU_CYCLE_1)
	s_and_saveexec_b32 s8, s7
	s_xor_b32 s7, exec_lo, s8
; %bb.18:                               ;   in Loop: Header=BB7_10 Depth=3
	ds_store_b32 v48, v1 offset:64
; %bb.19:                               ;   in Loop: Header=BB7_10 Depth=3
	s_and_not1_saveexec_b32 s7, s7
; %bb.20:                               ;   in Loop: Header=BB7_10 Depth=3
	ds_store_b32 v48, v51 offset:64
; %bb.21:                               ;   in Loop: Header=BB7_10 Depth=3
	s_or_b32 exec_lo, exec_lo, s7
.LBB7_22:                               ;   in Loop: Header=BB7_10 Depth=3
	s_delay_alu instid0(SALU_CYCLE_1) | instskip(SKIP_2) | instid1(VALU_DEP_2)
	s_or_b32 exec_lo, exec_lo, s6
	v_add_nc_u64_e32 v[46:47], 16, v[46:47]
	v_cmp_eq_u64_e64 s7, s[42:43], v[16:17]
                                        ; implicit-def: $vgpr31
	v_cmp_le_i64_e64 s6, s[36:37], v[46:47]
	v_cmp_gt_i64_e64 s8, v[46:47], v[4:5]
	s_and_b32 s7, s49, s7
	s_or_b32 s8, s6, s8
	s_delay_alu instid0(SALU_CYCLE_1) | instskip(NEXT) | instid1(SALU_CYCLE_1)
	s_or_b32 s8, s8, s7
	s_nor_b32 s8, s0, s8
	s_delay_alu instid0(SALU_CYCLE_1) | instskip(NEXT) | instid1(SALU_CYCLE_1)
	s_and_saveexec_b32 s53, s8
	s_xor_b32 s8, exec_lo, s53
	s_cbranch_execz .LBB7_24
; %bb.23:                               ;   in Loop: Header=BB7_10 Depth=3
	global_load_b32 v31, v[42:43], off offset:64
.LBB7_24:                               ;   in Loop: Header=BB7_10 Depth=3
	s_wait_xcnt 0x0
	s_and_not1_saveexec_b32 s8, s8
	s_cbranch_execz .LBB7_26
; %bb.25:                               ;   in Loop: Header=BB7_10 Depth=3
	s_wait_loadcnt 0x0
	v_cndmask_b32_e64 v31, 0, 1.0, s7
.LBB7_26:                               ;   in Loop: Header=BB7_10 Depth=3
	s_or_b32 exec_lo, exec_lo, s8
	s_or_b32 s5, s6, s5
	s_wait_loadcnt 0x0
	ds_store_b32 v48, v31 offset:2048
	s_or_b32 s5, s5, s52
	s_delay_alu instid0(SALU_CYCLE_1) | instskip(NEXT) | instid1(SALU_CYCLE_1)
	s_nor_b32 s5, s1, s5
	s_and_saveexec_b32 s6, s5
	s_delay_alu instid0(SALU_CYCLE_1)
	s_xor_b32 s5, exec_lo, s6
	s_cbranch_execz .LBB7_28
; %bb.27:                               ;   in Loop: Header=BB7_10 Depth=3
	global_load_b32 v31, v[44:45], off offset:64
	s_wait_loadcnt 0x0
	ds_store_b32 v48, v31 offset:2112
.LBB7_28:                               ;   in Loop: Header=BB7_10 Depth=3
	s_wait_xcnt 0x0
	s_and_not1_saveexec_b32 s5, s5
	s_cbranch_execz .LBB7_34
; %bb.29:                               ;   in Loop: Header=BB7_10 Depth=3
	s_xor_b32 s6, s52, -1
	s_delay_alu instid0(SALU_CYCLE_1) | instskip(NEXT) | instid1(SALU_CYCLE_1)
	s_and_saveexec_b32 s7, s6
	s_xor_b32 s6, exec_lo, s7
; %bb.30:                               ;   in Loop: Header=BB7_10 Depth=3
	ds_store_b32 v48, v1 offset:2112
; %bb.31:                               ;   in Loop: Header=BB7_10 Depth=3
	s_and_not1_saveexec_b32 s6, s6
; %bb.32:                               ;   in Loop: Header=BB7_10 Depth=3
	ds_store_b32 v48, v51 offset:2112
; %bb.33:                               ;   in Loop: Header=BB7_10 Depth=3
	s_or_b32 exec_lo, exec_lo, s6
.LBB7_34:                               ;   in Loop: Header=BB7_10 Depth=3
	s_delay_alu instid0(SALU_CYCLE_1) | instskip(SKIP_3) | instid1(VALU_DEP_3)
	s_or_b32 exec_lo, exec_lo, s5
	v_add_nc_u64_e32 v[44:45], s[42:43], v[2:3]
	v_add_nc_u64_e32 v[42:43], s[28:29], v[34:35]
	v_mov_b32_e32 v31, 0
	v_cmp_gt_i64_e64 s5, s[36:37], v[44:45]
	s_and_b32 s7, vcc_lo, s5
	s_delay_alu instid0(SALU_CYCLE_1)
	s_and_saveexec_b32 s6, s7
	s_cbranch_execz .LBB7_36
; %bb.35:                               ;   in Loop: Header=BB7_10 Depth=3
	global_load_b32 v31, v[42:43], off offset:-64
.LBB7_36:                               ;   in Loop: Header=BB7_10 Depth=3
	s_wait_xcnt 0x0
	s_or_b32 exec_lo, exec_lo, s6
	v_cmp_gt_i64_e64 s6, s[40:41], v[44:45]
	s_wait_loadcnt 0x0
	ds_store_b32 v50, v31
	s_and_b32 s7, vcc_lo, s6
	s_delay_alu instid0(SALU_CYCLE_1) | instskip(NEXT) | instid1(SALU_CYCLE_1)
	s_xor_b32 s7, s7, -1
	s_and_saveexec_b32 s8, s7
	s_delay_alu instid0(SALU_CYCLE_1)
	s_xor_b32 s7, exec_lo, s8
; %bb.37:                               ;   in Loop: Header=BB7_10 Depth=3
	ds_store_b32 v50, v1 offset:64
                                        ; implicit-def: $vgpr42_vgpr43
; %bb.38:                               ;   in Loop: Header=BB7_10 Depth=3
	s_and_not1_saveexec_b32 s7, s7
	s_cbranch_execz .LBB7_40
; %bb.39:                               ;   in Loop: Header=BB7_10 Depth=3
	global_load_b32 v31, v[42:43], off
	s_wait_loadcnt 0x0
	ds_store_b32 v50, v31 offset:64
.LBB7_40:                               ;   in Loop: Header=BB7_10 Depth=3
	s_wait_xcnt 0x0
	s_or_b32 exec_lo, exec_lo, s7
	v_add_nc_u64_e32 v[42:43], s[28:29], v[36:37]
	v_mov_b32_e32 v31, 0
	s_and_b32 s7, s4, s5
	s_delay_alu instid0(SALU_CYCLE_1)
	s_and_saveexec_b32 s5, s7
	s_cbranch_execz .LBB7_42
; %bb.41:                               ;   in Loop: Header=BB7_10 Depth=3
	global_load_b32 v31, v[42:43], off offset:-64
.LBB7_42:                               ;   in Loop: Header=BB7_10 Depth=3
	s_wait_xcnt 0x0
	s_or_b32 exec_lo, exec_lo, s5
	s_and_b32 s5, s4, s6
	s_wait_loadcnt 0x0
	ds_store_b32 v50, v31 offset:2048
	s_xor_b32 s5, s5, -1
	s_delay_alu instid0(SALU_CYCLE_1) | instskip(NEXT) | instid1(SALU_CYCLE_1)
	s_and_saveexec_b32 s6, s5
	s_xor_b32 s5, exec_lo, s6
; %bb.43:                               ;   in Loop: Header=BB7_10 Depth=3
	ds_store_b32 v50, v1 offset:2112
                                        ; implicit-def: $vgpr42_vgpr43
; %bb.44:                               ;   in Loop: Header=BB7_10 Depth=3
	s_and_not1_saveexec_b32 s5, s5
	s_cbranch_execz .LBB7_9
; %bb.45:                               ;   in Loop: Header=BB7_10 Depth=3
	global_load_b32 v31, v[42:43], off
	s_wait_loadcnt 0x0
	ds_store_b32 v50, v31 offset:2112
	s_branch .LBB7_9
.LBB7_46:                               ;   in Loop: Header=BB7_7 Depth=2
	s_delay_alu instid0(VALU_DEP_2) | instskip(SKIP_2) | instid1(VALU_DEP_2)
	v_mul_u64_e32 v[34:35], s[24:25], v[32:33]
	v_cmp_gt_i32_e32 vcc_lo, s30, v32
	s_and_b32 s5, s2, vcc_lo
	v_lshl_add_u64 v[34:35], v[34:35], 2, s[18:19]
	s_and_saveexec_b32 s4, s5
	s_cbranch_execz .LBB7_48
; %bb.47:                               ;   in Loop: Header=BB7_7 Depth=2
	s_delay_alu instid0(VALU_DEP_1)
	v_lshl_add_u64 v[36:37], v[4:5], 2, v[34:35]
	global_load_b32 v31, v[36:37], off
	s_wait_loadcnt 0x0
	v_fmac_f32_e32 v31, s31, v40
	global_store_b32 v[36:37], v31, off
.LBB7_48:                               ;   in Loop: Header=BB7_7 Depth=2
	s_wait_xcnt 0x0
	s_or_b32 exec_lo, exec_lo, s4
	s_and_b32 s5, s3, vcc_lo
	s_delay_alu instid0(SALU_CYCLE_1)
	s_and_saveexec_b32 s4, s5
	s_cbranch_execz .LBB7_50
; %bb.49:                               ;   in Loop: Header=BB7_7 Depth=2
	v_lshl_add_u64 v[34:35], v[10:11], 2, v[34:35]
	global_load_b32 v31, v[34:35], off
	s_wait_loadcnt 0x0
	v_fmac_f32_e32 v31, s31, v41
	global_store_b32 v[34:35], v31, off
.LBB7_50:                               ;   in Loop: Header=BB7_7 Depth=2
	s_wait_xcnt 0x0
	s_or_b32 exec_lo, exec_lo, s4
	v_add_nc_u32_e32 v32, 16, v32
	s_delay_alu instid0(VALU_DEP_1) | instskip(SKIP_1) | instid1(VALU_DEP_2)
	v_ashrrev_i32_e32 v33, 31, v32
	v_cmp_gt_i32_e32 vcc_lo, s30, v32
	v_mul_u64_e32 v[34:35], s[24:25], v[32:33]
	s_and_b32 s5, s2, vcc_lo
	s_delay_alu instid0(VALU_DEP_1)
	v_lshl_add_u64 v[32:33], v[34:35], 2, s[18:19]
	s_and_saveexec_b32 s4, s5
	s_cbranch_execz .LBB7_52
; %bb.51:                               ;   in Loop: Header=BB7_7 Depth=2
	s_delay_alu instid0(VALU_DEP_1)
	v_lshl_add_u64 v[34:35], v[4:5], 2, v[32:33]
	global_load_b32 v31, v[34:35], off
	s_wait_loadcnt 0x0
	v_fmac_f32_e32 v31, s31, v38
	global_store_b32 v[34:35], v31, off
.LBB7_52:                               ;   in Loop: Header=BB7_7 Depth=2
	s_wait_xcnt 0x0
	s_or_b32 exec_lo, exec_lo, s4
	s_and_b32 s5, s3, vcc_lo
	s_delay_alu instid0(SALU_CYCLE_1)
	s_and_saveexec_b32 s4, s5
	s_cbranch_execz .LBB7_6
; %bb.53:                               ;   in Loop: Header=BB7_7 Depth=2
	v_lshl_add_u64 v[32:33], v[10:11], 2, v[32:33]
	global_load_b32 v31, v[32:33], off
	s_wait_loadcnt 0x0
	v_fmac_f32_e32 v31, s31, v39
	global_store_b32 v[32:33], v31, off
	s_branch .LBB7_6
.LBB7_54:
	s_sendmsg sendmsg(MSG_DEALLOC_VGPRS)
	s_endpgm
	.section	.rodata,"a",@progbits
	.p2align	6, 0x0
	.amdhsa_kernel _ZL30rocblas_trmm_outofplace_kernelIfLi32ELi2ELb1ELb1ELb1ELb0EfKffEv17rocblas_diagonal_iiT6_lPT7_lllS4_lllPT8_llli
		.amdhsa_group_segment_fixed_size 8192
		.amdhsa_private_segment_fixed_size 0
		.amdhsa_kernarg_size 384
		.amdhsa_user_sgpr_count 2
		.amdhsa_user_sgpr_dispatch_ptr 0
		.amdhsa_user_sgpr_queue_ptr 0
		.amdhsa_user_sgpr_kernarg_segment_ptr 1
		.amdhsa_user_sgpr_dispatch_id 0
		.amdhsa_user_sgpr_kernarg_preload_length 0
		.amdhsa_user_sgpr_kernarg_preload_offset 0
		.amdhsa_user_sgpr_private_segment_size 0
		.amdhsa_wavefront_size32 1
		.amdhsa_uses_dynamic_stack 0
		.amdhsa_enable_private_segment 0
		.amdhsa_system_sgpr_workgroup_id_x 1
		.amdhsa_system_sgpr_workgroup_id_y 1
		.amdhsa_system_sgpr_workgroup_id_z 1
		.amdhsa_system_sgpr_workgroup_info 0
		.amdhsa_system_vgpr_workitem_id 1
		.amdhsa_next_free_vgpr 78
		.amdhsa_next_free_sgpr 54
		.amdhsa_named_barrier_count 0
		.amdhsa_reserve_vcc 1
		.amdhsa_float_round_mode_32 0
		.amdhsa_float_round_mode_16_64 0
		.amdhsa_float_denorm_mode_32 3
		.amdhsa_float_denorm_mode_16_64 3
		.amdhsa_fp16_overflow 0
		.amdhsa_memory_ordered 1
		.amdhsa_forward_progress 1
		.amdhsa_inst_pref_size 25
		.amdhsa_round_robin_scheduling 0
		.amdhsa_exception_fp_ieee_invalid_op 0
		.amdhsa_exception_fp_denorm_src 0
		.amdhsa_exception_fp_ieee_div_zero 0
		.amdhsa_exception_fp_ieee_overflow 0
		.amdhsa_exception_fp_ieee_underflow 0
		.amdhsa_exception_fp_ieee_inexact 0
		.amdhsa_exception_int_div_zero 0
	.end_amdhsa_kernel
	.section	.text._ZL30rocblas_trmm_outofplace_kernelIfLi32ELi2ELb1ELb1ELb1ELb0EfKffEv17rocblas_diagonal_iiT6_lPT7_lllS4_lllPT8_llli,"axG",@progbits,_ZL30rocblas_trmm_outofplace_kernelIfLi32ELi2ELb1ELb1ELb1ELb0EfKffEv17rocblas_diagonal_iiT6_lPT7_lllS4_lllPT8_llli,comdat
.Lfunc_end7:
	.size	_ZL30rocblas_trmm_outofplace_kernelIfLi32ELi2ELb1ELb1ELb1ELb0EfKffEv17rocblas_diagonal_iiT6_lPT7_lllS4_lllPT8_llli, .Lfunc_end7-_ZL30rocblas_trmm_outofplace_kernelIfLi32ELi2ELb1ELb1ELb1ELb0EfKffEv17rocblas_diagonal_iiT6_lPT7_lllS4_lllPT8_llli
                                        ; -- End function
	.set _ZL30rocblas_trmm_outofplace_kernelIfLi32ELi2ELb1ELb1ELb1ELb0EfKffEv17rocblas_diagonal_iiT6_lPT7_lllS4_lllPT8_llli.num_vgpr, 78
	.set _ZL30rocblas_trmm_outofplace_kernelIfLi32ELi2ELb1ELb1ELb1ELb0EfKffEv17rocblas_diagonal_iiT6_lPT7_lllS4_lllPT8_llli.num_agpr, 0
	.set _ZL30rocblas_trmm_outofplace_kernelIfLi32ELi2ELb1ELb1ELb1ELb0EfKffEv17rocblas_diagonal_iiT6_lPT7_lllS4_lllPT8_llli.numbered_sgpr, 54
	.set _ZL30rocblas_trmm_outofplace_kernelIfLi32ELi2ELb1ELb1ELb1ELb0EfKffEv17rocblas_diagonal_iiT6_lPT7_lllS4_lllPT8_llli.num_named_barrier, 0
	.set _ZL30rocblas_trmm_outofplace_kernelIfLi32ELi2ELb1ELb1ELb1ELb0EfKffEv17rocblas_diagonal_iiT6_lPT7_lllS4_lllPT8_llli.private_seg_size, 0
	.set _ZL30rocblas_trmm_outofplace_kernelIfLi32ELi2ELb1ELb1ELb1ELb0EfKffEv17rocblas_diagonal_iiT6_lPT7_lllS4_lllPT8_llli.uses_vcc, 1
	.set _ZL30rocblas_trmm_outofplace_kernelIfLi32ELi2ELb1ELb1ELb1ELb0EfKffEv17rocblas_diagonal_iiT6_lPT7_lllS4_lllPT8_llli.uses_flat_scratch, 0
	.set _ZL30rocblas_trmm_outofplace_kernelIfLi32ELi2ELb1ELb1ELb1ELb0EfKffEv17rocblas_diagonal_iiT6_lPT7_lllS4_lllPT8_llli.has_dyn_sized_stack, 0
	.set _ZL30rocblas_trmm_outofplace_kernelIfLi32ELi2ELb1ELb1ELb1ELb0EfKffEv17rocblas_diagonal_iiT6_lPT7_lllS4_lllPT8_llli.has_recursion, 0
	.set _ZL30rocblas_trmm_outofplace_kernelIfLi32ELi2ELb1ELb1ELb1ELb0EfKffEv17rocblas_diagonal_iiT6_lPT7_lllS4_lllPT8_llli.has_indirect_call, 0
	.section	.AMDGPU.csdata,"",@progbits
; Kernel info:
; codeLenInByte = 3140
; TotalNumSgprs: 56
; NumVgprs: 78
; ScratchSize: 0
; MemoryBound: 0
; FloatMode: 240
; IeeeMode: 1
; LDSByteSize: 8192 bytes/workgroup (compile time only)
; SGPRBlocks: 0
; VGPRBlocks: 4
; NumSGPRsForWavesPerEU: 56
; NumVGPRsForWavesPerEU: 78
; NamedBarCnt: 0
; Occupancy: 12
; WaveLimiterHint : 0
; COMPUTE_PGM_RSRC2:SCRATCH_EN: 0
; COMPUTE_PGM_RSRC2:USER_SGPR: 2
; COMPUTE_PGM_RSRC2:TRAP_HANDLER: 0
; COMPUTE_PGM_RSRC2:TGID_X_EN: 1
; COMPUTE_PGM_RSRC2:TGID_Y_EN: 1
; COMPUTE_PGM_RSRC2:TGID_Z_EN: 1
; COMPUTE_PGM_RSRC2:TIDIG_COMP_CNT: 1
	.section	.text._ZL30rocblas_trmm_outofplace_kernelIfLi32ELi2ELb1ELb0ELb1ELb1EPKfS0_fEv17rocblas_diagonal_iiT6_lPT7_lllS5_lllPT8_llli,"axG",@progbits,_ZL30rocblas_trmm_outofplace_kernelIfLi32ELi2ELb1ELb0ELb1ELb1EPKfS0_fEv17rocblas_diagonal_iiT6_lPT7_lllS5_lllPT8_llli,comdat
	.globl	_ZL30rocblas_trmm_outofplace_kernelIfLi32ELi2ELb1ELb0ELb1ELb1EPKfS0_fEv17rocblas_diagonal_iiT6_lPT7_lllS5_lllPT8_llli ; -- Begin function _ZL30rocblas_trmm_outofplace_kernelIfLi32ELi2ELb1ELb0ELb1ELb1EPKfS0_fEv17rocblas_diagonal_iiT6_lPT7_lllS5_lllPT8_llli
	.p2align	8
	.type	_ZL30rocblas_trmm_outofplace_kernelIfLi32ELi2ELb1ELb0ELb1ELb1EPKfS0_fEv17rocblas_diagonal_iiT6_lPT7_lllS5_lllPT8_llli,@function
_ZL30rocblas_trmm_outofplace_kernelIfLi32ELi2ELb1ELb0ELb1ELb1EPKfS0_fEv17rocblas_diagonal_iiT6_lPT7_lllS5_lllPT8_llli: ; @_ZL30rocblas_trmm_outofplace_kernelIfLi32ELi2ELb1ELb0ELb1ELb1EPKfS0_fEv17rocblas_diagonal_iiT6_lPT7_lllS5_lllPT8_llli
; %bb.0:
	s_load_b32 s11, s[0:1], 0x80
	s_bfe_u32 s2, ttmp6, 0x40014
	s_lshr_b32 s3, ttmp7, 16
	s_add_co_i32 s2, s2, 1
	s_bfe_u32 s5, ttmp6, 0x40008
	s_mul_i32 s4, s3, s2
	s_getreg_b32 s2, hwreg(HW_REG_IB_STS2, 6, 4)
	s_add_co_i32 s5, s5, s4
	s_cmp_eq_u32 s2, 0
	s_mov_b32 s35, 0
	s_cselect_b32 s34, s3, s5
	s_wait_kmcnt 0x0
	s_cmp_ge_u32 s34, s11
	s_cbranch_scc1 .LBB8_56
; %bb.1:
	s_clause 0x1
	s_load_b96 s[8:10], s[0:1], 0x0
	s_load_b256 s[36:43], s[0:1], 0x50
	s_bfe_u32 s4, ttmp6, 0x4000c
	s_and_b32 s3, ttmp6, 15
	s_add_co_i32 s4, s4, 1
	s_bfe_u32 s5, ttmp6, 0x40010
	s_mul_i32 s4, ttmp9, s4
	s_and_b32 s6, ttmp7, 0xffff
	s_add_co_i32 s5, s5, 1
	s_add_co_i32 s3, s3, s4
	s_bfe_u32 s7, ttmp6, 0x40004
	s_mul_i32 s5, s6, s5
	v_and_b32_e32 v1, 0x3ff, v0
	s_add_co_i32 s7, s7, s5
	v_bfe_u32 v44, v0, 10, 10
	s_load_b128 s[28:31], s[0:1], 0x70
	s_delay_alu instid0(VALU_DEP_2) | instskip(NEXT) | instid1(VALU_DEP_2)
	v_dual_mov_b32 v47, 0 :: v_dual_lshlrev_b32 v45, 2, v1
	v_dual_mov_b32 v51, 1.0 :: v_dual_lshlrev_b32 v0, 7, v44
	s_wait_kmcnt 0x0
	s_add_co_i32 s12, s10, -1
	s_mov_b32 s44, s10
	s_ashr_i32 s13, s12, 31
	v_add_nc_u32_e32 v52, 0x400, v45
	s_lshr_b32 s4, s13, 27
	v_add_nc_u32_e32 v46, 0x1000, v0
	s_add_co_i32 s12, s12, s4
	s_lshl_b64 s[4:5], s[42:43], 2
	s_ashr_i32 s33, s12, 5
	s_cmp_eq_u32 s2, 0
	s_load_b512 s[12:27], s[0:1], 0x10
	s_cselect_b32 s48, s6, s7
	s_cselect_b32 s2, ttmp9, s3
	s_cmp_le_i32 s48, s33
	v_dual_add_nc_u32 v48, v45, v0 :: v_dual_add_nc_u32 v49, v46, v45
	s_cselect_b32 s49, -1, 0
	s_lshl_b32 s6, s2, 5
	s_add_nc_u64 s[40:41], s[40:41], s[4:5]
	v_add_nc_u32_e32 v2, s6, v1
	s_sub_co_i32 s50, s9, s6
	v_add_nc_u32_e32 v0, s6, v44
	s_cmp_gt_i32 s50, 0
	s_mov_b32 s42, s9
	v_ashrrev_i32_e32 v3, 31, v2
	s_cselect_b32 s51, -1, 0
	s_cmp_eq_u32 s8, 0x84
	v_lshl_add_u32 v50, s48, 5, v44
	s_cselect_b32 s52, -1, 0
	v_lshlrev_b64_e32 v[10:11], 2, v[2:3]
	s_wait_kmcnt 0x0
	v_mul_u64_e32 v[6:7], s[20:21], v[2:3]
	s_lshl_b64 s[2:3], s[18:19], 2
	s_lshl_b64 s[4:5], s[26:27], 2
	s_ashr_i32 s43, s9, 31
	s_add_nc_u64 s[4:5], s[24:25], s[4:5]
	s_add_nc_u64 s[18:19], s[0:1], 0x88
	v_add_nc_u64_e32 v[4:5], 64, v[10:11]
	v_add_nc_u64_e32 v[18:19], s[4:5], v[10:11]
	v_cmp_le_i32_e64 s0, s9, v2
	v_cmp_gt_i32_e64 s1, s9, v2
	v_add_nc_u32_e32 v53, 0x800, v45
	s_ashr_i32 s45, s10, 31
	s_lshl_b64 s[24:25], s[36:37], 2
	v_mad_nc_u64_u32 v[12:13], s20, v4, s[2:3]
	s_lshl_b64 s[22:23], s[22:23], 2
	s_delay_alu instid0(VALU_DEP_1) | instskip(SKIP_1) | instid1(VALU_DEP_1)
	v_mad_u32 v8, s21, v4, v13
	v_dual_add_nc_u32 v4, 16, v2 :: v_dual_ashrrev_i32 v1, 31, v0
	v_lshlrev_b64_e32 v[14:15], 2, v[0:1]
	v_lshl_add_u64 v[16:17], v[6:7], 2, s[2:3]
	v_add_nc_u64_e32 v[6:7], 16, v[2:3]
	s_delay_alu instid0(VALU_DEP_4)
	v_cmp_gt_i32_e64 s2, s9, v4
	v_mad_u32 v13, s20, v5, v8
	v_sub_nc_u64_e32 v[8:9], v[2:3], v[0:1]
	v_ashrrev_i32_e32 v5, 31, v4
	v_add_nc_u64_e32 v[16:17], v[16:17], v[14:15]
	s_add_nc_u64 s[20:21], s[42:43], -16
	v_cmp_le_i64_e64 s3, s[42:43], v[6:7]
	s_delay_alu instid0(VALU_DEP_4) | instskip(NEXT) | instid1(VALU_DEP_3)
	v_add_nc_u64_e32 v[10:11], 16, v[8:9]
	v_add_nc_u64_e32 v[16:17], s[16:17], v[16:17]
	;; [unrolled: 1-line block ×3, first 2 shown]
	v_add_nc_u64_e32 v[12:13], -16, v[8:9]
	v_add_nc_u64_e32 v[14:15], 64, v[18:19]
	s_delay_alu instid0(VALU_DEP_3)
	v_add_nc_u64_e32 v[18:19], s[16:17], v[20:21]
	s_lshl_b64 s[16:17], s[38:39], 2
	s_branch .LBB8_4
.LBB8_2:                                ;   in Loop: Header=BB8_4 Depth=1
	s_add_co_i32 s34, s34, 0x10000
	s_delay_alu instid0(SALU_CYCLE_1)
	s_cmp_ge_u32 s34, s11
	s_cselect_b32 s4, -1, 0
.LBB8_3:                                ;   in Loop: Header=BB8_4 Depth=1
	s_delay_alu instid0(SALU_CYCLE_1)
	s_and_b32 vcc_lo, exec_lo, s4
	s_cbranch_vccnz .LBB8_56
.LBB8_4:                                ; =>This Loop Header: Depth=1
                                        ;     Child Loop BB8_8 Depth 2
                                        ;       Child Loop BB8_11 Depth 3
	s_mul_u64 s[4:5], s[14:15], s[34:35]
	s_delay_alu instid0(SALU_CYCLE_1) | instskip(NEXT) | instid1(SALU_CYCLE_1)
	s_lshl_b64 s[4:5], s[4:5], 2
	s_add_nc_u64 s[4:5], s[12:13], s[4:5]
	global_load_b32 v54, v47, s[4:5]
	s_wait_xcnt 0x0
	s_mov_b32 s4, -1
	s_wait_loadcnt 0x0
	v_cmp_eq_f32_e32 vcc_lo, 0, v54
	s_cbranch_vccnz .LBB8_3
; %bb.5:                                ;   in Loop: Header=BB8_4 Depth=1
	s_and_not1_b32 vcc_lo, exec_lo, s49
	s_cbranch_vccnz .LBB8_2
; %bb.6:                                ;   in Loop: Header=BB8_4 Depth=1
	s_load_b32 s9, s[18:19], 0x4
	v_mad_nc_u64_u32 v[20:21], s16, s34, v[14:15]
	v_mad_nc_u64_u32 v[22:23], s22, s34, v[18:19]
	;; [unrolled: 1-line block ×3, first 2 shown]
	s_mul_i32 s6, s23, s34
	s_mul_u64 s[4:5], s[30:31], s[34:35]
	v_mov_b32_e32 v26, v50
	s_lshl_b64 s[4:5], s[4:5], 2
	s_mov_b32 s54, s48
	s_add_nc_u64 s[26:27], s[40:41], s[4:5]
	s_delay_alu instid0(VALU_DEP_4) | instskip(NEXT) | instid1(VALU_DEP_3)
	v_mad_u32 v21, s17, s34, v21
	v_dual_add_nc_u32 v23, s6, v23 :: v_dual_add_nc_u32 v25, s6, v25
	s_wait_kmcnt 0x0
	s_lshl_b32 s53, s9, 5
	s_branch .LBB8_8
.LBB8_7:                                ;   in Loop: Header=BB8_8 Depth=2
	s_wait_xcnt 0x0
	s_or_b32 exec_lo, exec_lo, s4
	v_add_nc_u32_e32 v26, s53, v26
	s_add_co_i32 s54, s9, s54
	s_delay_alu instid0(SALU_CYCLE_1)
	s_cmp_gt_i32 s54, s33
	s_cbranch_scc1 .LBB8_2
.LBB8_8:                                ;   Parent Loop BB8_4 Depth=1
                                        ; =>  This Loop Header: Depth=2
                                        ;       Child Loop BB8_11 Depth 3
	v_lshl_add_u32 v28, s54, 5, v44
	s_and_not1_b32 vcc_lo, exec_lo, s51
	s_delay_alu instid0(VALU_DEP_1)
	v_ashrrev_i32_e32 v29, 31, v28
	s_cbranch_vccnz .LBB8_47
; %bb.9:                                ;   in Loop: Header=BB8_8 Depth=2
	v_ashrrev_i32_e32 v27, 31, v26
	v_mad_nc_u64_u32 v[30:31], s24, v26, v[20:21]
	s_delay_alu instid0(VALU_DEP_3) | instskip(SKIP_3) | instid1(VALU_DEP_2)
	v_sub_nc_u64_e32 v[36:37], s[44:45], v[28:29]
	s_mov_b64 s[38:39], 0
	s_mov_b64 s[46:47], 0
	v_lshl_add_u64 v[34:35], v[26:27], 2, 64
	v_cmp_lt_i64_e64 s4, 16, v[36:37]
	s_delay_alu instid0(VALU_DEP_2) | instskip(SKIP_2) | instid1(VALU_DEP_3)
	v_mad_nc_u64_u32 v[32:33], s36, v34, v[20:21]
	v_cmp_lt_i64_e32 vcc_lo, 0, v[36:37]
	v_mad_u32 v31, s25, v26, v31
	v_mad_u32 v33, s37, v34, v33
	v_mov_b32_e32 v34, 0
	s_delay_alu instid0(VALU_DEP_3) | instskip(NEXT) | instid1(VALU_DEP_2)
	v_mad_u32 v31, s24, v27, v31
	v_dual_mov_b32 v37, v34 :: v_dual_mov_b32 v36, v34
	s_delay_alu instid0(VALU_DEP_4)
	v_mad_u32 v33, s36, v35, v33
	v_mov_b32_e32 v35, v34
	s_branch .LBB8_11
.LBB8_10:                               ;   in Loop: Header=BB8_11 Depth=3
	s_wait_xcnt 0x0
	s_or_b32 exec_lo, exec_lo, s5
	s_wait_dscnt 0x0
	s_barrier_signal -1
	s_barrier_wait -1
	ds_load_b128 v[38:41], v46
	ds_load_2addr_b32 v[42:43], v45 offset1:16
	ds_load_b128 v[56:59], v46 offset:2048
	ds_load_2addr_b32 v[68:69], v45 offset0:32 offset1:48
	ds_load_2addr_b32 v[70:71], v45 offset0:64 offset1:80
	;; [unrolled: 1-line block ×3, first 2 shown]
	ds_load_b128 v[60:63], v46 offset:16
	ds_load_2addr_b32 v[74:75], v45 offset0:128 offset1:144
	ds_load_b128 v[64:67], v46 offset:2064
	s_add_nc_u64 s[46:47], s[46:47], 32
	s_add_nc_u64 s[38:39], s[38:39], 0x80
	s_cmp_ge_i32 s46, s50
	s_wait_dscnt 0x7
	v_pk_fma_f32 v[36:37], v[42:43], v[38:39], v[36:37] op_sel_hi:[1,0,1]
	s_wait_dscnt 0x6
	v_pk_fma_f32 v[34:35], v[42:43], v[56:57], v[34:35] op_sel_hi:[1,0,1]
	ds_load_2addr_b32 v[42:43], v45 offset0:160 offset1:176
	s_wait_dscnt 0x6
	v_pk_fma_f32 v[36:37], v[68:69], v[38:39], v[36:37] op_sel:[0,1,0]
	v_pk_fma_f32 v[34:35], v[68:69], v[56:57], v[34:35] op_sel:[0,1,0]
	ds_load_2addr_b32 v[56:57], v45 offset0:192 offset1:208
	v_dual_mov_b32 v38, v41 :: v_dual_mov_b32 v68, v59
	s_wait_dscnt 0x6
	v_pk_fma_f32 v[36:37], v[70:71], v[40:41], v[36:37] op_sel_hi:[1,0,1]
	v_pk_fma_f32 v[34:35], v[70:71], v[58:59], v[34:35] op_sel_hi:[1,0,1]
	ds_load_2addr_b32 v[58:59], v45 offset0:224 offset1:240
	s_wait_dscnt 0x6
	v_pk_fma_f32 v[70:71], v[72:73], v[38:39], v[36:37] op_sel_hi:[1,0,1]
	v_pk_fma_f32 v[68:69], v[72:73], v[68:69], v[34:35] op_sel_hi:[1,0,1]
	ds_load_b128 v[34:37], v46 offset:32
	ds_load_2addr_b32 v[72:73], v52 offset1:16
	ds_load_b128 v[38:41], v46 offset:2080
	s_wait_dscnt 0x7
	v_pk_fma_f32 v[70:71], v[74:75], v[60:61], v[70:71] op_sel_hi:[1,0,1]
	s_wait_dscnt 0x6
	v_pk_fma_f32 v[68:69], v[74:75], v[64:65], v[68:69] op_sel_hi:[1,0,1]
	ds_load_2addr_b32 v[74:75], v52 offset0:32 offset1:48
	s_wait_dscnt 0x6
	v_pk_fma_f32 v[60:61], v[42:43], v[60:61], v[70:71] op_sel:[0,1,0]
	v_pk_fma_f32 v[42:43], v[42:43], v[64:65], v[68:69] op_sel:[0,1,0]
	ds_load_2addr_b32 v[64:65], v52 offset0:64 offset1:80
	v_dual_mov_b32 v68, v63 :: v_dual_mov_b32 v70, v67
	s_wait_dscnt 0x6
	v_pk_fma_f32 v[60:61], v[56:57], v[62:63], v[60:61] op_sel_hi:[1,0,1]
	v_pk_fma_f32 v[42:43], v[56:57], v[66:67], v[42:43] op_sel_hi:[1,0,1]
	ds_load_2addr_b32 v[66:67], v52 offset0:96 offset1:112
	s_wait_dscnt 0x6
	v_pk_fma_f32 v[68:69], v[58:59], v[68:69], v[60:61] op_sel_hi:[1,0,1]
	v_pk_fma_f32 v[42:43], v[58:59], v[70:71], v[42:43] op_sel_hi:[1,0,1]
	ds_load_b128 v[56:59], v46 offset:48
	ds_load_2addr_b32 v[70:71], v52 offset0:128 offset1:144
	ds_load_b128 v[60:63], v46 offset:2096
	s_wait_dscnt 0x7
	v_pk_fma_f32 v[68:69], v[72:73], v[34:35], v[68:69] op_sel_hi:[1,0,1]
	s_wait_dscnt 0x6
	v_pk_fma_f32 v[42:43], v[72:73], v[38:39], v[42:43] op_sel_hi:[1,0,1]
	ds_load_2addr_b32 v[72:73], v52 offset0:160 offset1:176
	s_wait_dscnt 0x6
	v_pk_fma_f32 v[34:35], v[74:75], v[34:35], v[68:69] op_sel:[0,1,0]
	v_pk_fma_f32 v[38:39], v[74:75], v[38:39], v[42:43] op_sel:[0,1,0]
	ds_load_2addr_b32 v[42:43], v52 offset0:192 offset1:208
	v_dual_mov_b32 v68, v37 :: v_dual_mov_b32 v74, v41
	s_wait_dscnt 0x6
	v_pk_fma_f32 v[34:35], v[64:65], v[36:37], v[34:35] op_sel_hi:[1,0,1]
	v_pk_fma_f32 v[36:37], v[64:65], v[40:41], v[38:39] op_sel_hi:[1,0,1]
	ds_load_2addr_b32 v[64:65], v52 offset0:224 offset1:240
	s_wait_dscnt 0x6
	v_pk_fma_f32 v[68:69], v[66:67], v[68:69], v[34:35] op_sel_hi:[1,0,1]
	v_pk_fma_f32 v[66:67], v[66:67], v[74:75], v[36:37] op_sel_hi:[1,0,1]
	ds_load_b128 v[34:37], v46 offset:64
	ds_load_2addr_b32 v[74:75], v53 offset1:16
	ds_load_b128 v[38:41], v46 offset:2112
	ds_load_2addr_b32 v[76:77], v53 offset0:96 offset1:112
	s_wait_dscnt 0x8
	v_pk_fma_f32 v[68:69], v[70:71], v[56:57], v[68:69] op_sel_hi:[1,0,1]
	s_wait_dscnt 0x7
	v_pk_fma_f32 v[66:67], v[70:71], v[60:61], v[66:67] op_sel_hi:[1,0,1]
	ds_load_2addr_b32 v[70:71], v53 offset0:32 offset1:48
	s_wait_dscnt 0x7
	v_pk_fma_f32 v[56:57], v[72:73], v[56:57], v[68:69] op_sel:[0,1,0]
	v_pk_fma_f32 v[60:61], v[72:73], v[60:61], v[66:67] op_sel:[0,1,0]
	ds_load_2addr_b32 v[66:67], v53 offset0:64 offset1:80
	v_dual_mov_b32 v68, v59 :: v_dual_mov_b32 v72, v63
	s_wait_dscnt 0x7
	v_pk_fma_f32 v[56:57], v[42:43], v[58:59], v[56:57] op_sel_hi:[1,0,1]
	v_pk_fma_f32 v[42:43], v[42:43], v[62:63], v[60:61] op_sel_hi:[1,0,1]
	s_wait_dscnt 0x6
	s_delay_alu instid0(VALU_DEP_2) | instskip(NEXT) | instid1(VALU_DEP_2)
	v_pk_fma_f32 v[68:69], v[64:65], v[68:69], v[56:57] op_sel_hi:[1,0,1]
	v_pk_fma_f32 v[42:43], v[64:65], v[72:73], v[42:43] op_sel_hi:[1,0,1]
	ds_load_b128 v[56:59], v46 offset:80
	ds_load_2addr_b32 v[64:65], v53 offset0:128 offset1:144
	ds_load_b128 v[60:63], v46 offset:2128
	ds_load_2addr_b32 v[72:73], v53 offset0:160 offset1:176
	v_add_nc_u32_e32 v27, 0xc00, v45
	s_wait_dscnt 0x8
	v_pk_fma_f32 v[68:69], v[74:75], v[34:35], v[68:69] op_sel_hi:[1,0,1]
	s_wait_dscnt 0x7
	v_pk_fma_f32 v[42:43], v[74:75], v[38:39], v[42:43] op_sel_hi:[1,0,1]
	s_wait_dscnt 0x5
	s_delay_alu instid0(VALU_DEP_2) | instskip(SKIP_1) | instid1(VALU_DEP_3)
	v_pk_fma_f32 v[34:35], v[70:71], v[34:35], v[68:69] op_sel:[0,1,0]
	v_mov_b32_e32 v68, v37
	v_pk_fma_f32 v[38:39], v[70:71], v[38:39], v[42:43] op_sel:[0,1,0]
	ds_load_2addr_b32 v[42:43], v53 offset0:192 offset1:208
	v_mov_b32_e32 v70, v41
	s_wait_dscnt 0x5
	v_pk_fma_f32 v[34:35], v[66:67], v[36:37], v[34:35] op_sel_hi:[1,0,1]
	v_pk_fma_f32 v[36:37], v[66:67], v[40:41], v[38:39] op_sel_hi:[1,0,1]
	ds_load_2addr_b32 v[66:67], v53 offset0:224 offset1:240
	v_pk_fma_f32 v[68:69], v[76:77], v[68:69], v[34:35] op_sel_hi:[1,0,1]
	v_pk_fma_f32 v[70:71], v[76:77], v[70:71], v[36:37] op_sel_hi:[1,0,1]
	s_wait_dscnt 0x4
	s_delay_alu instid0(VALU_DEP_2) | instskip(SKIP_1) | instid1(VALU_DEP_2)
	v_pk_fma_f32 v[68:69], v[64:65], v[56:57], v[68:69] op_sel_hi:[1,0,1]
	s_wait_dscnt 0x3
	v_pk_fma_f32 v[64:65], v[64:65], v[60:61], v[70:71] op_sel_hi:[1,0,1]
	s_wait_dscnt 0x2
	s_delay_alu instid0(VALU_DEP_2)
	v_pk_fma_f32 v[56:57], v[72:73], v[56:57], v[68:69] op_sel:[0,1,0]
	v_mov_b32_e32 v68, v59
	ds_load_b128 v[34:37], v46 offset:96
	ds_load_b128 v[38:41], v46 offset:2144
	ds_load_2addr_b32 v[74:75], v27 offset1:16
	ds_load_2addr_b32 v[70:71], v27 offset0:32 offset1:48
	v_pk_fma_f32 v[60:61], v[72:73], v[60:61], v[64:65] op_sel:[0,1,0]
	s_wait_dscnt 0x5
	v_pk_fma_f32 v[56:57], v[42:43], v[58:59], v[56:57] op_sel_hi:[1,0,1]
	ds_load_2addr_b32 v[64:65], v27 offset0:64 offset1:80
	v_mov_b32_e32 v72, v63
	ds_load_2addr_b32 v[76:77], v27 offset0:96 offset1:112
	v_pk_fma_f32 v[42:43], v[42:43], v[62:63], v[60:61] op_sel_hi:[1,0,1]
	s_wait_dscnt 0x6
	v_pk_fma_f32 v[68:69], v[66:67], v[68:69], v[56:57] op_sel_hi:[1,0,1]
	s_wait_dscnt 0x3
	s_delay_alu instid0(VALU_DEP_1) | instskip(SKIP_1) | instid1(VALU_DEP_1)
	v_pk_fma_f32 v[68:69], v[74:75], v[34:35], v[68:69] op_sel_hi:[1,0,1]
	s_wait_dscnt 0x2
	v_pk_fma_f32 v[34:35], v[70:71], v[34:35], v[68:69] op_sel:[0,1,0]
	v_mov_b32_e32 v68, v37
	v_pk_fma_f32 v[42:43], v[66:67], v[72:73], v[42:43] op_sel_hi:[1,0,1]
	ds_load_b128 v[56:59], v46 offset:112
	ds_load_b128 v[60:63], v46 offset:2160
	ds_load_2addr_b32 v[66:67], v27 offset0:128 offset1:144
	ds_load_2addr_b32 v[72:73], v27 offset0:160 offset1:176
	s_wait_dscnt 0x5
	v_pk_fma_f32 v[34:35], v[64:65], v[36:37], v[34:35] op_sel_hi:[1,0,1]
	v_pk_fma_f32 v[42:43], v[74:75], v[38:39], v[42:43] op_sel_hi:[1,0,1]
	s_wait_dscnt 0x4
	s_delay_alu instid0(VALU_DEP_2) | instskip(NEXT) | instid1(VALU_DEP_2)
	v_pk_fma_f32 v[34:35], v[76:77], v[68:69], v[34:35] op_sel_hi:[1,0,1]
	v_pk_fma_f32 v[38:39], v[70:71], v[38:39], v[42:43] op_sel:[0,1,0]
	ds_load_2addr_b32 v[42:43], v27 offset0:192 offset1:208
	v_mov_b32_e32 v70, v41
	v_pk_fma_f32 v[36:37], v[64:65], v[40:41], v[38:39] op_sel_hi:[1,0,1]
	ds_load_2addr_b32 v[38:39], v27 offset0:224 offset1:240
	s_wait_dscnt 0x0
	s_barrier_signal -1
	v_mov_b32_e32 v40, v59
	v_pk_fma_f32 v[36:37], v[76:77], v[70:71], v[36:37] op_sel_hi:[1,0,1]
	v_pk_fma_f32 v[34:35], v[66:67], v[56:57], v[34:35] op_sel_hi:[1,0,1]
	s_barrier_wait -1
	s_delay_alu instid0(VALU_DEP_2) | instskip(NEXT) | instid1(VALU_DEP_2)
	v_pk_fma_f32 v[36:37], v[66:67], v[60:61], v[36:37] op_sel_hi:[1,0,1]
	v_pk_fma_f32 v[34:35], v[72:73], v[56:57], v[34:35] op_sel:[0,1,0]
	v_mov_b32_e32 v56, v63
	s_delay_alu instid0(VALU_DEP_3) | instskip(NEXT) | instid1(VALU_DEP_3)
	v_pk_fma_f32 v[36:37], v[72:73], v[60:61], v[36:37] op_sel:[0,1,0]
	v_pk_fma_f32 v[34:35], v[42:43], v[58:59], v[34:35] op_sel_hi:[1,0,1]
	s_delay_alu instid0(VALU_DEP_2) | instskip(NEXT) | instid1(VALU_DEP_2)
	v_pk_fma_f32 v[42:43], v[42:43], v[62:63], v[36:37] op_sel_hi:[1,0,1]
	v_pk_fma_f32 v[36:37], v[38:39], v[40:41], v[34:35] op_sel_hi:[1,0,1]
	s_delay_alu instid0(VALU_DEP_2)
	v_pk_fma_f32 v[34:35], v[38:39], v[56:57], v[42:43] op_sel_hi:[1,0,1]
	s_cbranch_scc1 .LBB8_48
.LBB8_11:                               ;   Parent Loop BB8_4 Depth=1
                                        ;     Parent Loop BB8_8 Depth=2
                                        ; =>    This Inner Loop Header: Depth=3
	v_add_nc_u64_e32 v[42:43], s[46:47], v[0:1]
	v_cmp_eq_u64_e64 s7, s[46:47], v[8:9]
	v_add_nc_u64_e32 v[38:39], s[38:39], v[24:25]
                                        ; implicit-def: $vgpr27
	s_delay_alu instid0(VALU_DEP_3) | instskip(SKIP_3) | instid1(SALU_CYCLE_1)
	v_cmp_le_i64_e64 s6, s[42:43], v[42:43]
	v_cmp_lt_i64_e64 s5, v[42:43], v[2:3]
	s_and_b32 s55, s52, s7
	s_or_b32 s7, s6, s5
	s_or_b32 s7, s7, s55
	s_delay_alu instid0(SALU_CYCLE_1) | instskip(NEXT) | instid1(SALU_CYCLE_1)
	s_nor_b32 s7, s0, s7
	s_and_saveexec_b32 s8, s7
	s_delay_alu instid0(SALU_CYCLE_1)
	s_xor_b32 s7, exec_lo, s8
	s_cbranch_execz .LBB8_13
; %bb.12:                               ;   in Loop: Header=BB8_11 Depth=3
	global_load_b32 v27, v[38:39], off
.LBB8_13:                               ;   in Loop: Header=BB8_11 Depth=3
	s_wait_xcnt 0x0
	s_and_not1_saveexec_b32 s7, s7
	s_cbranch_execz .LBB8_15
; %bb.14:                               ;   in Loop: Header=BB8_11 Depth=3
	s_wait_loadcnt 0x0
	v_cndmask_b32_e64 v27, 0, 1.0, s55
.LBB8_15:                               ;   in Loop: Header=BB8_11 Depth=3
	s_or_b32 exec_lo, exec_lo, s7
	v_cmp_eq_u64_e64 s7, s[46:47], v[10:11]
	v_cmp_gt_i64_e64 s8, v[6:7], v[42:43]
	v_add_nc_u64_e32 v[40:41], s[38:39], v[22:23]
	s_wait_loadcnt 0x0
	ds_store_b32 v48, v27
	s_and_b32 s7, s52, s7
	s_or_b32 s6, s6, s8
	s_delay_alu instid0(SALU_CYCLE_1) | instskip(NEXT) | instid1(SALU_CYCLE_1)
	s_or_b32 s6, s6, s7
	s_nor_b32 s6, s3, s6
	s_delay_alu instid0(SALU_CYCLE_1) | instskip(NEXT) | instid1(SALU_CYCLE_1)
	s_and_saveexec_b32 s8, s6
	s_xor_b32 s6, exec_lo, s8
	s_cbranch_execz .LBB8_17
; %bb.16:                               ;   in Loop: Header=BB8_11 Depth=3
	global_load_b32 v27, v[40:41], off
	s_wait_loadcnt 0x0
	ds_store_b32 v48, v27 offset:64
.LBB8_17:                               ;   in Loop: Header=BB8_11 Depth=3
	s_wait_xcnt 0x0
	s_and_not1_saveexec_b32 s6, s6
	s_cbranch_execz .LBB8_23
; %bb.18:                               ;   in Loop: Header=BB8_11 Depth=3
	s_xor_b32 s7, s7, -1
	s_delay_alu instid0(SALU_CYCLE_1) | instskip(NEXT) | instid1(SALU_CYCLE_1)
	s_and_saveexec_b32 s8, s7
	s_xor_b32 s7, exec_lo, s8
; %bb.19:                               ;   in Loop: Header=BB8_11 Depth=3
	ds_store_b32 v48, v47 offset:64
; %bb.20:                               ;   in Loop: Header=BB8_11 Depth=3
	s_and_not1_saveexec_b32 s7, s7
; %bb.21:                               ;   in Loop: Header=BB8_11 Depth=3
	ds_store_b32 v48, v51 offset:64
; %bb.22:                               ;   in Loop: Header=BB8_11 Depth=3
	s_or_b32 exec_lo, exec_lo, s7
.LBB8_23:                               ;   in Loop: Header=BB8_11 Depth=3
	s_delay_alu instid0(SALU_CYCLE_1) | instskip(SKIP_2) | instid1(VALU_DEP_2)
	s_or_b32 exec_lo, exec_lo, s6
	v_add_nc_u64_e32 v[42:43], 16, v[42:43]
	v_cmp_eq_u64_e64 s7, s[46:47], v[12:13]
                                        ; implicit-def: $vgpr27
	v_cmp_le_i64_e64 s6, s[42:43], v[42:43]
	v_cmp_lt_i64_e64 s8, v[42:43], v[2:3]
	s_and_b32 s7, s52, s7
	s_or_b32 s8, s6, s8
	s_delay_alu instid0(SALU_CYCLE_1) | instskip(NEXT) | instid1(SALU_CYCLE_1)
	s_or_b32 s8, s8, s7
	s_nor_b32 s8, s0, s8
	s_delay_alu instid0(SALU_CYCLE_1) | instskip(NEXT) | instid1(SALU_CYCLE_1)
	s_and_saveexec_b32 s56, s8
	s_xor_b32 s8, exec_lo, s56
	s_cbranch_execz .LBB8_25
; %bb.24:                               ;   in Loop: Header=BB8_11 Depth=3
	global_load_b32 v27, v[38:39], off offset:64
.LBB8_25:                               ;   in Loop: Header=BB8_11 Depth=3
	s_wait_xcnt 0x0
	s_and_not1_saveexec_b32 s8, s8
	s_cbranch_execz .LBB8_27
; %bb.26:                               ;   in Loop: Header=BB8_11 Depth=3
	s_wait_loadcnt 0x0
	v_cndmask_b32_e64 v27, 0, 1.0, s7
.LBB8_27:                               ;   in Loop: Header=BB8_11 Depth=3
	s_or_b32 exec_lo, exec_lo, s8
	s_or_b32 s5, s6, s5
	s_wait_loadcnt 0x0
	ds_store_b32 v48, v27 offset:2048
	s_or_b32 s5, s5, s55
	s_delay_alu instid0(SALU_CYCLE_1) | instskip(NEXT) | instid1(SALU_CYCLE_1)
	s_nor_b32 s5, s3, s5
	s_and_saveexec_b32 s6, s5
	s_delay_alu instid0(SALU_CYCLE_1)
	s_xor_b32 s5, exec_lo, s6
	s_cbranch_execz .LBB8_29
; %bb.28:                               ;   in Loop: Header=BB8_11 Depth=3
	global_load_b32 v27, v[40:41], off offset:64
	s_wait_loadcnt 0x0
	ds_store_b32 v48, v27 offset:2112
.LBB8_29:                               ;   in Loop: Header=BB8_11 Depth=3
	s_wait_xcnt 0x0
	s_and_not1_saveexec_b32 s5, s5
	s_cbranch_execz .LBB8_35
; %bb.30:                               ;   in Loop: Header=BB8_11 Depth=3
	s_xor_b32 s6, s55, -1
	s_delay_alu instid0(SALU_CYCLE_1) | instskip(NEXT) | instid1(SALU_CYCLE_1)
	s_and_saveexec_b32 s7, s6
	s_xor_b32 s6, exec_lo, s7
; %bb.31:                               ;   in Loop: Header=BB8_11 Depth=3
	ds_store_b32 v48, v47 offset:2112
; %bb.32:                               ;   in Loop: Header=BB8_11 Depth=3
	s_and_not1_saveexec_b32 s6, s6
; %bb.33:                               ;   in Loop: Header=BB8_11 Depth=3
	ds_store_b32 v48, v51 offset:2112
; %bb.34:                               ;   in Loop: Header=BB8_11 Depth=3
	s_or_b32 exec_lo, exec_lo, s6
.LBB8_35:                               ;   in Loop: Header=BB8_11 Depth=3
	s_delay_alu instid0(SALU_CYCLE_1) | instskip(SKIP_3) | instid1(VALU_DEP_3)
	s_or_b32 exec_lo, exec_lo, s5
	v_add_nc_u64_e32 v[40:41], s[46:47], v[2:3]
	v_add_nc_u64_e32 v[38:39], s[38:39], v[30:31]
	v_mov_b32_e32 v27, 0
	v_cmp_gt_i64_e64 s5, s[42:43], v[40:41]
	s_and_b32 s7, vcc_lo, s5
	s_delay_alu instid0(SALU_CYCLE_1)
	s_and_saveexec_b32 s6, s7
	s_cbranch_execz .LBB8_37
; %bb.36:                               ;   in Loop: Header=BB8_11 Depth=3
	global_load_b32 v27, v[38:39], off offset:-64
.LBB8_37:                               ;   in Loop: Header=BB8_11 Depth=3
	s_wait_xcnt 0x0
	s_or_b32 exec_lo, exec_lo, s6
	v_cmp_gt_i64_e64 s6, s[20:21], v[40:41]
	s_wait_loadcnt 0x0
	ds_store_b32 v49, v27
	s_and_b32 s7, vcc_lo, s6
	s_delay_alu instid0(SALU_CYCLE_1) | instskip(NEXT) | instid1(SALU_CYCLE_1)
	s_xor_b32 s7, s7, -1
	s_and_saveexec_b32 s8, s7
	s_delay_alu instid0(SALU_CYCLE_1)
	s_xor_b32 s7, exec_lo, s8
; %bb.38:                               ;   in Loop: Header=BB8_11 Depth=3
	ds_store_b32 v49, v47 offset:64
                                        ; implicit-def: $vgpr38_vgpr39
; %bb.39:                               ;   in Loop: Header=BB8_11 Depth=3
	s_and_not1_saveexec_b32 s7, s7
	s_cbranch_execz .LBB8_41
; %bb.40:                               ;   in Loop: Header=BB8_11 Depth=3
	global_load_b32 v27, v[38:39], off
	s_wait_loadcnt 0x0
	ds_store_b32 v49, v27 offset:64
.LBB8_41:                               ;   in Loop: Header=BB8_11 Depth=3
	s_wait_xcnt 0x0
	s_or_b32 exec_lo, exec_lo, s7
	v_add_nc_u64_e32 v[38:39], s[38:39], v[32:33]
	v_mov_b32_e32 v27, 0
	s_and_b32 s7, s4, s5
	s_delay_alu instid0(SALU_CYCLE_1)
	s_and_saveexec_b32 s5, s7
	s_cbranch_execz .LBB8_43
; %bb.42:                               ;   in Loop: Header=BB8_11 Depth=3
	global_load_b32 v27, v[38:39], off offset:-64
.LBB8_43:                               ;   in Loop: Header=BB8_11 Depth=3
	s_wait_xcnt 0x0
	s_or_b32 exec_lo, exec_lo, s5
	s_and_b32 s5, s4, s6
	s_wait_loadcnt 0x0
	ds_store_b32 v49, v27 offset:2048
	s_xor_b32 s5, s5, -1
	s_delay_alu instid0(SALU_CYCLE_1) | instskip(NEXT) | instid1(SALU_CYCLE_1)
	s_and_saveexec_b32 s6, s5
	s_xor_b32 s5, exec_lo, s6
; %bb.44:                               ;   in Loop: Header=BB8_11 Depth=3
	ds_store_b32 v49, v47 offset:2112
                                        ; implicit-def: $vgpr38_vgpr39
; %bb.45:                               ;   in Loop: Header=BB8_11 Depth=3
	s_and_not1_saveexec_b32 s5, s5
	s_cbranch_execz .LBB8_10
; %bb.46:                               ;   in Loop: Header=BB8_11 Depth=3
	global_load_b32 v27, v[38:39], off
	s_wait_loadcnt 0x0
	ds_store_b32 v49, v27 offset:2112
	s_branch .LBB8_10
.LBB8_47:                               ;   in Loop: Header=BB8_8 Depth=2
	v_mov_b32_e32 v37, 0
	s_delay_alu instid0(VALU_DEP_1)
	v_dual_mov_b32 v36, v37 :: v_dual_mov_b32 v35, v37
	v_mov_b32_e32 v34, v37
.LBB8_48:                               ;   in Loop: Header=BB8_8 Depth=2
	v_mul_u64_e32 v[30:31], s[28:29], v[28:29]
	v_cmp_gt_i32_e32 vcc_lo, s10, v28
	s_and_b32 s5, s1, vcc_lo
	s_delay_alu instid0(VALU_DEP_2)
	v_lshl_add_u64 v[30:31], v[30:31], 2, s[26:27]
	s_and_saveexec_b32 s4, s5
	s_cbranch_execz .LBB8_50
; %bb.49:                               ;   in Loop: Header=BB8_8 Depth=2
	s_delay_alu instid0(VALU_DEP_1)
	v_lshl_add_u64 v[32:33], v[2:3], 2, v[30:31]
	global_load_b32 v27, v[32:33], off
	s_wait_loadcnt 0x0
	v_fmac_f32_e32 v27, v54, v36
	global_store_b32 v[32:33], v27, off
.LBB8_50:                               ;   in Loop: Header=BB8_8 Depth=2
	s_wait_xcnt 0x0
	s_or_b32 exec_lo, exec_lo, s4
	s_and_b32 s5, s2, vcc_lo
	s_delay_alu instid0(SALU_CYCLE_1)
	s_and_saveexec_b32 s4, s5
	s_cbranch_execz .LBB8_52
; %bb.51:                               ;   in Loop: Header=BB8_8 Depth=2
	v_lshl_add_u64 v[30:31], v[4:5], 2, v[30:31]
	global_load_b32 v27, v[30:31], off
	s_wait_loadcnt 0x0
	v_fmac_f32_e32 v27, v54, v37
	global_store_b32 v[30:31], v27, off
.LBB8_52:                               ;   in Loop: Header=BB8_8 Depth=2
	s_wait_xcnt 0x0
	s_or_b32 exec_lo, exec_lo, s4
	v_add_nc_u32_e32 v28, 16, v28
	s_delay_alu instid0(VALU_DEP_1) | instskip(SKIP_1) | instid1(VALU_DEP_2)
	v_ashrrev_i32_e32 v29, 31, v28
	v_cmp_gt_i32_e32 vcc_lo, s10, v28
	v_mul_u64_e32 v[30:31], s[28:29], v[28:29]
	s_and_b32 s5, s1, vcc_lo
	s_delay_alu instid0(VALU_DEP_1)
	v_lshl_add_u64 v[28:29], v[30:31], 2, s[26:27]
	s_and_saveexec_b32 s4, s5
	s_cbranch_execz .LBB8_54
; %bb.53:                               ;   in Loop: Header=BB8_8 Depth=2
	s_delay_alu instid0(VALU_DEP_1)
	v_lshl_add_u64 v[30:31], v[2:3], 2, v[28:29]
	global_load_b32 v27, v[30:31], off
	s_wait_loadcnt 0x0
	v_fmac_f32_e32 v27, v54, v34
	global_store_b32 v[30:31], v27, off
.LBB8_54:                               ;   in Loop: Header=BB8_8 Depth=2
	s_wait_xcnt 0x0
	s_or_b32 exec_lo, exec_lo, s4
	s_and_b32 s5, s2, vcc_lo
	s_delay_alu instid0(SALU_CYCLE_1)
	s_and_saveexec_b32 s4, s5
	s_cbranch_execz .LBB8_7
; %bb.55:                               ;   in Loop: Header=BB8_8 Depth=2
	v_lshl_add_u64 v[28:29], v[4:5], 2, v[28:29]
	global_load_b32 v27, v[28:29], off
	s_wait_loadcnt 0x0
	v_fmac_f32_e32 v27, v54, v35
	global_store_b32 v[28:29], v27, off
	s_branch .LBB8_7
.LBB8_56:
	s_sendmsg sendmsg(MSG_DEALLOC_VGPRS)
	s_endpgm
	.section	.rodata,"a",@progbits
	.p2align	6, 0x0
	.amdhsa_kernel _ZL30rocblas_trmm_outofplace_kernelIfLi32ELi2ELb1ELb0ELb1ELb1EPKfS0_fEv17rocblas_diagonal_iiT6_lPT7_lllS5_lllPT8_llli
		.amdhsa_group_segment_fixed_size 8192
		.amdhsa_private_segment_fixed_size 0
		.amdhsa_kernarg_size 392
		.amdhsa_user_sgpr_count 2
		.amdhsa_user_sgpr_dispatch_ptr 0
		.amdhsa_user_sgpr_queue_ptr 0
		.amdhsa_user_sgpr_kernarg_segment_ptr 1
		.amdhsa_user_sgpr_dispatch_id 0
		.amdhsa_user_sgpr_kernarg_preload_length 0
		.amdhsa_user_sgpr_kernarg_preload_offset 0
		.amdhsa_user_sgpr_private_segment_size 0
		.amdhsa_wavefront_size32 1
		.amdhsa_uses_dynamic_stack 0
		.amdhsa_enable_private_segment 0
		.amdhsa_system_sgpr_workgroup_id_x 1
		.amdhsa_system_sgpr_workgroup_id_y 1
		.amdhsa_system_sgpr_workgroup_id_z 1
		.amdhsa_system_sgpr_workgroup_info 0
		.amdhsa_system_vgpr_workitem_id 1
		.amdhsa_next_free_vgpr 78
		.amdhsa_next_free_sgpr 57
		.amdhsa_named_barrier_count 0
		.amdhsa_reserve_vcc 1
		.amdhsa_float_round_mode_32 0
		.amdhsa_float_round_mode_16_64 0
		.amdhsa_float_denorm_mode_32 3
		.amdhsa_float_denorm_mode_16_64 3
		.amdhsa_fp16_overflow 0
		.amdhsa_memory_ordered 1
		.amdhsa_forward_progress 1
		.amdhsa_inst_pref_size 26
		.amdhsa_round_robin_scheduling 0
		.amdhsa_exception_fp_ieee_invalid_op 0
		.amdhsa_exception_fp_denorm_src 0
		.amdhsa_exception_fp_ieee_div_zero 0
		.amdhsa_exception_fp_ieee_overflow 0
		.amdhsa_exception_fp_ieee_underflow 0
		.amdhsa_exception_fp_ieee_inexact 0
		.amdhsa_exception_int_div_zero 0
	.end_amdhsa_kernel
	.section	.text._ZL30rocblas_trmm_outofplace_kernelIfLi32ELi2ELb1ELb0ELb1ELb1EPKfS0_fEv17rocblas_diagonal_iiT6_lPT7_lllS5_lllPT8_llli,"axG",@progbits,_ZL30rocblas_trmm_outofplace_kernelIfLi32ELi2ELb1ELb0ELb1ELb1EPKfS0_fEv17rocblas_diagonal_iiT6_lPT7_lllS5_lllPT8_llli,comdat
.Lfunc_end8:
	.size	_ZL30rocblas_trmm_outofplace_kernelIfLi32ELi2ELb1ELb0ELb1ELb1EPKfS0_fEv17rocblas_diagonal_iiT6_lPT7_lllS5_lllPT8_llli, .Lfunc_end8-_ZL30rocblas_trmm_outofplace_kernelIfLi32ELi2ELb1ELb0ELb1ELb1EPKfS0_fEv17rocblas_diagonal_iiT6_lPT7_lllS5_lllPT8_llli
                                        ; -- End function
	.set _ZL30rocblas_trmm_outofplace_kernelIfLi32ELi2ELb1ELb0ELb1ELb1EPKfS0_fEv17rocblas_diagonal_iiT6_lPT7_lllS5_lllPT8_llli.num_vgpr, 78
	.set _ZL30rocblas_trmm_outofplace_kernelIfLi32ELi2ELb1ELb0ELb1ELb1EPKfS0_fEv17rocblas_diagonal_iiT6_lPT7_lllS5_lllPT8_llli.num_agpr, 0
	.set _ZL30rocblas_trmm_outofplace_kernelIfLi32ELi2ELb1ELb0ELb1ELb1EPKfS0_fEv17rocblas_diagonal_iiT6_lPT7_lllS5_lllPT8_llli.numbered_sgpr, 57
	.set _ZL30rocblas_trmm_outofplace_kernelIfLi32ELi2ELb1ELb0ELb1ELb1EPKfS0_fEv17rocblas_diagonal_iiT6_lPT7_lllS5_lllPT8_llli.num_named_barrier, 0
	.set _ZL30rocblas_trmm_outofplace_kernelIfLi32ELi2ELb1ELb0ELb1ELb1EPKfS0_fEv17rocblas_diagonal_iiT6_lPT7_lllS5_lllPT8_llli.private_seg_size, 0
	.set _ZL30rocblas_trmm_outofplace_kernelIfLi32ELi2ELb1ELb0ELb1ELb1EPKfS0_fEv17rocblas_diagonal_iiT6_lPT7_lllS5_lllPT8_llli.uses_vcc, 1
	.set _ZL30rocblas_trmm_outofplace_kernelIfLi32ELi2ELb1ELb0ELb1ELb1EPKfS0_fEv17rocblas_diagonal_iiT6_lPT7_lllS5_lllPT8_llli.uses_flat_scratch, 0
	.set _ZL30rocblas_trmm_outofplace_kernelIfLi32ELi2ELb1ELb0ELb1ELb1EPKfS0_fEv17rocblas_diagonal_iiT6_lPT7_lllS5_lllPT8_llli.has_dyn_sized_stack, 0
	.set _ZL30rocblas_trmm_outofplace_kernelIfLi32ELi2ELb1ELb0ELb1ELb1EPKfS0_fEv17rocblas_diagonal_iiT6_lPT7_lllS5_lllPT8_llli.has_recursion, 0
	.set _ZL30rocblas_trmm_outofplace_kernelIfLi32ELi2ELb1ELb0ELb1ELb1EPKfS0_fEv17rocblas_diagonal_iiT6_lPT7_lllS5_lllPT8_llli.has_indirect_call, 0
	.section	.AMDGPU.csdata,"",@progbits
; Kernel info:
; codeLenInByte = 3208
; TotalNumSgprs: 59
; NumVgprs: 78
; ScratchSize: 0
; MemoryBound: 0
; FloatMode: 240
; IeeeMode: 1
; LDSByteSize: 8192 bytes/workgroup (compile time only)
; SGPRBlocks: 0
; VGPRBlocks: 4
; NumSGPRsForWavesPerEU: 59
; NumVGPRsForWavesPerEU: 78
; NamedBarCnt: 0
; Occupancy: 12
; WaveLimiterHint : 0
; COMPUTE_PGM_RSRC2:SCRATCH_EN: 0
; COMPUTE_PGM_RSRC2:USER_SGPR: 2
; COMPUTE_PGM_RSRC2:TRAP_HANDLER: 0
; COMPUTE_PGM_RSRC2:TGID_X_EN: 1
; COMPUTE_PGM_RSRC2:TGID_Y_EN: 1
; COMPUTE_PGM_RSRC2:TGID_Z_EN: 1
; COMPUTE_PGM_RSRC2:TIDIG_COMP_CNT: 1
	.section	.text._ZL30rocblas_trmm_outofplace_kernelIfLi32ELi2ELb1ELb0ELb1ELb1EfKffEv17rocblas_diagonal_iiT6_lPT7_lllS4_lllPT8_llli,"axG",@progbits,_ZL30rocblas_trmm_outofplace_kernelIfLi32ELi2ELb1ELb0ELb1ELb1EfKffEv17rocblas_diagonal_iiT6_lPT7_lllS4_lllPT8_llli,comdat
	.globl	_ZL30rocblas_trmm_outofplace_kernelIfLi32ELi2ELb1ELb0ELb1ELb1EfKffEv17rocblas_diagonal_iiT6_lPT7_lllS4_lllPT8_llli ; -- Begin function _ZL30rocblas_trmm_outofplace_kernelIfLi32ELi2ELb1ELb0ELb1ELb1EfKffEv17rocblas_diagonal_iiT6_lPT7_lllS4_lllPT8_llli
	.p2align	8
	.type	_ZL30rocblas_trmm_outofplace_kernelIfLi32ELi2ELb1ELb0ELb1ELb1EfKffEv17rocblas_diagonal_iiT6_lPT7_lllS4_lllPT8_llli,@function
_ZL30rocblas_trmm_outofplace_kernelIfLi32ELi2ELb1ELb0ELb1ELb1EfKffEv17rocblas_diagonal_iiT6_lPT7_lllS4_lllPT8_llli: ; @_ZL30rocblas_trmm_outofplace_kernelIfLi32ELi2ELb1ELb0ELb1ELb1EfKffEv17rocblas_diagonal_iiT6_lPT7_lllS4_lllPT8_llli
; %bb.0:
	s_load_b32 s33, s[0:1], 0x78
	s_bfe_u32 s2, ttmp6, 0x40014
	s_lshr_b32 s3, ttmp7, 16
	s_add_co_i32 s2, s2, 1
	s_bfe_u32 s5, ttmp6, 0x40008
	s_mul_i32 s4, s3, s2
	s_getreg_b32 s2, hwreg(HW_REG_IB_STS2, 6, 4)
	s_add_co_i32 s5, s5, s4
	s_cmp_eq_u32 s2, 0
	s_cselect_b32 s34, s3, s5
	s_wait_kmcnt 0x0
	s_cmp_ge_u32 s34, s33
	s_cbranch_scc1 .LBB9_55
; %bb.1:
	s_load_b128 s[28:31], s[0:1], 0x0
	s_wait_kmcnt 0x0
	s_cmp_eq_f32 s31, 0
	s_cbranch_scc1 .LBB9_55
; %bb.2:
	s_add_co_i32 s3, s30, -1
	s_bfe_u32 s6, ttmp6, 0x4000c
	s_ashr_i32 s5, s3, 31
	s_bfe_u32 s7, ttmp6, 0x40010
	s_lshr_b32 s5, s5, 27
	s_add_co_i32 s6, s6, 1
	s_add_co_i32 s3, s3, s5
	;; [unrolled: 1-line block ×3, first 2 shown]
	s_ashr_i32 s44, s3, 5
	s_and_b32 s3, ttmp7, 0xffff
	s_and_b32 s4, ttmp6, 15
	s_mul_i32 s5, ttmp9, s6
	s_mul_i32 s6, s3, s7
	s_bfe_u32 s7, ttmp6, 0x40004
	s_add_co_i32 s4, s4, s5
	s_add_co_i32 s7, s7, s6
	s_cmp_eq_u32 s2, 0
	v_and_b32_e32 v1, 0x3ff, v0
	s_cselect_b32 s45, s3, s7
	s_cselect_b32 s2, ttmp9, s4
	s_cmp_le_i32 s45, s44
	s_load_b512 s[4:19], s[0:1], 0x18
	s_cselect_b32 s46, -1, 0
	s_lshl_b32 s37, s2, 5
	v_bfe_u32 v44, v0, 10, 10
	v_dual_add_nc_u32 v2, s37, v1 :: v_dual_lshlrev_b32 v45, 2, v1
	s_sub_co_i32 s47, s29, s37
	s_load_b256 s[20:27], s[0:1], 0x58
	s_delay_alu instid0(VALU_DEP_1)
	v_dual_lshlrev_b32 v0, 7, v44 :: v_dual_ashrrev_i32 v3, 31, v2
	s_cmp_gt_i32 s47, 0
	v_mov_b32_e32 v46, 0
	s_cselect_b32 s48, -1, 0
	s_cmp_eq_u32 s28, 0x84
	v_lshlrev_b64_e32 v[10:11], 2, v[2:3]
	s_cselect_b32 s49, -1, 0
	v_dual_mov_b32 v48, 1.0 :: v_dual_add_nc_u32 v47, 0x1000, v0
	v_add_nc_u32_e32 v49, v45, v0
	v_add_nc_u32_e32 v0, s37, v44
	s_wait_kmcnt 0x0
	v_mul_u64_e32 v[6:7], s[8:9], v[2:3]
	v_add_nc_u64_e32 v[4:5], 64, v[10:11]
	s_lshl_b64 s[2:3], s[6:7], 2
	v_dual_add_nc_u32 v51, v47, v45 :: v_dual_ashrrev_i32 v1, 31, v0
	s_mov_b32 s36, s29
	s_ashr_i32 s37, s29, 31
	s_lshl_b64 s[6:7], s[22:23], 2
	s_delay_alu instid0(VALU_DEP_2)
	v_mad_nc_u64_u32 v[12:13], s8, v4, s[2:3]
	s_lshl_b64 s[22:23], s[14:15], 2
	s_add_nc_u64 s[14:15], s[20:21], s[6:7]
	s_add_nc_u64 s[6:7], s[12:13], s[22:23]
	;; [unrolled: 1-line block ×3, first 2 shown]
	v_add_nc_u64_e32 v[18:19], s[6:7], v[10:11]
	v_lshl_add_u32 v50, s45, 5, v44
	v_cmp_le_i32_e64 s0, s29, v2
	v_cmp_gt_i32_e64 s1, s29, v2
	v_add_nc_u32_e32 v52, 0x400, v45
	v_add_nc_u32_e32 v53, 0x800, v45
	v_mad_u32 v8, s9, v4, v13
	v_add_nc_u32_e32 v4, 16, v2
	v_lshlrev_b64_e32 v[14:15], 2, v[0:1]
	v_add_nc_u32_e32 v54, 0xc00, v45
	s_mov_b32 s35, 0
	s_mov_b32 s38, s30
	s_ashr_i32 s39, s30, 31
	s_add_nc_u64 s[20:21], s[36:37], -16
	s_lshl_b64 s[12:13], s[18:19], 2
	s_lshl_b64 s[18:19], s[16:17], 2
	;; [unrolled: 1-line block ×3, first 2 shown]
	v_mad_u32 v13, s8, v5, v8
	v_sub_nc_u64_e32 v[8:9], v[2:3], v[0:1]
	v_lshl_add_u64 v[16:17], v[6:7], 2, s[2:3]
	v_add_nc_u64_e32 v[6:7], 16, v[2:3]
	v_cmp_gt_i32_e64 s2, s29, v4
	v_ashrrev_i32_e32 v5, 31, v4
	s_delay_alu instid0(VALU_DEP_4)
	v_add_nc_u64_e32 v[16:17], v[16:17], v[14:15]
	v_add_nc_u64_e32 v[10:11], 16, v[8:9]
	v_cmp_le_i64_e64 s3, s[36:37], v[6:7]
	v_add_nc_u64_e32 v[20:21], v[12:13], v[14:15]
	v_add_nc_u64_e32 v[12:13], -16, v[8:9]
	v_add_nc_u64_e32 v[14:15], 64, v[18:19]
	v_add_nc_u64_e32 v[16:17], s[4:5], v[16:17]
	s_delay_alu instid0(VALU_DEP_4)
	v_add_nc_u64_e32 v[18:19], s[4:5], v[20:21]
	s_branch .LBB9_4
.LBB9_3:                                ;   in Loop: Header=BB9_4 Depth=1
	s_add_co_i32 s34, s34, 0x10000
	s_delay_alu instid0(SALU_CYCLE_1)
	s_cmp_ge_u32 s34, s33
	s_cbranch_scc1 .LBB9_55
.LBB9_4:                                ; =>This Loop Header: Depth=1
                                        ;     Child Loop BB9_7 Depth 2
                                        ;       Child Loop BB9_10 Depth 3
	s_and_not1_b32 vcc_lo, exec_lo, s46
	s_cbranch_vccnz .LBB9_3
; %bb.5:                                ;   in Loop: Header=BB9_4 Depth=1
	s_load_b32 s9, s[40:41], 0x4
	v_mad_nc_u64_u32 v[20:21], s12, s34, v[14:15]
	s_delay_alu instid0(VALU_DEP_2)
	v_mad_nc_u64_u32 v[22:23], s10, s34, v[18:19]
	v_mad_nc_u64_u32 v[24:25], s10, s34, v[16:17]
	s_mul_i32 s6, s11, s34
	s_mul_u64 s[4:5], s[26:27], s[34:35]
	v_mov_b32_e32 v26, v50
	s_lshl_b64 s[4:5], s[4:5], 2
	s_mov_b32 s51, s45
	s_add_nc_u64 s[22:23], s[14:15], s[4:5]
	s_delay_alu instid0(VALU_DEP_4) | instskip(NEXT) | instid1(VALU_DEP_3)
	v_mad_u32 v21, s13, s34, v21
	v_dual_add_nc_u32 v23, s6, v23 :: v_dual_add_nc_u32 v25, s6, v25
	s_wait_kmcnt 0x0
	s_lshl_b32 s50, s9, 5
	s_branch .LBB9_7
.LBB9_6:                                ;   in Loop: Header=BB9_7 Depth=2
	s_wait_xcnt 0x0
	s_or_b32 exec_lo, exec_lo, s4
	v_add_nc_u32_e32 v26, s50, v26
	s_add_co_i32 s51, s9, s51
	s_delay_alu instid0(SALU_CYCLE_1)
	s_cmp_gt_i32 s51, s44
	s_cbranch_scc1 .LBB9_3
.LBB9_7:                                ;   Parent Loop BB9_4 Depth=1
                                        ; =>  This Loop Header: Depth=2
                                        ;       Child Loop BB9_10 Depth 3
	v_lshl_add_u32 v28, s51, 5, v44
	s_and_not1_b32 vcc_lo, exec_lo, s48
	s_delay_alu instid0(VALU_DEP_1)
	v_ashrrev_i32_e32 v29, 31, v28
	s_cbranch_vccnz .LBB9_46
; %bb.8:                                ;   in Loop: Header=BB9_7 Depth=2
	v_ashrrev_i32_e32 v27, 31, v26
	v_mad_nc_u64_u32 v[30:31], s18, v26, v[20:21]
	s_delay_alu instid0(VALU_DEP_3) | instskip(SKIP_3) | instid1(VALU_DEP_2)
	v_sub_nc_u64_e32 v[36:37], s[38:39], v[28:29]
	s_mov_b64 s[28:29], 0
	s_mov_b64 s[42:43], 0
	v_lshl_add_u64 v[34:35], v[26:27], 2, 64
	v_cmp_lt_i64_e64 s4, 16, v[36:37]
	s_delay_alu instid0(VALU_DEP_2) | instskip(SKIP_2) | instid1(VALU_DEP_3)
	v_mad_nc_u64_u32 v[32:33], s16, v34, v[20:21]
	v_cmp_lt_i64_e32 vcc_lo, 0, v[36:37]
	v_mad_u32 v31, s19, v26, v31
	v_mad_u32 v33, s17, v34, v33
	v_mov_b32_e32 v34, 0
	s_delay_alu instid0(VALU_DEP_3) | instskip(NEXT) | instid1(VALU_DEP_2)
	v_mad_u32 v31, s18, v27, v31
	v_dual_mov_b32 v37, v34 :: v_dual_mov_b32 v36, v34
	s_delay_alu instid0(VALU_DEP_4)
	v_mad_u32 v33, s16, v35, v33
	v_mov_b32_e32 v35, v34
	s_branch .LBB9_10
.LBB9_9:                                ;   in Loop: Header=BB9_10 Depth=3
	s_wait_xcnt 0x0
	s_or_b32 exec_lo, exec_lo, s5
	s_wait_dscnt 0x0
	s_barrier_signal -1
	s_barrier_wait -1
	ds_load_b128 v[38:41], v47
	ds_load_2addr_b32 v[42:43], v45 offset1:16
	ds_load_b128 v[56:59], v47 offset:2048
	ds_load_2addr_b32 v[68:69], v45 offset0:32 offset1:48
	ds_load_2addr_b32 v[70:71], v45 offset0:64 offset1:80
	;; [unrolled: 1-line block ×3, first 2 shown]
	ds_load_b128 v[60:63], v47 offset:16
	ds_load_2addr_b32 v[74:75], v45 offset0:128 offset1:144
	ds_load_b128 v[64:67], v47 offset:2064
	s_add_nc_u64 s[42:43], s[42:43], 32
	s_add_nc_u64 s[28:29], s[28:29], 0x80
	s_cmp_ge_i32 s42, s47
	s_wait_dscnt 0x7
	v_pk_fma_f32 v[36:37], v[42:43], v[38:39], v[36:37] op_sel_hi:[1,0,1]
	s_wait_dscnt 0x6
	v_pk_fma_f32 v[34:35], v[42:43], v[56:57], v[34:35] op_sel_hi:[1,0,1]
	ds_load_2addr_b32 v[42:43], v45 offset0:160 offset1:176
	s_wait_dscnt 0x6
	v_pk_fma_f32 v[36:37], v[68:69], v[38:39], v[36:37] op_sel:[0,1,0]
	v_pk_fma_f32 v[34:35], v[68:69], v[56:57], v[34:35] op_sel:[0,1,0]
	ds_load_2addr_b32 v[56:57], v45 offset0:192 offset1:208
	v_dual_mov_b32 v38, v41 :: v_dual_mov_b32 v68, v59
	s_wait_dscnt 0x6
	v_pk_fma_f32 v[36:37], v[70:71], v[40:41], v[36:37] op_sel_hi:[1,0,1]
	v_pk_fma_f32 v[34:35], v[70:71], v[58:59], v[34:35] op_sel_hi:[1,0,1]
	ds_load_2addr_b32 v[58:59], v45 offset0:224 offset1:240
	s_wait_dscnt 0x6
	v_pk_fma_f32 v[70:71], v[72:73], v[38:39], v[36:37] op_sel_hi:[1,0,1]
	v_pk_fma_f32 v[68:69], v[72:73], v[68:69], v[34:35] op_sel_hi:[1,0,1]
	ds_load_b128 v[34:37], v47 offset:32
	ds_load_2addr_b32 v[72:73], v52 offset1:16
	ds_load_b128 v[38:41], v47 offset:2080
	s_wait_dscnt 0x7
	v_pk_fma_f32 v[70:71], v[74:75], v[60:61], v[70:71] op_sel_hi:[1,0,1]
	s_wait_dscnt 0x6
	v_pk_fma_f32 v[68:69], v[74:75], v[64:65], v[68:69] op_sel_hi:[1,0,1]
	ds_load_2addr_b32 v[74:75], v52 offset0:32 offset1:48
	s_wait_dscnt 0x6
	v_pk_fma_f32 v[60:61], v[42:43], v[60:61], v[70:71] op_sel:[0,1,0]
	v_pk_fma_f32 v[42:43], v[42:43], v[64:65], v[68:69] op_sel:[0,1,0]
	ds_load_2addr_b32 v[64:65], v52 offset0:64 offset1:80
	v_dual_mov_b32 v68, v63 :: v_dual_mov_b32 v70, v67
	s_wait_dscnt 0x6
	v_pk_fma_f32 v[60:61], v[56:57], v[62:63], v[60:61] op_sel_hi:[1,0,1]
	v_pk_fma_f32 v[42:43], v[56:57], v[66:67], v[42:43] op_sel_hi:[1,0,1]
	ds_load_2addr_b32 v[66:67], v52 offset0:96 offset1:112
	s_wait_dscnt 0x6
	v_pk_fma_f32 v[68:69], v[58:59], v[68:69], v[60:61] op_sel_hi:[1,0,1]
	v_pk_fma_f32 v[42:43], v[58:59], v[70:71], v[42:43] op_sel_hi:[1,0,1]
	ds_load_b128 v[56:59], v47 offset:48
	ds_load_2addr_b32 v[70:71], v52 offset0:128 offset1:144
	ds_load_b128 v[60:63], v47 offset:2096
	s_wait_dscnt 0x7
	v_pk_fma_f32 v[68:69], v[72:73], v[34:35], v[68:69] op_sel_hi:[1,0,1]
	s_wait_dscnt 0x6
	v_pk_fma_f32 v[42:43], v[72:73], v[38:39], v[42:43] op_sel_hi:[1,0,1]
	ds_load_2addr_b32 v[72:73], v52 offset0:160 offset1:176
	s_wait_dscnt 0x6
	v_pk_fma_f32 v[34:35], v[74:75], v[34:35], v[68:69] op_sel:[0,1,0]
	v_pk_fma_f32 v[38:39], v[74:75], v[38:39], v[42:43] op_sel:[0,1,0]
	ds_load_2addr_b32 v[42:43], v52 offset0:192 offset1:208
	v_dual_mov_b32 v68, v37 :: v_dual_mov_b32 v74, v41
	s_wait_dscnt 0x6
	v_pk_fma_f32 v[34:35], v[64:65], v[36:37], v[34:35] op_sel_hi:[1,0,1]
	v_pk_fma_f32 v[36:37], v[64:65], v[40:41], v[38:39] op_sel_hi:[1,0,1]
	ds_load_2addr_b32 v[64:65], v52 offset0:224 offset1:240
	s_wait_dscnt 0x6
	v_pk_fma_f32 v[68:69], v[66:67], v[68:69], v[34:35] op_sel_hi:[1,0,1]
	v_pk_fma_f32 v[66:67], v[66:67], v[74:75], v[36:37] op_sel_hi:[1,0,1]
	ds_load_b128 v[34:37], v47 offset:64
	ds_load_2addr_b32 v[74:75], v53 offset1:16
	ds_load_b128 v[38:41], v47 offset:2112
	ds_load_2addr_b32 v[76:77], v53 offset0:96 offset1:112
	s_wait_dscnt 0x8
	v_pk_fma_f32 v[68:69], v[70:71], v[56:57], v[68:69] op_sel_hi:[1,0,1]
	s_wait_dscnt 0x7
	v_pk_fma_f32 v[66:67], v[70:71], v[60:61], v[66:67] op_sel_hi:[1,0,1]
	ds_load_2addr_b32 v[70:71], v53 offset0:32 offset1:48
	s_wait_dscnt 0x7
	v_pk_fma_f32 v[56:57], v[72:73], v[56:57], v[68:69] op_sel:[0,1,0]
	v_pk_fma_f32 v[60:61], v[72:73], v[60:61], v[66:67] op_sel:[0,1,0]
	ds_load_2addr_b32 v[66:67], v53 offset0:64 offset1:80
	v_dual_mov_b32 v68, v59 :: v_dual_mov_b32 v72, v63
	s_wait_dscnt 0x7
	v_pk_fma_f32 v[56:57], v[42:43], v[58:59], v[56:57] op_sel_hi:[1,0,1]
	v_pk_fma_f32 v[42:43], v[42:43], v[62:63], v[60:61] op_sel_hi:[1,0,1]
	s_wait_dscnt 0x6
	s_delay_alu instid0(VALU_DEP_2) | instskip(NEXT) | instid1(VALU_DEP_2)
	v_pk_fma_f32 v[68:69], v[64:65], v[68:69], v[56:57] op_sel_hi:[1,0,1]
	v_pk_fma_f32 v[42:43], v[64:65], v[72:73], v[42:43] op_sel_hi:[1,0,1]
	ds_load_b128 v[56:59], v47 offset:80
	ds_load_2addr_b32 v[64:65], v53 offset0:128 offset1:144
	ds_load_b128 v[60:63], v47 offset:2128
	ds_load_2addr_b32 v[72:73], v53 offset0:160 offset1:176
	s_wait_dscnt 0x8
	v_pk_fma_f32 v[68:69], v[74:75], v[34:35], v[68:69] op_sel_hi:[1,0,1]
	s_wait_dscnt 0x7
	v_pk_fma_f32 v[42:43], v[74:75], v[38:39], v[42:43] op_sel_hi:[1,0,1]
	s_wait_dscnt 0x5
	s_delay_alu instid0(VALU_DEP_2) | instskip(NEXT) | instid1(VALU_DEP_2)
	v_pk_fma_f32 v[34:35], v[70:71], v[34:35], v[68:69] op_sel:[0,1,0]
	v_pk_fma_f32 v[38:39], v[70:71], v[38:39], v[42:43] op_sel:[0,1,0]
	ds_load_2addr_b32 v[42:43], v53 offset0:192 offset1:208
	v_dual_mov_b32 v68, v37 :: v_dual_mov_b32 v70, v41
	s_wait_dscnt 0x5
	v_pk_fma_f32 v[34:35], v[66:67], v[36:37], v[34:35] op_sel_hi:[1,0,1]
	v_pk_fma_f32 v[36:37], v[66:67], v[40:41], v[38:39] op_sel_hi:[1,0,1]
	ds_load_2addr_b32 v[66:67], v53 offset0:224 offset1:240
	v_pk_fma_f32 v[68:69], v[76:77], v[68:69], v[34:35] op_sel_hi:[1,0,1]
	v_pk_fma_f32 v[70:71], v[76:77], v[70:71], v[36:37] op_sel_hi:[1,0,1]
	ds_load_b128 v[34:37], v47 offset:96
	ds_load_2addr_b32 v[74:75], v54 offset1:16
	ds_load_b128 v[38:41], v47 offset:2144
	ds_load_2addr_b32 v[76:77], v54 offset0:96 offset1:112
	s_wait_dscnt 0x8
	v_pk_fma_f32 v[68:69], v[64:65], v[56:57], v[68:69] op_sel_hi:[1,0,1]
	s_wait_dscnt 0x7
	v_pk_fma_f32 v[64:65], v[64:65], v[60:61], v[70:71] op_sel_hi:[1,0,1]
	ds_load_2addr_b32 v[70:71], v54 offset0:32 offset1:48
	s_wait_dscnt 0x7
	v_pk_fma_f32 v[56:57], v[72:73], v[56:57], v[68:69] op_sel:[0,1,0]
	v_pk_fma_f32 v[60:61], v[72:73], v[60:61], v[64:65] op_sel:[0,1,0]
	ds_load_2addr_b32 v[64:65], v54 offset0:64 offset1:80
	v_dual_mov_b32 v68, v59 :: v_dual_mov_b32 v72, v63
	s_wait_dscnt 0x7
	v_pk_fma_f32 v[56:57], v[42:43], v[58:59], v[56:57] op_sel_hi:[1,0,1]
	v_pk_fma_f32 v[42:43], v[42:43], v[62:63], v[60:61] op_sel_hi:[1,0,1]
	s_wait_dscnt 0x6
	s_delay_alu instid0(VALU_DEP_2) | instskip(NEXT) | instid1(VALU_DEP_2)
	v_pk_fma_f32 v[68:69], v[66:67], v[68:69], v[56:57] op_sel_hi:[1,0,1]
	v_pk_fma_f32 v[42:43], v[66:67], v[72:73], v[42:43] op_sel_hi:[1,0,1]
	ds_load_b128 v[56:59], v47 offset:112
	ds_load_2addr_b32 v[66:67], v54 offset0:128 offset1:144
	ds_load_b128 v[60:63], v47 offset:2160
	ds_load_2addr_b32 v[72:73], v54 offset0:160 offset1:176
	s_wait_dscnt 0x8
	v_pk_fma_f32 v[68:69], v[74:75], v[34:35], v[68:69] op_sel_hi:[1,0,1]
	s_wait_dscnt 0x7
	v_pk_fma_f32 v[42:43], v[74:75], v[38:39], v[42:43] op_sel_hi:[1,0,1]
	s_wait_dscnt 0x5
	s_delay_alu instid0(VALU_DEP_2) | instskip(NEXT) | instid1(VALU_DEP_2)
	v_pk_fma_f32 v[34:35], v[70:71], v[34:35], v[68:69] op_sel:[0,1,0]
	v_pk_fma_f32 v[38:39], v[70:71], v[38:39], v[42:43] op_sel:[0,1,0]
	ds_load_2addr_b32 v[42:43], v54 offset0:192 offset1:208
	v_dual_mov_b32 v68, v37 :: v_dual_mov_b32 v70, v41
	s_wait_dscnt 0x5
	v_pk_fma_f32 v[34:35], v[64:65], v[36:37], v[34:35] op_sel_hi:[1,0,1]
	v_pk_fma_f32 v[36:37], v[64:65], v[40:41], v[38:39] op_sel_hi:[1,0,1]
	ds_load_2addr_b32 v[38:39], v54 offset0:224 offset1:240
	s_wait_dscnt 0x0
	s_barrier_signal -1
	v_pk_fma_f32 v[34:35], v[76:77], v[68:69], v[34:35] op_sel_hi:[1,0,1]
	v_pk_fma_f32 v[36:37], v[76:77], v[70:71], v[36:37] op_sel_hi:[1,0,1]
	v_mov_b32_e32 v40, v59
	s_barrier_wait -1
	s_delay_alu instid0(VALU_DEP_3) | instskip(NEXT) | instid1(VALU_DEP_3)
	v_pk_fma_f32 v[34:35], v[66:67], v[56:57], v[34:35] op_sel_hi:[1,0,1]
	v_pk_fma_f32 v[36:37], v[66:67], v[60:61], v[36:37] op_sel_hi:[1,0,1]
	s_delay_alu instid0(VALU_DEP_2) | instskip(NEXT) | instid1(VALU_DEP_2)
	v_pk_fma_f32 v[34:35], v[72:73], v[56:57], v[34:35] op_sel:[0,1,0]
	v_pk_fma_f32 v[36:37], v[72:73], v[60:61], v[36:37] op_sel:[0,1,0]
	v_mov_b32_e32 v56, v63
	s_delay_alu instid0(VALU_DEP_3) | instskip(NEXT) | instid1(VALU_DEP_3)
	v_pk_fma_f32 v[34:35], v[42:43], v[58:59], v[34:35] op_sel_hi:[1,0,1]
	v_pk_fma_f32 v[42:43], v[42:43], v[62:63], v[36:37] op_sel_hi:[1,0,1]
	s_delay_alu instid0(VALU_DEP_2) | instskip(NEXT) | instid1(VALU_DEP_2)
	v_pk_fma_f32 v[36:37], v[38:39], v[40:41], v[34:35] op_sel_hi:[1,0,1]
	v_pk_fma_f32 v[34:35], v[38:39], v[56:57], v[42:43] op_sel_hi:[1,0,1]
	s_cbranch_scc1 .LBB9_47
.LBB9_10:                               ;   Parent Loop BB9_4 Depth=1
                                        ;     Parent Loop BB9_7 Depth=2
                                        ; =>    This Inner Loop Header: Depth=3
	v_add_nc_u64_e32 v[42:43], s[42:43], v[0:1]
	v_cmp_eq_u64_e64 s7, s[42:43], v[8:9]
	v_add_nc_u64_e32 v[38:39], s[28:29], v[24:25]
                                        ; implicit-def: $vgpr27
	s_delay_alu instid0(VALU_DEP_3) | instskip(SKIP_3) | instid1(SALU_CYCLE_1)
	v_cmp_le_i64_e64 s6, s[36:37], v[42:43]
	v_cmp_lt_i64_e64 s5, v[42:43], v[2:3]
	s_and_b32 s52, s49, s7
	s_or_b32 s7, s6, s5
	s_or_b32 s7, s7, s52
	s_delay_alu instid0(SALU_CYCLE_1) | instskip(NEXT) | instid1(SALU_CYCLE_1)
	s_nor_b32 s7, s0, s7
	s_and_saveexec_b32 s8, s7
	s_delay_alu instid0(SALU_CYCLE_1)
	s_xor_b32 s7, exec_lo, s8
	s_cbranch_execz .LBB9_12
; %bb.11:                               ;   in Loop: Header=BB9_10 Depth=3
	global_load_b32 v27, v[38:39], off
.LBB9_12:                               ;   in Loop: Header=BB9_10 Depth=3
	s_wait_xcnt 0x0
	s_and_not1_saveexec_b32 s7, s7
	s_cbranch_execz .LBB9_14
; %bb.13:                               ;   in Loop: Header=BB9_10 Depth=3
	s_wait_loadcnt 0x0
	v_cndmask_b32_e64 v27, 0, 1.0, s52
.LBB9_14:                               ;   in Loop: Header=BB9_10 Depth=3
	s_or_b32 exec_lo, exec_lo, s7
	v_cmp_eq_u64_e64 s7, s[42:43], v[10:11]
	v_cmp_gt_i64_e64 s8, v[6:7], v[42:43]
	v_add_nc_u64_e32 v[40:41], s[28:29], v[22:23]
	s_wait_loadcnt 0x0
	ds_store_b32 v49, v27
	s_and_b32 s7, s49, s7
	s_or_b32 s6, s6, s8
	s_delay_alu instid0(SALU_CYCLE_1) | instskip(NEXT) | instid1(SALU_CYCLE_1)
	s_or_b32 s6, s6, s7
	s_nor_b32 s6, s3, s6
	s_delay_alu instid0(SALU_CYCLE_1) | instskip(NEXT) | instid1(SALU_CYCLE_1)
	s_and_saveexec_b32 s8, s6
	s_xor_b32 s6, exec_lo, s8
	s_cbranch_execz .LBB9_16
; %bb.15:                               ;   in Loop: Header=BB9_10 Depth=3
	global_load_b32 v27, v[40:41], off
	s_wait_loadcnt 0x0
	ds_store_b32 v49, v27 offset:64
.LBB9_16:                               ;   in Loop: Header=BB9_10 Depth=3
	s_wait_xcnt 0x0
	s_and_not1_saveexec_b32 s6, s6
	s_cbranch_execz .LBB9_22
; %bb.17:                               ;   in Loop: Header=BB9_10 Depth=3
	s_xor_b32 s7, s7, -1
	s_delay_alu instid0(SALU_CYCLE_1) | instskip(NEXT) | instid1(SALU_CYCLE_1)
	s_and_saveexec_b32 s8, s7
	s_xor_b32 s7, exec_lo, s8
; %bb.18:                               ;   in Loop: Header=BB9_10 Depth=3
	ds_store_b32 v49, v46 offset:64
; %bb.19:                               ;   in Loop: Header=BB9_10 Depth=3
	s_and_not1_saveexec_b32 s7, s7
; %bb.20:                               ;   in Loop: Header=BB9_10 Depth=3
	ds_store_b32 v49, v48 offset:64
; %bb.21:                               ;   in Loop: Header=BB9_10 Depth=3
	s_or_b32 exec_lo, exec_lo, s7
.LBB9_22:                               ;   in Loop: Header=BB9_10 Depth=3
	s_delay_alu instid0(SALU_CYCLE_1) | instskip(SKIP_2) | instid1(VALU_DEP_2)
	s_or_b32 exec_lo, exec_lo, s6
	v_add_nc_u64_e32 v[42:43], 16, v[42:43]
	v_cmp_eq_u64_e64 s7, s[42:43], v[12:13]
                                        ; implicit-def: $vgpr27
	v_cmp_le_i64_e64 s6, s[36:37], v[42:43]
	v_cmp_lt_i64_e64 s8, v[42:43], v[2:3]
	s_and_b32 s7, s49, s7
	s_or_b32 s8, s6, s8
	s_delay_alu instid0(SALU_CYCLE_1) | instskip(NEXT) | instid1(SALU_CYCLE_1)
	s_or_b32 s8, s8, s7
	s_nor_b32 s8, s0, s8
	s_delay_alu instid0(SALU_CYCLE_1) | instskip(NEXT) | instid1(SALU_CYCLE_1)
	s_and_saveexec_b32 s53, s8
	s_xor_b32 s8, exec_lo, s53
	s_cbranch_execz .LBB9_24
; %bb.23:                               ;   in Loop: Header=BB9_10 Depth=3
	global_load_b32 v27, v[38:39], off offset:64
.LBB9_24:                               ;   in Loop: Header=BB9_10 Depth=3
	s_wait_xcnt 0x0
	s_and_not1_saveexec_b32 s8, s8
	s_cbranch_execz .LBB9_26
; %bb.25:                               ;   in Loop: Header=BB9_10 Depth=3
	s_wait_loadcnt 0x0
	v_cndmask_b32_e64 v27, 0, 1.0, s7
.LBB9_26:                               ;   in Loop: Header=BB9_10 Depth=3
	s_or_b32 exec_lo, exec_lo, s8
	s_or_b32 s5, s6, s5
	s_wait_loadcnt 0x0
	ds_store_b32 v49, v27 offset:2048
	s_or_b32 s5, s5, s52
	s_delay_alu instid0(SALU_CYCLE_1) | instskip(NEXT) | instid1(SALU_CYCLE_1)
	s_nor_b32 s5, s3, s5
	s_and_saveexec_b32 s6, s5
	s_delay_alu instid0(SALU_CYCLE_1)
	s_xor_b32 s5, exec_lo, s6
	s_cbranch_execz .LBB9_28
; %bb.27:                               ;   in Loop: Header=BB9_10 Depth=3
	global_load_b32 v27, v[40:41], off offset:64
	s_wait_loadcnt 0x0
	ds_store_b32 v49, v27 offset:2112
.LBB9_28:                               ;   in Loop: Header=BB9_10 Depth=3
	s_wait_xcnt 0x0
	s_and_not1_saveexec_b32 s5, s5
	s_cbranch_execz .LBB9_34
; %bb.29:                               ;   in Loop: Header=BB9_10 Depth=3
	s_xor_b32 s6, s52, -1
	s_delay_alu instid0(SALU_CYCLE_1) | instskip(NEXT) | instid1(SALU_CYCLE_1)
	s_and_saveexec_b32 s7, s6
	s_xor_b32 s6, exec_lo, s7
; %bb.30:                               ;   in Loop: Header=BB9_10 Depth=3
	ds_store_b32 v49, v46 offset:2112
; %bb.31:                               ;   in Loop: Header=BB9_10 Depth=3
	s_and_not1_saveexec_b32 s6, s6
; %bb.32:                               ;   in Loop: Header=BB9_10 Depth=3
	ds_store_b32 v49, v48 offset:2112
; %bb.33:                               ;   in Loop: Header=BB9_10 Depth=3
	s_or_b32 exec_lo, exec_lo, s6
.LBB9_34:                               ;   in Loop: Header=BB9_10 Depth=3
	s_delay_alu instid0(SALU_CYCLE_1) | instskip(SKIP_3) | instid1(VALU_DEP_3)
	s_or_b32 exec_lo, exec_lo, s5
	v_add_nc_u64_e32 v[40:41], s[42:43], v[2:3]
	v_add_nc_u64_e32 v[38:39], s[28:29], v[30:31]
	v_mov_b32_e32 v27, 0
	v_cmp_gt_i64_e64 s5, s[36:37], v[40:41]
	s_and_b32 s7, vcc_lo, s5
	s_delay_alu instid0(SALU_CYCLE_1)
	s_and_saveexec_b32 s6, s7
	s_cbranch_execz .LBB9_36
; %bb.35:                               ;   in Loop: Header=BB9_10 Depth=3
	global_load_b32 v27, v[38:39], off offset:-64
.LBB9_36:                               ;   in Loop: Header=BB9_10 Depth=3
	s_wait_xcnt 0x0
	s_or_b32 exec_lo, exec_lo, s6
	v_cmp_gt_i64_e64 s6, s[20:21], v[40:41]
	s_wait_loadcnt 0x0
	ds_store_b32 v51, v27
	s_and_b32 s7, vcc_lo, s6
	s_delay_alu instid0(SALU_CYCLE_1) | instskip(NEXT) | instid1(SALU_CYCLE_1)
	s_xor_b32 s7, s7, -1
	s_and_saveexec_b32 s8, s7
	s_delay_alu instid0(SALU_CYCLE_1)
	s_xor_b32 s7, exec_lo, s8
; %bb.37:                               ;   in Loop: Header=BB9_10 Depth=3
	ds_store_b32 v51, v46 offset:64
                                        ; implicit-def: $vgpr38_vgpr39
; %bb.38:                               ;   in Loop: Header=BB9_10 Depth=3
	s_and_not1_saveexec_b32 s7, s7
	s_cbranch_execz .LBB9_40
; %bb.39:                               ;   in Loop: Header=BB9_10 Depth=3
	global_load_b32 v27, v[38:39], off
	s_wait_loadcnt 0x0
	ds_store_b32 v51, v27 offset:64
.LBB9_40:                               ;   in Loop: Header=BB9_10 Depth=3
	s_wait_xcnt 0x0
	s_or_b32 exec_lo, exec_lo, s7
	v_add_nc_u64_e32 v[38:39], s[28:29], v[32:33]
	v_mov_b32_e32 v27, 0
	s_and_b32 s7, s4, s5
	s_delay_alu instid0(SALU_CYCLE_1)
	s_and_saveexec_b32 s5, s7
	s_cbranch_execz .LBB9_42
; %bb.41:                               ;   in Loop: Header=BB9_10 Depth=3
	global_load_b32 v27, v[38:39], off offset:-64
.LBB9_42:                               ;   in Loop: Header=BB9_10 Depth=3
	s_wait_xcnt 0x0
	s_or_b32 exec_lo, exec_lo, s5
	s_and_b32 s5, s4, s6
	s_wait_loadcnt 0x0
	ds_store_b32 v51, v27 offset:2048
	s_xor_b32 s5, s5, -1
	s_delay_alu instid0(SALU_CYCLE_1) | instskip(NEXT) | instid1(SALU_CYCLE_1)
	s_and_saveexec_b32 s6, s5
	s_xor_b32 s5, exec_lo, s6
; %bb.43:                               ;   in Loop: Header=BB9_10 Depth=3
	ds_store_b32 v51, v46 offset:2112
                                        ; implicit-def: $vgpr38_vgpr39
; %bb.44:                               ;   in Loop: Header=BB9_10 Depth=3
	s_and_not1_saveexec_b32 s5, s5
	s_cbranch_execz .LBB9_9
; %bb.45:                               ;   in Loop: Header=BB9_10 Depth=3
	global_load_b32 v27, v[38:39], off
	s_wait_loadcnt 0x0
	ds_store_b32 v51, v27 offset:2112
	s_branch .LBB9_9
.LBB9_46:                               ;   in Loop: Header=BB9_7 Depth=2
	v_mov_b32_e32 v37, 0
	s_delay_alu instid0(VALU_DEP_1)
	v_dual_mov_b32 v36, v37 :: v_dual_mov_b32 v35, v37
	v_mov_b32_e32 v34, v37
.LBB9_47:                               ;   in Loop: Header=BB9_7 Depth=2
	v_mul_u64_e32 v[30:31], s[24:25], v[28:29]
	v_cmp_gt_i32_e32 vcc_lo, s30, v28
	s_and_b32 s5, s1, vcc_lo
	s_delay_alu instid0(VALU_DEP_2)
	v_lshl_add_u64 v[30:31], v[30:31], 2, s[22:23]
	s_and_saveexec_b32 s4, s5
	s_cbranch_execz .LBB9_49
; %bb.48:                               ;   in Loop: Header=BB9_7 Depth=2
	s_delay_alu instid0(VALU_DEP_1)
	v_lshl_add_u64 v[32:33], v[2:3], 2, v[30:31]
	global_load_b32 v27, v[32:33], off
	s_wait_loadcnt 0x0
	v_fmac_f32_e32 v27, s31, v36
	global_store_b32 v[32:33], v27, off
.LBB9_49:                               ;   in Loop: Header=BB9_7 Depth=2
	s_wait_xcnt 0x0
	s_or_b32 exec_lo, exec_lo, s4
	s_and_b32 s5, s2, vcc_lo
	s_delay_alu instid0(SALU_CYCLE_1)
	s_and_saveexec_b32 s4, s5
	s_cbranch_execz .LBB9_51
; %bb.50:                               ;   in Loop: Header=BB9_7 Depth=2
	v_lshl_add_u64 v[30:31], v[4:5], 2, v[30:31]
	global_load_b32 v27, v[30:31], off
	s_wait_loadcnt 0x0
	v_fmac_f32_e32 v27, s31, v37
	global_store_b32 v[30:31], v27, off
.LBB9_51:                               ;   in Loop: Header=BB9_7 Depth=2
	s_wait_xcnt 0x0
	s_or_b32 exec_lo, exec_lo, s4
	v_add_nc_u32_e32 v28, 16, v28
	s_delay_alu instid0(VALU_DEP_1) | instskip(SKIP_1) | instid1(VALU_DEP_2)
	v_ashrrev_i32_e32 v29, 31, v28
	v_cmp_gt_i32_e32 vcc_lo, s30, v28
	v_mul_u64_e32 v[30:31], s[24:25], v[28:29]
	s_and_b32 s5, s1, vcc_lo
	s_delay_alu instid0(VALU_DEP_1)
	v_lshl_add_u64 v[28:29], v[30:31], 2, s[22:23]
	s_and_saveexec_b32 s4, s5
	s_cbranch_execz .LBB9_53
; %bb.52:                               ;   in Loop: Header=BB9_7 Depth=2
	s_delay_alu instid0(VALU_DEP_1)
	v_lshl_add_u64 v[30:31], v[2:3], 2, v[28:29]
	global_load_b32 v27, v[30:31], off
	s_wait_loadcnt 0x0
	v_fmac_f32_e32 v27, s31, v34
	global_store_b32 v[30:31], v27, off
.LBB9_53:                               ;   in Loop: Header=BB9_7 Depth=2
	s_wait_xcnt 0x0
	s_or_b32 exec_lo, exec_lo, s4
	s_and_b32 s5, s2, vcc_lo
	s_delay_alu instid0(SALU_CYCLE_1)
	s_and_saveexec_b32 s4, s5
	s_cbranch_execz .LBB9_6
; %bb.54:                               ;   in Loop: Header=BB9_7 Depth=2
	v_lshl_add_u64 v[28:29], v[4:5], 2, v[28:29]
	global_load_b32 v27, v[28:29], off
	s_wait_loadcnt 0x0
	v_fmac_f32_e32 v27, s31, v35
	global_store_b32 v[28:29], v27, off
	s_branch .LBB9_6
.LBB9_55:
	s_sendmsg sendmsg(MSG_DEALLOC_VGPRS)
	s_endpgm
	.section	.rodata,"a",@progbits
	.p2align	6, 0x0
	.amdhsa_kernel _ZL30rocblas_trmm_outofplace_kernelIfLi32ELi2ELb1ELb0ELb1ELb1EfKffEv17rocblas_diagonal_iiT6_lPT7_lllS4_lllPT8_llli
		.amdhsa_group_segment_fixed_size 8192
		.amdhsa_private_segment_fixed_size 0
		.amdhsa_kernarg_size 384
		.amdhsa_user_sgpr_count 2
		.amdhsa_user_sgpr_dispatch_ptr 0
		.amdhsa_user_sgpr_queue_ptr 0
		.amdhsa_user_sgpr_kernarg_segment_ptr 1
		.amdhsa_user_sgpr_dispatch_id 0
		.amdhsa_user_sgpr_kernarg_preload_length 0
		.amdhsa_user_sgpr_kernarg_preload_offset 0
		.amdhsa_user_sgpr_private_segment_size 0
		.amdhsa_wavefront_size32 1
		.amdhsa_uses_dynamic_stack 0
		.amdhsa_enable_private_segment 0
		.amdhsa_system_sgpr_workgroup_id_x 1
		.amdhsa_system_sgpr_workgroup_id_y 1
		.amdhsa_system_sgpr_workgroup_id_z 1
		.amdhsa_system_sgpr_workgroup_info 0
		.amdhsa_system_vgpr_workitem_id 1
		.amdhsa_next_free_vgpr 78
		.amdhsa_next_free_sgpr 54
		.amdhsa_named_barrier_count 0
		.amdhsa_reserve_vcc 1
		.amdhsa_float_round_mode_32 0
		.amdhsa_float_round_mode_16_64 0
		.amdhsa_float_denorm_mode_32 3
		.amdhsa_float_denorm_mode_16_64 3
		.amdhsa_fp16_overflow 0
		.amdhsa_memory_ordered 1
		.amdhsa_forward_progress 1
		.amdhsa_inst_pref_size 25
		.amdhsa_round_robin_scheduling 0
		.amdhsa_exception_fp_ieee_invalid_op 0
		.amdhsa_exception_fp_denorm_src 0
		.amdhsa_exception_fp_ieee_div_zero 0
		.amdhsa_exception_fp_ieee_overflow 0
		.amdhsa_exception_fp_ieee_underflow 0
		.amdhsa_exception_fp_ieee_inexact 0
		.amdhsa_exception_int_div_zero 0
	.end_amdhsa_kernel
	.section	.text._ZL30rocblas_trmm_outofplace_kernelIfLi32ELi2ELb1ELb0ELb1ELb1EfKffEv17rocblas_diagonal_iiT6_lPT7_lllS4_lllPT8_llli,"axG",@progbits,_ZL30rocblas_trmm_outofplace_kernelIfLi32ELi2ELb1ELb0ELb1ELb1EfKffEv17rocblas_diagonal_iiT6_lPT7_lllS4_lllPT8_llli,comdat
.Lfunc_end9:
	.size	_ZL30rocblas_trmm_outofplace_kernelIfLi32ELi2ELb1ELb0ELb1ELb1EfKffEv17rocblas_diagonal_iiT6_lPT7_lllS4_lllPT8_llli, .Lfunc_end9-_ZL30rocblas_trmm_outofplace_kernelIfLi32ELi2ELb1ELb0ELb1ELb1EfKffEv17rocblas_diagonal_iiT6_lPT7_lllS4_lllPT8_llli
                                        ; -- End function
	.set _ZL30rocblas_trmm_outofplace_kernelIfLi32ELi2ELb1ELb0ELb1ELb1EfKffEv17rocblas_diagonal_iiT6_lPT7_lllS4_lllPT8_llli.num_vgpr, 78
	.set _ZL30rocblas_trmm_outofplace_kernelIfLi32ELi2ELb1ELb0ELb1ELb1EfKffEv17rocblas_diagonal_iiT6_lPT7_lllS4_lllPT8_llli.num_agpr, 0
	.set _ZL30rocblas_trmm_outofplace_kernelIfLi32ELi2ELb1ELb0ELb1ELb1EfKffEv17rocblas_diagonal_iiT6_lPT7_lllS4_lllPT8_llli.numbered_sgpr, 54
	.set _ZL30rocblas_trmm_outofplace_kernelIfLi32ELi2ELb1ELb0ELb1ELb1EfKffEv17rocblas_diagonal_iiT6_lPT7_lllS4_lllPT8_llli.num_named_barrier, 0
	.set _ZL30rocblas_trmm_outofplace_kernelIfLi32ELi2ELb1ELb0ELb1ELb1EfKffEv17rocblas_diagonal_iiT6_lPT7_lllS4_lllPT8_llli.private_seg_size, 0
	.set _ZL30rocblas_trmm_outofplace_kernelIfLi32ELi2ELb1ELb0ELb1ELb1EfKffEv17rocblas_diagonal_iiT6_lPT7_lllS4_lllPT8_llli.uses_vcc, 1
	.set _ZL30rocblas_trmm_outofplace_kernelIfLi32ELi2ELb1ELb0ELb1ELb1EfKffEv17rocblas_diagonal_iiT6_lPT7_lllS4_lllPT8_llli.uses_flat_scratch, 0
	.set _ZL30rocblas_trmm_outofplace_kernelIfLi32ELi2ELb1ELb0ELb1ELb1EfKffEv17rocblas_diagonal_iiT6_lPT7_lllS4_lllPT8_llli.has_dyn_sized_stack, 0
	.set _ZL30rocblas_trmm_outofplace_kernelIfLi32ELi2ELb1ELb0ELb1ELb1EfKffEv17rocblas_diagonal_iiT6_lPT7_lllS4_lllPT8_llli.has_recursion, 0
	.set _ZL30rocblas_trmm_outofplace_kernelIfLi32ELi2ELb1ELb0ELb1ELb1EfKffEv17rocblas_diagonal_iiT6_lPT7_lllS4_lllPT8_llli.has_indirect_call, 0
	.section	.AMDGPU.csdata,"",@progbits
; Kernel info:
; codeLenInByte = 3148
; TotalNumSgprs: 56
; NumVgprs: 78
; ScratchSize: 0
; MemoryBound: 0
; FloatMode: 240
; IeeeMode: 1
; LDSByteSize: 8192 bytes/workgroup (compile time only)
; SGPRBlocks: 0
; VGPRBlocks: 4
; NumSGPRsForWavesPerEU: 56
; NumVGPRsForWavesPerEU: 78
; NamedBarCnt: 0
; Occupancy: 12
; WaveLimiterHint : 0
; COMPUTE_PGM_RSRC2:SCRATCH_EN: 0
; COMPUTE_PGM_RSRC2:USER_SGPR: 2
; COMPUTE_PGM_RSRC2:TRAP_HANDLER: 0
; COMPUTE_PGM_RSRC2:TGID_X_EN: 1
; COMPUTE_PGM_RSRC2:TGID_Y_EN: 1
; COMPUTE_PGM_RSRC2:TGID_Z_EN: 1
; COMPUTE_PGM_RSRC2:TIDIG_COMP_CNT: 1
	.section	.text._ZL30rocblas_trmm_outofplace_kernelIfLi32ELi2ELb1ELb1ELb1ELb1EPKfS0_fEv17rocblas_diagonal_iiT6_lPT7_lllS5_lllPT8_llli,"axG",@progbits,_ZL30rocblas_trmm_outofplace_kernelIfLi32ELi2ELb1ELb1ELb1ELb1EPKfS0_fEv17rocblas_diagonal_iiT6_lPT7_lllS5_lllPT8_llli,comdat
	.globl	_ZL30rocblas_trmm_outofplace_kernelIfLi32ELi2ELb1ELb1ELb1ELb1EPKfS0_fEv17rocblas_diagonal_iiT6_lPT7_lllS5_lllPT8_llli ; -- Begin function _ZL30rocblas_trmm_outofplace_kernelIfLi32ELi2ELb1ELb1ELb1ELb1EPKfS0_fEv17rocblas_diagonal_iiT6_lPT7_lllS5_lllPT8_llli
	.p2align	8
	.type	_ZL30rocblas_trmm_outofplace_kernelIfLi32ELi2ELb1ELb1ELb1ELb1EPKfS0_fEv17rocblas_diagonal_iiT6_lPT7_lllS5_lllPT8_llli,@function
_ZL30rocblas_trmm_outofplace_kernelIfLi32ELi2ELb1ELb1ELb1ELb1EPKfS0_fEv17rocblas_diagonal_iiT6_lPT7_lllS5_lllPT8_llli: ; @_ZL30rocblas_trmm_outofplace_kernelIfLi32ELi2ELb1ELb1ELb1ELb1EPKfS0_fEv17rocblas_diagonal_iiT6_lPT7_lllS5_lllPT8_llli
; %bb.0:
	s_load_b32 s11, s[0:1], 0x80
	s_bfe_u32 s2, ttmp6, 0x40014
	s_lshr_b32 s3, ttmp7, 16
	s_add_co_i32 s2, s2, 1
	s_bfe_u32 s5, ttmp6, 0x40008
	s_mul_i32 s4, s3, s2
	s_getreg_b32 s2, hwreg(HW_REG_IB_STS2, 6, 4)
	s_add_co_i32 s5, s5, s4
	s_cmp_eq_u32 s2, 0
	s_mov_b32 s35, 0
	s_cselect_b32 s34, s3, s5
	s_wait_kmcnt 0x0
	s_cmp_ge_u32 s34, s11
	s_cbranch_scc1 .LBB10_55
; %bb.1:
	s_clause 0x2
	s_load_b96 s[8:10], s[0:1], 0x0
	s_load_b256 s[36:43], s[0:1], 0x50
	s_load_b512 s[12:27], s[0:1], 0x10
	s_bfe_u32 s4, ttmp6, 0x4000c
	s_and_b32 s3, ttmp6, 15
	s_add_co_i32 s4, s4, 1
	s_bfe_u32 s5, ttmp6, 0x40010
	s_mul_i32 s4, ttmp9, s4
	s_and_b32 s6, ttmp7, 0xffff
	s_add_co_i32 s5, s5, 1
	s_add_co_i32 s3, s3, s4
	s_bfe_u32 s7, ttmp6, 0x40004
	s_mul_i32 s5, s6, s5
	v_and_b32_e32 v2, 0x3ff, v0
	s_add_co_i32 s7, s7, s5
	v_bfe_u32 v0, v0, 10, 10
	v_dual_mov_b32 v1, 0 :: v_dual_mov_b32 v48, 1.0
	s_delay_alu instid0(VALU_DEP_3) | instskip(SKIP_2) | instid1(VALU_DEP_2)
	v_lshlrev_b32_e32 v6, 2, v2
	s_wait_kmcnt 0x0
	s_add_co_i32 s28, s10, -1
	v_dual_mov_b32 v3, v1 :: v_dual_lshlrev_b32 v12, 7, v0
	s_ashr_i32 s29, s28, 31
	v_mov_b32_e32 v7, v1
	s_lshr_b32 s4, s29, 27
	v_dual_mov_b32 v17, v1 :: v_dual_lshlrev_b32 v16, 2, v0
	s_add_co_i32 s28, s28, s4
	s_lshl_b64 s[4:5], s[42:43], 2
	s_ashr_i32 s33, s28, 5
	s_cmp_eq_u32 s2, 0
	s_load_b128 s[28:31], s[0:1], 0x70
	s_cselect_b32 s48, s6, s7
	s_cselect_b32 s2, ttmp9, s3
	s_cmp_le_i32 s48, s33
	s_add_nc_u64 s[40:41], s[40:41], s[4:5]
	s_cselect_b32 s49, -1, 0
	s_lshl_b32 s50, s2, 5
	s_cmp_gt_i32 s2, -1
	v_add_nc_u32_e32 v4, s50, v2
	s_cselect_b32 s51, -1, 0
	s_cmp_eq_u32 s8, 0x84
	v_add_nc_u32_e32 v49, 0x1000, v12
	s_cselect_b32 s52, -1, 0
	v_ashrrev_i32_e32 v5, 31, v4
	s_lshl_b64 s[2:3], s[18:19], 2
	s_lshl_b64 s[4:5], s[26:27], 2
	v_dual_add_nc_u32 v50, v6, v12 :: v_dual_add_nc_u32 v51, v49, v6
	s_delay_alu instid0(VALU_DEP_2)
	v_lshl_add_u64 v[8:9], v[4:5], 2, 64
	v_mul_u64_e32 v[10:11], s[20:21], v[4:5]
	s_add_nc_u64 s[4:5], s[24:25], s[4:5]
	v_sub_nc_u64_e32 v[12:13], v[4:5], v[0:1]
	v_add_nc_u64_e32 v[20:21], s[4:5], v[6:7]
	v_mad_nc_u64_u32 v[14:15], s20, v8, s[2:3]
	s_mov_b32 s42, s9
	s_ashr_i32 s43, s9, 31
	s_add_nc_u64 s[18:19], s[0:1], 0x88
	v_lshl_add_u32 v52, s48, 5, v0
	s_wait_xcnt 0x0
	v_cmp_le_i32_e64 s0, s9, v4
	v_cmp_gt_i32_e64 s1, s9, v4
	v_add_nc_u32_e32 v7, 0x400, v6
	v_add_nc_u32_e32 v53, 0x800, v6
	;; [unrolled: 1-line block ×3, first 2 shown]
	s_mov_b32 s44, s10
	v_mad_u32 v8, s21, v8, v15
	s_ashr_i32 s45, s10, 31
	s_lshl_b64 s[24:25], s[36:37], 2
	s_lshl_b64 s[22:23], s[22:23], 2
	s_delay_alu instid0(VALU_DEP_1) | instskip(SKIP_4) | instid1(VALU_DEP_3)
	v_mad_u32 v15, s20, v9, v8
	v_add_nc_u32_e32 v8, 16, v4
	s_add_nc_u64 s[20:21], s[42:43], -16
	v_lshl_add_u64 v[18:19], v[10:11], 2, s[2:3]
	v_add_nc_u64_e32 v[10:11], 16, v[4:5]
	v_cmp_gt_i32_e64 s2, s9, v8
	v_ashrrev_i32_e32 v9, 31, v8
	s_delay_alu instid0(VALU_DEP_4)
	v_add_nc_u64_e32 v[22:23], v[18:19], v[16:17]
	v_add_nc_u64_e32 v[24:25], v[14:15], v[16:17]
	;; [unrolled: 1-line block ×3, first 2 shown]
	v_cmp_le_i64_e64 s3, s[42:43], v[10:11]
	v_add_nc_u64_e32 v[16:17], 16, v[12:13]
	v_add_nc_u64_e32 v[18:19], -16, v[12:13]
	v_add_nc_u64_e32 v[20:21], s[16:17], v[22:23]
	v_add_nc_u64_e32 v[22:23], s[16:17], v[24:25]
	s_lshl_b64 s[16:17], s[38:39], 2
	s_branch .LBB10_4
.LBB10_2:                               ;   in Loop: Header=BB10_4 Depth=1
	s_add_co_i32 s34, s34, 0x10000
	s_delay_alu instid0(SALU_CYCLE_1)
	s_cmp_ge_u32 s34, s11
	s_cselect_b32 s4, -1, 0
.LBB10_3:                               ;   in Loop: Header=BB10_4 Depth=1
	s_delay_alu instid0(SALU_CYCLE_1)
	s_and_b32 vcc_lo, exec_lo, s4
	s_cbranch_vccnz .LBB10_55
.LBB10_4:                               ; =>This Loop Header: Depth=1
                                        ;     Child Loop BB10_8 Depth 2
                                        ;       Child Loop BB10_11 Depth 3
	s_mul_u64 s[4:5], s[14:15], s[34:35]
	s_delay_alu instid0(SALU_CYCLE_1) | instskip(NEXT) | instid1(SALU_CYCLE_1)
	s_lshl_b64 s[4:5], s[4:5], 2
	s_add_nc_u64 s[4:5], s[12:13], s[4:5]
	global_load_b32 v55, v1, s[4:5]
	s_wait_xcnt 0x0
	s_mov_b32 s4, -1
	s_wait_loadcnt 0x0
	v_cmp_eq_f32_e32 vcc_lo, 0, v55
	s_cbranch_vccnz .LBB10_3
; %bb.5:                                ;   in Loop: Header=BB10_4 Depth=1
	s_and_not1_b32 vcc_lo, exec_lo, s49
	s_cbranch_vccnz .LBB10_2
; %bb.6:                                ;   in Loop: Header=BB10_4 Depth=1
	s_load_b32 s9, s[18:19], 0x4
	v_mad_nc_u64_u32 v[24:25], s16, s34, v[14:15]
	v_mad_nc_u64_u32 v[26:27], s22, s34, v[22:23]
	;; [unrolled: 1-line block ×3, first 2 shown]
	s_mul_i32 s6, s23, s34
	s_wait_kmcnt 0x0
	s_mul_u64 s[4:5], s[30:31], s[34:35]
	v_mov_b32_e32 v30, v52
	s_lshl_b64 s[4:5], s[4:5], 2
	s_mov_b32 s54, s48
	s_add_nc_u64 s[26:27], s[40:41], s[4:5]
	s_delay_alu instid0(VALU_DEP_4) | instskip(NEXT) | instid1(VALU_DEP_3)
	v_mad_u32 v25, s17, s34, v25
	v_dual_add_nc_u32 v27, s6, v27 :: v_dual_add_nc_u32 v29, s6, v29
	s_lshl_b32 s53, s9, 5
	s_branch .LBB10_8
.LBB10_7:                               ;   in Loop: Header=BB10_8 Depth=2
	s_wait_xcnt 0x0
	s_or_b32 exec_lo, exec_lo, s4
	v_add_nc_u32_e32 v30, s53, v30
	s_add_co_i32 s54, s9, s54
	s_delay_alu instid0(SALU_CYCLE_1)
	s_cmp_gt_i32 s54, s33
	s_cbranch_scc1 .LBB10_2
.LBB10_8:                               ;   Parent Loop BB10_4 Depth=1
                                        ; =>  This Loop Header: Depth=2
                                        ;       Child Loop BB10_11 Depth 3
	v_lshl_add_u32 v32, s54, 5, v0
	v_mov_b32_e32 v41, 0
	s_and_not1_b32 vcc_lo, exec_lo, s51
	s_delay_alu instid0(VALU_DEP_1)
	v_dual_mov_b32 v40, v41 :: v_dual_ashrrev_i32 v33, 31, v32
	v_dual_mov_b32 v39, v41 :: v_dual_mov_b32 v38, v41
	s_cbranch_vccnz .LBB10_47
; %bb.9:                                ;   in Loop: Header=BB10_8 Depth=2
	v_ashrrev_i32_e32 v31, 31, v30
	v_mad_nc_u64_u32 v[34:35], s24, v30, v[24:25]
	v_sub_nc_u64_e32 v[40:41], s[44:45], v[32:33]
	s_mov_b64 s[38:39], 0
	s_mov_b64 s[46:47], 0
	v_lshl_add_u64 v[38:39], v[30:31], 2, 64
	s_delay_alu instid0(VALU_DEP_2) | instskip(NEXT) | instid1(VALU_DEP_2)
	v_cmp_lt_i64_e64 s4, 16, v[40:41]
	v_mad_nc_u64_u32 v[36:37], s36, v38, v[24:25]
	v_cmp_lt_i64_e32 vcc_lo, 0, v[40:41]
	v_mad_u32 v35, s25, v30, v35
	s_delay_alu instid0(VALU_DEP_3) | instskip(SKIP_1) | instid1(VALU_DEP_3)
	v_mad_u32 v37, s37, v38, v37
	v_mov_b32_e32 v38, 0
	v_mad_u32 v35, s24, v31, v35
	s_delay_alu instid0(VALU_DEP_2) | instskip(NEXT) | instid1(VALU_DEP_4)
	v_dual_mov_b32 v41, v38 :: v_dual_mov_b32 v40, v38
	v_mad_u32 v37, s36, v39, v37
	v_mov_b32_e32 v39, v38
	s_branch .LBB10_11
.LBB10_10:                              ;   in Loop: Header=BB10_11 Depth=3
	s_wait_xcnt 0x0
	s_or_b32 exec_lo, exec_lo, s5
	s_wait_dscnt 0x0
	s_barrier_signal -1
	s_barrier_wait -1
	ds_load_b128 v[42:45], v49
	ds_load_2addr_b32 v[46:47], v6 offset1:16
	ds_load_b128 v[56:59], v49 offset:2048
	ds_load_2addr_b32 v[68:69], v6 offset0:32 offset1:48
	ds_load_2addr_b32 v[70:71], v6 offset0:64 offset1:80
	;; [unrolled: 1-line block ×3, first 2 shown]
	ds_load_b128 v[60:63], v49 offset:16
	ds_load_2addr_b32 v[74:75], v6 offset0:128 offset1:144
	ds_load_b128 v[64:67], v49 offset:2064
	s_add_nc_u64 s[46:47], s[46:47], 32
	s_add_nc_u64 s[38:39], s[38:39], 0x80
	s_sub_co_i32 s5, s46, 32
	s_delay_alu instid0(SALU_CYCLE_1)
	s_cmp_ge_i32 s5, s50
	s_wait_dscnt 0x7
	v_pk_fma_f32 v[40:41], v[46:47], v[42:43], v[40:41] op_sel_hi:[1,0,1]
	s_wait_dscnt 0x6
	v_pk_fma_f32 v[38:39], v[46:47], v[56:57], v[38:39] op_sel_hi:[1,0,1]
	ds_load_2addr_b32 v[46:47], v6 offset0:160 offset1:176
	s_wait_dscnt 0x6
	v_pk_fma_f32 v[40:41], v[68:69], v[42:43], v[40:41] op_sel:[0,1,0]
	v_pk_fma_f32 v[38:39], v[68:69], v[56:57], v[38:39] op_sel:[0,1,0]
	ds_load_2addr_b32 v[56:57], v6 offset0:192 offset1:208
	v_dual_mov_b32 v42, v45 :: v_dual_mov_b32 v68, v59
	s_wait_dscnt 0x6
	v_pk_fma_f32 v[40:41], v[70:71], v[44:45], v[40:41] op_sel_hi:[1,0,1]
	v_pk_fma_f32 v[38:39], v[70:71], v[58:59], v[38:39] op_sel_hi:[1,0,1]
	ds_load_2addr_b32 v[58:59], v6 offset0:224 offset1:240
	s_wait_dscnt 0x6
	v_pk_fma_f32 v[70:71], v[72:73], v[42:43], v[40:41] op_sel_hi:[1,0,1]
	v_pk_fma_f32 v[68:69], v[72:73], v[68:69], v[38:39] op_sel_hi:[1,0,1]
	ds_load_b128 v[38:41], v49 offset:32
	ds_load_2addr_b32 v[72:73], v7 offset1:16
	ds_load_b128 v[42:45], v49 offset:2080
	s_wait_dscnt 0x7
	v_pk_fma_f32 v[70:71], v[74:75], v[60:61], v[70:71] op_sel_hi:[1,0,1]
	s_wait_dscnt 0x6
	v_pk_fma_f32 v[68:69], v[74:75], v[64:65], v[68:69] op_sel_hi:[1,0,1]
	ds_load_2addr_b32 v[74:75], v7 offset0:32 offset1:48
	s_wait_dscnt 0x6
	v_pk_fma_f32 v[60:61], v[46:47], v[60:61], v[70:71] op_sel:[0,1,0]
	v_pk_fma_f32 v[46:47], v[46:47], v[64:65], v[68:69] op_sel:[0,1,0]
	ds_load_2addr_b32 v[64:65], v7 offset0:64 offset1:80
	v_dual_mov_b32 v68, v63 :: v_dual_mov_b32 v70, v67
	s_wait_dscnt 0x6
	v_pk_fma_f32 v[60:61], v[56:57], v[62:63], v[60:61] op_sel_hi:[1,0,1]
	v_pk_fma_f32 v[46:47], v[56:57], v[66:67], v[46:47] op_sel_hi:[1,0,1]
	ds_load_2addr_b32 v[66:67], v7 offset0:96 offset1:112
	s_wait_dscnt 0x6
	v_pk_fma_f32 v[68:69], v[58:59], v[68:69], v[60:61] op_sel_hi:[1,0,1]
	v_pk_fma_f32 v[46:47], v[58:59], v[70:71], v[46:47] op_sel_hi:[1,0,1]
	ds_load_b128 v[56:59], v49 offset:48
	ds_load_2addr_b32 v[70:71], v7 offset0:128 offset1:144
	ds_load_b128 v[60:63], v49 offset:2096
	s_wait_dscnt 0x7
	v_pk_fma_f32 v[68:69], v[72:73], v[38:39], v[68:69] op_sel_hi:[1,0,1]
	s_wait_dscnt 0x6
	v_pk_fma_f32 v[46:47], v[72:73], v[42:43], v[46:47] op_sel_hi:[1,0,1]
	ds_load_2addr_b32 v[72:73], v7 offset0:160 offset1:176
	s_wait_dscnt 0x6
	v_pk_fma_f32 v[38:39], v[74:75], v[38:39], v[68:69] op_sel:[0,1,0]
	v_pk_fma_f32 v[42:43], v[74:75], v[42:43], v[46:47] op_sel:[0,1,0]
	ds_load_2addr_b32 v[46:47], v7 offset0:192 offset1:208
	v_dual_mov_b32 v68, v41 :: v_dual_mov_b32 v74, v45
	s_wait_dscnt 0x6
	v_pk_fma_f32 v[38:39], v[64:65], v[40:41], v[38:39] op_sel_hi:[1,0,1]
	v_pk_fma_f32 v[40:41], v[64:65], v[44:45], v[42:43] op_sel_hi:[1,0,1]
	ds_load_2addr_b32 v[64:65], v7 offset0:224 offset1:240
	s_wait_dscnt 0x6
	v_pk_fma_f32 v[68:69], v[66:67], v[68:69], v[38:39] op_sel_hi:[1,0,1]
	v_pk_fma_f32 v[66:67], v[66:67], v[74:75], v[40:41] op_sel_hi:[1,0,1]
	ds_load_b128 v[38:41], v49 offset:64
	ds_load_2addr_b32 v[74:75], v53 offset1:16
	ds_load_b128 v[42:45], v49 offset:2112
	ds_load_2addr_b32 v[76:77], v53 offset0:96 offset1:112
	s_wait_dscnt 0x8
	v_pk_fma_f32 v[68:69], v[70:71], v[56:57], v[68:69] op_sel_hi:[1,0,1]
	s_wait_dscnt 0x7
	v_pk_fma_f32 v[66:67], v[70:71], v[60:61], v[66:67] op_sel_hi:[1,0,1]
	ds_load_2addr_b32 v[70:71], v53 offset0:32 offset1:48
	s_wait_dscnt 0x7
	v_pk_fma_f32 v[56:57], v[72:73], v[56:57], v[68:69] op_sel:[0,1,0]
	v_pk_fma_f32 v[60:61], v[72:73], v[60:61], v[66:67] op_sel:[0,1,0]
	ds_load_2addr_b32 v[66:67], v53 offset0:64 offset1:80
	v_dual_mov_b32 v68, v59 :: v_dual_mov_b32 v72, v63
	s_wait_dscnt 0x7
	v_pk_fma_f32 v[56:57], v[46:47], v[58:59], v[56:57] op_sel_hi:[1,0,1]
	v_pk_fma_f32 v[46:47], v[46:47], v[62:63], v[60:61] op_sel_hi:[1,0,1]
	s_wait_dscnt 0x6
	s_delay_alu instid0(VALU_DEP_2) | instskip(NEXT) | instid1(VALU_DEP_2)
	v_pk_fma_f32 v[68:69], v[64:65], v[68:69], v[56:57] op_sel_hi:[1,0,1]
	v_pk_fma_f32 v[46:47], v[64:65], v[72:73], v[46:47] op_sel_hi:[1,0,1]
	ds_load_b128 v[56:59], v49 offset:80
	ds_load_2addr_b32 v[64:65], v53 offset0:128 offset1:144
	ds_load_b128 v[60:63], v49 offset:2128
	ds_load_2addr_b32 v[72:73], v53 offset0:160 offset1:176
	s_wait_dscnt 0x8
	v_pk_fma_f32 v[68:69], v[74:75], v[38:39], v[68:69] op_sel_hi:[1,0,1]
	s_wait_dscnt 0x7
	v_pk_fma_f32 v[46:47], v[74:75], v[42:43], v[46:47] op_sel_hi:[1,0,1]
	s_wait_dscnt 0x5
	s_delay_alu instid0(VALU_DEP_2) | instskip(NEXT) | instid1(VALU_DEP_2)
	v_pk_fma_f32 v[38:39], v[70:71], v[38:39], v[68:69] op_sel:[0,1,0]
	v_pk_fma_f32 v[42:43], v[70:71], v[42:43], v[46:47] op_sel:[0,1,0]
	ds_load_2addr_b32 v[46:47], v53 offset0:192 offset1:208
	v_dual_mov_b32 v68, v41 :: v_dual_mov_b32 v70, v45
	s_wait_dscnt 0x5
	v_pk_fma_f32 v[38:39], v[66:67], v[40:41], v[38:39] op_sel_hi:[1,0,1]
	v_pk_fma_f32 v[40:41], v[66:67], v[44:45], v[42:43] op_sel_hi:[1,0,1]
	ds_load_2addr_b32 v[66:67], v53 offset0:224 offset1:240
	v_pk_fma_f32 v[68:69], v[76:77], v[68:69], v[38:39] op_sel_hi:[1,0,1]
	v_pk_fma_f32 v[70:71], v[76:77], v[70:71], v[40:41] op_sel_hi:[1,0,1]
	ds_load_b128 v[38:41], v49 offset:96
	ds_load_2addr_b32 v[74:75], v54 offset1:16
	ds_load_b128 v[42:45], v49 offset:2144
	ds_load_2addr_b32 v[76:77], v54 offset0:96 offset1:112
	s_wait_dscnt 0x8
	v_pk_fma_f32 v[68:69], v[64:65], v[56:57], v[68:69] op_sel_hi:[1,0,1]
	s_wait_dscnt 0x7
	v_pk_fma_f32 v[64:65], v[64:65], v[60:61], v[70:71] op_sel_hi:[1,0,1]
	ds_load_2addr_b32 v[70:71], v54 offset0:32 offset1:48
	s_wait_dscnt 0x7
	v_pk_fma_f32 v[56:57], v[72:73], v[56:57], v[68:69] op_sel:[0,1,0]
	v_pk_fma_f32 v[60:61], v[72:73], v[60:61], v[64:65] op_sel:[0,1,0]
	ds_load_2addr_b32 v[64:65], v54 offset0:64 offset1:80
	v_dual_mov_b32 v68, v59 :: v_dual_mov_b32 v72, v63
	s_wait_dscnt 0x7
	v_pk_fma_f32 v[56:57], v[46:47], v[58:59], v[56:57] op_sel_hi:[1,0,1]
	v_pk_fma_f32 v[46:47], v[46:47], v[62:63], v[60:61] op_sel_hi:[1,0,1]
	s_wait_dscnt 0x6
	s_delay_alu instid0(VALU_DEP_2) | instskip(NEXT) | instid1(VALU_DEP_2)
	v_pk_fma_f32 v[68:69], v[66:67], v[68:69], v[56:57] op_sel_hi:[1,0,1]
	v_pk_fma_f32 v[46:47], v[66:67], v[72:73], v[46:47] op_sel_hi:[1,0,1]
	ds_load_b128 v[56:59], v49 offset:112
	ds_load_2addr_b32 v[66:67], v54 offset0:128 offset1:144
	ds_load_b128 v[60:63], v49 offset:2160
	ds_load_2addr_b32 v[72:73], v54 offset0:160 offset1:176
	s_wait_dscnt 0x8
	v_pk_fma_f32 v[68:69], v[74:75], v[38:39], v[68:69] op_sel_hi:[1,0,1]
	s_wait_dscnt 0x7
	v_pk_fma_f32 v[46:47], v[74:75], v[42:43], v[46:47] op_sel_hi:[1,0,1]
	s_wait_dscnt 0x5
	s_delay_alu instid0(VALU_DEP_2) | instskip(NEXT) | instid1(VALU_DEP_2)
	v_pk_fma_f32 v[38:39], v[70:71], v[38:39], v[68:69] op_sel:[0,1,0]
	v_pk_fma_f32 v[42:43], v[70:71], v[42:43], v[46:47] op_sel:[0,1,0]
	ds_load_2addr_b32 v[46:47], v54 offset0:192 offset1:208
	v_dual_mov_b32 v68, v41 :: v_dual_mov_b32 v70, v45
	s_wait_dscnt 0x5
	v_pk_fma_f32 v[38:39], v[64:65], v[40:41], v[38:39] op_sel_hi:[1,0,1]
	v_pk_fma_f32 v[40:41], v[64:65], v[44:45], v[42:43] op_sel_hi:[1,0,1]
	ds_load_2addr_b32 v[42:43], v54 offset0:224 offset1:240
	s_wait_dscnt 0x0
	s_barrier_signal -1
	v_pk_fma_f32 v[38:39], v[76:77], v[68:69], v[38:39] op_sel_hi:[1,0,1]
	v_pk_fma_f32 v[40:41], v[76:77], v[70:71], v[40:41] op_sel_hi:[1,0,1]
	v_mov_b32_e32 v44, v59
	s_barrier_wait -1
	s_delay_alu instid0(VALU_DEP_3) | instskip(NEXT) | instid1(VALU_DEP_3)
	v_pk_fma_f32 v[38:39], v[66:67], v[56:57], v[38:39] op_sel_hi:[1,0,1]
	v_pk_fma_f32 v[40:41], v[66:67], v[60:61], v[40:41] op_sel_hi:[1,0,1]
	s_delay_alu instid0(VALU_DEP_2) | instskip(NEXT) | instid1(VALU_DEP_2)
	v_pk_fma_f32 v[38:39], v[72:73], v[56:57], v[38:39] op_sel:[0,1,0]
	v_pk_fma_f32 v[40:41], v[72:73], v[60:61], v[40:41] op_sel:[0,1,0]
	v_mov_b32_e32 v56, v63
	s_delay_alu instid0(VALU_DEP_3) | instskip(NEXT) | instid1(VALU_DEP_3)
	v_pk_fma_f32 v[38:39], v[46:47], v[58:59], v[38:39] op_sel_hi:[1,0,1]
	v_pk_fma_f32 v[46:47], v[46:47], v[62:63], v[40:41] op_sel_hi:[1,0,1]
	s_delay_alu instid0(VALU_DEP_2) | instskip(NEXT) | instid1(VALU_DEP_2)
	v_pk_fma_f32 v[40:41], v[42:43], v[44:45], v[38:39] op_sel_hi:[1,0,1]
	v_pk_fma_f32 v[38:39], v[42:43], v[56:57], v[46:47] op_sel_hi:[1,0,1]
	s_cbranch_scc1 .LBB10_47
.LBB10_11:                              ;   Parent Loop BB10_4 Depth=1
                                        ;     Parent Loop BB10_8 Depth=2
                                        ; =>    This Inner Loop Header: Depth=3
	v_add_nc_u64_e32 v[46:47], s[46:47], v[0:1]
	v_cmp_eq_u64_e64 s7, s[46:47], v[12:13]
	v_add_nc_u64_e32 v[42:43], s[38:39], v[28:29]
                                        ; implicit-def: $vgpr31
	s_delay_alu instid0(VALU_DEP_3) | instskip(SKIP_3) | instid1(SALU_CYCLE_1)
	v_cmp_le_i64_e64 s6, s[42:43], v[46:47]
	v_cmp_gt_i64_e64 s5, v[46:47], v[4:5]
	s_and_b32 s55, s52, s7
	s_or_b32 s7, s6, s5
	s_or_b32 s7, s7, s55
	s_delay_alu instid0(SALU_CYCLE_1) | instskip(NEXT) | instid1(SALU_CYCLE_1)
	s_nor_b32 s7, s0, s7
	s_and_saveexec_b32 s8, s7
	s_delay_alu instid0(SALU_CYCLE_1)
	s_xor_b32 s7, exec_lo, s8
	s_cbranch_execz .LBB10_13
; %bb.12:                               ;   in Loop: Header=BB10_11 Depth=3
	global_load_b32 v31, v[42:43], off
.LBB10_13:                              ;   in Loop: Header=BB10_11 Depth=3
	s_wait_xcnt 0x0
	s_and_not1_saveexec_b32 s7, s7
	s_cbranch_execz .LBB10_15
; %bb.14:                               ;   in Loop: Header=BB10_11 Depth=3
	s_wait_loadcnt 0x0
	v_cndmask_b32_e64 v31, 0, 1.0, s55
.LBB10_15:                              ;   in Loop: Header=BB10_11 Depth=3
	s_or_b32 exec_lo, exec_lo, s7
	v_cmp_eq_u64_e64 s7, s[46:47], v[16:17]
	v_cmp_lt_i64_e64 s8, v[10:11], v[46:47]
	v_add_nc_u64_e32 v[44:45], s[38:39], v[26:27]
	s_wait_loadcnt 0x0
	ds_store_b32 v50, v31
	s_and_b32 s7, s52, s7
	s_or_b32 s6, s6, s8
	s_delay_alu instid0(SALU_CYCLE_1) | instskip(NEXT) | instid1(SALU_CYCLE_1)
	s_or_b32 s6, s6, s7
	s_nor_b32 s6, s3, s6
	s_delay_alu instid0(SALU_CYCLE_1) | instskip(NEXT) | instid1(SALU_CYCLE_1)
	s_and_saveexec_b32 s8, s6
	s_xor_b32 s6, exec_lo, s8
	s_cbranch_execz .LBB10_17
; %bb.16:                               ;   in Loop: Header=BB10_11 Depth=3
	global_load_b32 v31, v[44:45], off
	s_wait_loadcnt 0x0
	ds_store_b32 v50, v31 offset:64
.LBB10_17:                              ;   in Loop: Header=BB10_11 Depth=3
	s_wait_xcnt 0x0
	s_and_not1_saveexec_b32 s6, s6
	s_cbranch_execz .LBB10_23
; %bb.18:                               ;   in Loop: Header=BB10_11 Depth=3
	s_xor_b32 s7, s7, -1
	s_delay_alu instid0(SALU_CYCLE_1) | instskip(NEXT) | instid1(SALU_CYCLE_1)
	s_and_saveexec_b32 s8, s7
	s_xor_b32 s7, exec_lo, s8
; %bb.19:                               ;   in Loop: Header=BB10_11 Depth=3
	ds_store_b32 v50, v1 offset:64
; %bb.20:                               ;   in Loop: Header=BB10_11 Depth=3
	s_and_not1_saveexec_b32 s7, s7
; %bb.21:                               ;   in Loop: Header=BB10_11 Depth=3
	ds_store_b32 v50, v48 offset:64
; %bb.22:                               ;   in Loop: Header=BB10_11 Depth=3
	s_or_b32 exec_lo, exec_lo, s7
.LBB10_23:                              ;   in Loop: Header=BB10_11 Depth=3
	s_delay_alu instid0(SALU_CYCLE_1) | instskip(SKIP_2) | instid1(VALU_DEP_2)
	s_or_b32 exec_lo, exec_lo, s6
	v_add_nc_u64_e32 v[46:47], 16, v[46:47]
	v_cmp_eq_u64_e64 s7, s[46:47], v[18:19]
                                        ; implicit-def: $vgpr31
	v_cmp_le_i64_e64 s6, s[42:43], v[46:47]
	v_cmp_gt_i64_e64 s8, v[46:47], v[4:5]
	s_and_b32 s7, s52, s7
	s_or_b32 s8, s6, s8
	s_delay_alu instid0(SALU_CYCLE_1) | instskip(NEXT) | instid1(SALU_CYCLE_1)
	s_or_b32 s8, s8, s7
	s_nor_b32 s8, s0, s8
	s_delay_alu instid0(SALU_CYCLE_1) | instskip(NEXT) | instid1(SALU_CYCLE_1)
	s_and_saveexec_b32 s56, s8
	s_xor_b32 s8, exec_lo, s56
	s_cbranch_execz .LBB10_25
; %bb.24:                               ;   in Loop: Header=BB10_11 Depth=3
	global_load_b32 v31, v[42:43], off offset:64
.LBB10_25:                              ;   in Loop: Header=BB10_11 Depth=3
	s_wait_xcnt 0x0
	s_and_not1_saveexec_b32 s8, s8
	s_cbranch_execz .LBB10_27
; %bb.26:                               ;   in Loop: Header=BB10_11 Depth=3
	s_wait_loadcnt 0x0
	v_cndmask_b32_e64 v31, 0, 1.0, s7
.LBB10_27:                              ;   in Loop: Header=BB10_11 Depth=3
	s_or_b32 exec_lo, exec_lo, s8
	s_or_b32 s5, s6, s5
	s_wait_loadcnt 0x0
	ds_store_b32 v50, v31 offset:2048
	s_or_b32 s5, s5, s55
	s_delay_alu instid0(SALU_CYCLE_1) | instskip(NEXT) | instid1(SALU_CYCLE_1)
	s_nor_b32 s5, s3, s5
	s_and_saveexec_b32 s6, s5
	s_delay_alu instid0(SALU_CYCLE_1)
	s_xor_b32 s5, exec_lo, s6
	s_cbranch_execz .LBB10_29
; %bb.28:                               ;   in Loop: Header=BB10_11 Depth=3
	global_load_b32 v31, v[44:45], off offset:64
	s_wait_loadcnt 0x0
	ds_store_b32 v50, v31 offset:2112
.LBB10_29:                              ;   in Loop: Header=BB10_11 Depth=3
	s_wait_xcnt 0x0
	s_and_not1_saveexec_b32 s5, s5
	s_cbranch_execz .LBB10_35
; %bb.30:                               ;   in Loop: Header=BB10_11 Depth=3
	s_xor_b32 s6, s55, -1
	s_delay_alu instid0(SALU_CYCLE_1) | instskip(NEXT) | instid1(SALU_CYCLE_1)
	s_and_saveexec_b32 s7, s6
	s_xor_b32 s6, exec_lo, s7
; %bb.31:                               ;   in Loop: Header=BB10_11 Depth=3
	ds_store_b32 v50, v1 offset:2112
; %bb.32:                               ;   in Loop: Header=BB10_11 Depth=3
	s_and_not1_saveexec_b32 s6, s6
; %bb.33:                               ;   in Loop: Header=BB10_11 Depth=3
	ds_store_b32 v50, v48 offset:2112
; %bb.34:                               ;   in Loop: Header=BB10_11 Depth=3
	s_or_b32 exec_lo, exec_lo, s6
.LBB10_35:                              ;   in Loop: Header=BB10_11 Depth=3
	s_delay_alu instid0(SALU_CYCLE_1) | instskip(SKIP_3) | instid1(VALU_DEP_3)
	s_or_b32 exec_lo, exec_lo, s5
	v_add_nc_u64_e32 v[44:45], s[46:47], v[2:3]
	v_add_nc_u64_e32 v[42:43], s[38:39], v[34:35]
	v_mov_b32_e32 v31, 0
	v_cmp_gt_i64_e64 s5, s[42:43], v[44:45]
	s_and_b32 s7, vcc_lo, s5
	s_delay_alu instid0(SALU_CYCLE_1)
	s_and_saveexec_b32 s6, s7
	s_cbranch_execz .LBB10_37
; %bb.36:                               ;   in Loop: Header=BB10_11 Depth=3
	global_load_b32 v31, v[42:43], off offset:-64
.LBB10_37:                              ;   in Loop: Header=BB10_11 Depth=3
	s_wait_xcnt 0x0
	s_or_b32 exec_lo, exec_lo, s6
	v_cmp_gt_i64_e64 s6, s[20:21], v[44:45]
	s_wait_loadcnt 0x0
	ds_store_b32 v51, v31
	s_and_b32 s7, vcc_lo, s6
	s_delay_alu instid0(SALU_CYCLE_1) | instskip(NEXT) | instid1(SALU_CYCLE_1)
	s_xor_b32 s7, s7, -1
	s_and_saveexec_b32 s8, s7
	s_delay_alu instid0(SALU_CYCLE_1)
	s_xor_b32 s7, exec_lo, s8
; %bb.38:                               ;   in Loop: Header=BB10_11 Depth=3
	ds_store_b32 v51, v1 offset:64
                                        ; implicit-def: $vgpr42_vgpr43
; %bb.39:                               ;   in Loop: Header=BB10_11 Depth=3
	s_and_not1_saveexec_b32 s7, s7
	s_cbranch_execz .LBB10_41
; %bb.40:                               ;   in Loop: Header=BB10_11 Depth=3
	global_load_b32 v31, v[42:43], off
	s_wait_loadcnt 0x0
	ds_store_b32 v51, v31 offset:64
.LBB10_41:                              ;   in Loop: Header=BB10_11 Depth=3
	s_wait_xcnt 0x0
	s_or_b32 exec_lo, exec_lo, s7
	v_add_nc_u64_e32 v[42:43], s[38:39], v[36:37]
	v_mov_b32_e32 v31, 0
	s_and_b32 s7, s4, s5
	s_delay_alu instid0(SALU_CYCLE_1)
	s_and_saveexec_b32 s5, s7
	s_cbranch_execz .LBB10_43
; %bb.42:                               ;   in Loop: Header=BB10_11 Depth=3
	global_load_b32 v31, v[42:43], off offset:-64
.LBB10_43:                              ;   in Loop: Header=BB10_11 Depth=3
	s_wait_xcnt 0x0
	s_or_b32 exec_lo, exec_lo, s5
	s_and_b32 s5, s4, s6
	s_wait_loadcnt 0x0
	ds_store_b32 v51, v31 offset:2048
	s_xor_b32 s5, s5, -1
	s_delay_alu instid0(SALU_CYCLE_1) | instskip(NEXT) | instid1(SALU_CYCLE_1)
	s_and_saveexec_b32 s6, s5
	s_xor_b32 s5, exec_lo, s6
; %bb.44:                               ;   in Loop: Header=BB10_11 Depth=3
	ds_store_b32 v51, v1 offset:2112
                                        ; implicit-def: $vgpr42_vgpr43
; %bb.45:                               ;   in Loop: Header=BB10_11 Depth=3
	s_and_not1_saveexec_b32 s5, s5
	s_cbranch_execz .LBB10_10
; %bb.46:                               ;   in Loop: Header=BB10_11 Depth=3
	global_load_b32 v31, v[42:43], off
	s_wait_loadcnt 0x0
	ds_store_b32 v51, v31 offset:2112
	s_branch .LBB10_10
.LBB10_47:                              ;   in Loop: Header=BB10_8 Depth=2
	s_delay_alu instid0(VALU_DEP_2) | instskip(SKIP_2) | instid1(VALU_DEP_2)
	v_mul_u64_e32 v[34:35], s[28:29], v[32:33]
	v_cmp_gt_i32_e32 vcc_lo, s10, v32
	s_and_b32 s5, s1, vcc_lo
	v_lshl_add_u64 v[34:35], v[34:35], 2, s[26:27]
	s_and_saveexec_b32 s4, s5
	s_cbranch_execz .LBB10_49
; %bb.48:                               ;   in Loop: Header=BB10_8 Depth=2
	s_delay_alu instid0(VALU_DEP_1)
	v_lshl_add_u64 v[36:37], v[4:5], 2, v[34:35]
	global_load_b32 v31, v[36:37], off
	s_wait_loadcnt 0x0
	v_fmac_f32_e32 v31, v55, v40
	global_store_b32 v[36:37], v31, off
.LBB10_49:                              ;   in Loop: Header=BB10_8 Depth=2
	s_wait_xcnt 0x0
	s_or_b32 exec_lo, exec_lo, s4
	s_and_b32 s5, s2, vcc_lo
	s_delay_alu instid0(SALU_CYCLE_1)
	s_and_saveexec_b32 s4, s5
	s_cbranch_execz .LBB10_51
; %bb.50:                               ;   in Loop: Header=BB10_8 Depth=2
	v_lshl_add_u64 v[34:35], v[8:9], 2, v[34:35]
	global_load_b32 v31, v[34:35], off
	s_wait_loadcnt 0x0
	v_fmac_f32_e32 v31, v55, v41
	global_store_b32 v[34:35], v31, off
.LBB10_51:                              ;   in Loop: Header=BB10_8 Depth=2
	s_wait_xcnt 0x0
	s_or_b32 exec_lo, exec_lo, s4
	v_add_nc_u32_e32 v32, 16, v32
	s_delay_alu instid0(VALU_DEP_1) | instskip(SKIP_1) | instid1(VALU_DEP_2)
	v_ashrrev_i32_e32 v33, 31, v32
	v_cmp_gt_i32_e32 vcc_lo, s10, v32
	v_mul_u64_e32 v[34:35], s[28:29], v[32:33]
	s_and_b32 s5, s1, vcc_lo
	s_delay_alu instid0(VALU_DEP_1)
	v_lshl_add_u64 v[32:33], v[34:35], 2, s[26:27]
	s_and_saveexec_b32 s4, s5
	s_cbranch_execz .LBB10_53
; %bb.52:                               ;   in Loop: Header=BB10_8 Depth=2
	s_delay_alu instid0(VALU_DEP_1)
	v_lshl_add_u64 v[34:35], v[4:5], 2, v[32:33]
	global_load_b32 v31, v[34:35], off
	s_wait_loadcnt 0x0
	v_fmac_f32_e32 v31, v55, v38
	global_store_b32 v[34:35], v31, off
.LBB10_53:                              ;   in Loop: Header=BB10_8 Depth=2
	s_wait_xcnt 0x0
	s_or_b32 exec_lo, exec_lo, s4
	s_and_b32 s5, s2, vcc_lo
	s_delay_alu instid0(SALU_CYCLE_1)
	s_and_saveexec_b32 s4, s5
	s_cbranch_execz .LBB10_7
; %bb.54:                               ;   in Loop: Header=BB10_8 Depth=2
	v_lshl_add_u64 v[32:33], v[8:9], 2, v[32:33]
	global_load_b32 v31, v[32:33], off
	s_wait_loadcnt 0x0
	v_fmac_f32_e32 v31, v55, v39
	global_store_b32 v[32:33], v31, off
	s_branch .LBB10_7
.LBB10_55:
	s_sendmsg sendmsg(MSG_DEALLOC_VGPRS)
	s_endpgm
	.section	.rodata,"a",@progbits
	.p2align	6, 0x0
	.amdhsa_kernel _ZL30rocblas_trmm_outofplace_kernelIfLi32ELi2ELb1ELb1ELb1ELb1EPKfS0_fEv17rocblas_diagonal_iiT6_lPT7_lllS5_lllPT8_llli
		.amdhsa_group_segment_fixed_size 8192
		.amdhsa_private_segment_fixed_size 0
		.amdhsa_kernarg_size 392
		.amdhsa_user_sgpr_count 2
		.amdhsa_user_sgpr_dispatch_ptr 0
		.amdhsa_user_sgpr_queue_ptr 0
		.amdhsa_user_sgpr_kernarg_segment_ptr 1
		.amdhsa_user_sgpr_dispatch_id 0
		.amdhsa_user_sgpr_kernarg_preload_length 0
		.amdhsa_user_sgpr_kernarg_preload_offset 0
		.amdhsa_user_sgpr_private_segment_size 0
		.amdhsa_wavefront_size32 1
		.amdhsa_uses_dynamic_stack 0
		.amdhsa_enable_private_segment 0
		.amdhsa_system_sgpr_workgroup_id_x 1
		.amdhsa_system_sgpr_workgroup_id_y 1
		.amdhsa_system_sgpr_workgroup_id_z 1
		.amdhsa_system_sgpr_workgroup_info 0
		.amdhsa_system_vgpr_workitem_id 1
		.amdhsa_next_free_vgpr 78
		.amdhsa_next_free_sgpr 57
		.amdhsa_named_barrier_count 0
		.amdhsa_reserve_vcc 1
		.amdhsa_float_round_mode_32 0
		.amdhsa_float_round_mode_16_64 0
		.amdhsa_float_denorm_mode_32 3
		.amdhsa_float_denorm_mode_16_64 3
		.amdhsa_fp16_overflow 0
		.amdhsa_memory_ordered 1
		.amdhsa_forward_progress 1
		.amdhsa_inst_pref_size 25
		.amdhsa_round_robin_scheduling 0
		.amdhsa_exception_fp_ieee_invalid_op 0
		.amdhsa_exception_fp_denorm_src 0
		.amdhsa_exception_fp_ieee_div_zero 0
		.amdhsa_exception_fp_ieee_overflow 0
		.amdhsa_exception_fp_ieee_underflow 0
		.amdhsa_exception_fp_ieee_inexact 0
		.amdhsa_exception_int_div_zero 0
	.end_amdhsa_kernel
	.section	.text._ZL30rocblas_trmm_outofplace_kernelIfLi32ELi2ELb1ELb1ELb1ELb1EPKfS0_fEv17rocblas_diagonal_iiT6_lPT7_lllS5_lllPT8_llli,"axG",@progbits,_ZL30rocblas_trmm_outofplace_kernelIfLi32ELi2ELb1ELb1ELb1ELb1EPKfS0_fEv17rocblas_diagonal_iiT6_lPT7_lllS5_lllPT8_llli,comdat
.Lfunc_end10:
	.size	_ZL30rocblas_trmm_outofplace_kernelIfLi32ELi2ELb1ELb1ELb1ELb1EPKfS0_fEv17rocblas_diagonal_iiT6_lPT7_lllS5_lllPT8_llli, .Lfunc_end10-_ZL30rocblas_trmm_outofplace_kernelIfLi32ELi2ELb1ELb1ELb1ELb1EPKfS0_fEv17rocblas_diagonal_iiT6_lPT7_lllS5_lllPT8_llli
                                        ; -- End function
	.set _ZL30rocblas_trmm_outofplace_kernelIfLi32ELi2ELb1ELb1ELb1ELb1EPKfS0_fEv17rocblas_diagonal_iiT6_lPT7_lllS5_lllPT8_llli.num_vgpr, 78
	.set _ZL30rocblas_trmm_outofplace_kernelIfLi32ELi2ELb1ELb1ELb1ELb1EPKfS0_fEv17rocblas_diagonal_iiT6_lPT7_lllS5_lllPT8_llli.num_agpr, 0
	.set _ZL30rocblas_trmm_outofplace_kernelIfLi32ELi2ELb1ELb1ELb1ELb1EPKfS0_fEv17rocblas_diagonal_iiT6_lPT7_lllS5_lllPT8_llli.numbered_sgpr, 57
	.set _ZL30rocblas_trmm_outofplace_kernelIfLi32ELi2ELb1ELb1ELb1ELb1EPKfS0_fEv17rocblas_diagonal_iiT6_lPT7_lllS5_lllPT8_llli.num_named_barrier, 0
	.set _ZL30rocblas_trmm_outofplace_kernelIfLi32ELi2ELb1ELb1ELb1ELb1EPKfS0_fEv17rocblas_diagonal_iiT6_lPT7_lllS5_lllPT8_llli.private_seg_size, 0
	.set _ZL30rocblas_trmm_outofplace_kernelIfLi32ELi2ELb1ELb1ELb1ELb1EPKfS0_fEv17rocblas_diagonal_iiT6_lPT7_lllS5_lllPT8_llli.uses_vcc, 1
	.set _ZL30rocblas_trmm_outofplace_kernelIfLi32ELi2ELb1ELb1ELb1ELb1EPKfS0_fEv17rocblas_diagonal_iiT6_lPT7_lllS5_lllPT8_llli.uses_flat_scratch, 0
	.set _ZL30rocblas_trmm_outofplace_kernelIfLi32ELi2ELb1ELb1ELb1ELb1EPKfS0_fEv17rocblas_diagonal_iiT6_lPT7_lllS5_lllPT8_llli.has_dyn_sized_stack, 0
	.set _ZL30rocblas_trmm_outofplace_kernelIfLi32ELi2ELb1ELb1ELb1ELb1EPKfS0_fEv17rocblas_diagonal_iiT6_lPT7_lllS5_lllPT8_llli.has_recursion, 0
	.set _ZL30rocblas_trmm_outofplace_kernelIfLi32ELi2ELb1ELb1ELb1ELb1EPKfS0_fEv17rocblas_diagonal_iiT6_lPT7_lllS5_lllPT8_llli.has_indirect_call, 0
	.section	.AMDGPU.csdata,"",@progbits
; Kernel info:
; codeLenInByte = 3200
; TotalNumSgprs: 59
; NumVgprs: 78
; ScratchSize: 0
; MemoryBound: 0
; FloatMode: 240
; IeeeMode: 1
; LDSByteSize: 8192 bytes/workgroup (compile time only)
; SGPRBlocks: 0
; VGPRBlocks: 4
; NumSGPRsForWavesPerEU: 59
; NumVGPRsForWavesPerEU: 78
; NamedBarCnt: 0
; Occupancy: 12
; WaveLimiterHint : 0
; COMPUTE_PGM_RSRC2:SCRATCH_EN: 0
; COMPUTE_PGM_RSRC2:USER_SGPR: 2
; COMPUTE_PGM_RSRC2:TRAP_HANDLER: 0
; COMPUTE_PGM_RSRC2:TGID_X_EN: 1
; COMPUTE_PGM_RSRC2:TGID_Y_EN: 1
; COMPUTE_PGM_RSRC2:TGID_Z_EN: 1
; COMPUTE_PGM_RSRC2:TIDIG_COMP_CNT: 1
	.section	.text._ZL30rocblas_trmm_outofplace_kernelIfLi32ELi2ELb1ELb1ELb1ELb1EfKffEv17rocblas_diagonal_iiT6_lPT7_lllS4_lllPT8_llli,"axG",@progbits,_ZL30rocblas_trmm_outofplace_kernelIfLi32ELi2ELb1ELb1ELb1ELb1EfKffEv17rocblas_diagonal_iiT6_lPT7_lllS4_lllPT8_llli,comdat
	.globl	_ZL30rocblas_trmm_outofplace_kernelIfLi32ELi2ELb1ELb1ELb1ELb1EfKffEv17rocblas_diagonal_iiT6_lPT7_lllS4_lllPT8_llli ; -- Begin function _ZL30rocblas_trmm_outofplace_kernelIfLi32ELi2ELb1ELb1ELb1ELb1EfKffEv17rocblas_diagonal_iiT6_lPT7_lllS4_lllPT8_llli
	.p2align	8
	.type	_ZL30rocblas_trmm_outofplace_kernelIfLi32ELi2ELb1ELb1ELb1ELb1EfKffEv17rocblas_diagonal_iiT6_lPT7_lllS4_lllPT8_llli,@function
_ZL30rocblas_trmm_outofplace_kernelIfLi32ELi2ELb1ELb1ELb1ELb1EfKffEv17rocblas_diagonal_iiT6_lPT7_lllS4_lllPT8_llli: ; @_ZL30rocblas_trmm_outofplace_kernelIfLi32ELi2ELb1ELb1ELb1ELb1EfKffEv17rocblas_diagonal_iiT6_lPT7_lllS4_lllPT8_llli
; %bb.0:
	s_load_b32 s33, s[0:1], 0x78
	s_bfe_u32 s2, ttmp6, 0x40014
	s_lshr_b32 s3, ttmp7, 16
	s_add_co_i32 s2, s2, 1
	s_bfe_u32 s5, ttmp6, 0x40008
	s_mul_i32 s4, s3, s2
	s_getreg_b32 s2, hwreg(HW_REG_IB_STS2, 6, 4)
	s_add_co_i32 s5, s5, s4
	s_cmp_eq_u32 s2, 0
	s_cselect_b32 s34, s3, s5
	s_wait_kmcnt 0x0
	s_cmp_ge_u32 s34, s33
	s_cbranch_scc1 .LBB11_54
; %bb.1:
	s_load_b128 s[28:31], s[0:1], 0x0
	s_wait_kmcnt 0x0
	s_cmp_eq_f32 s31, 0
	s_cbranch_scc1 .LBB11_54
; %bb.2:
	s_add_co_i32 s3, s30, -1
	s_bfe_u32 s6, ttmp6, 0x4000c
	s_ashr_i32 s5, s3, 31
	s_bfe_u32 s7, ttmp6, 0x40010
	s_lshr_b32 s5, s5, 27
	s_add_co_i32 s6, s6, 1
	s_add_co_i32 s3, s3, s5
	;; [unrolled: 1-line block ×3, first 2 shown]
	s_ashr_i32 s44, s3, 5
	s_and_b32 s3, ttmp7, 0xffff
	s_and_b32 s4, ttmp6, 15
	s_mul_i32 s5, ttmp9, s6
	s_mul_i32 s6, s3, s7
	s_bfe_u32 s7, ttmp6, 0x40004
	s_add_co_i32 s4, s4, s5
	s_add_co_i32 s7, s7, s6
	s_cmp_eq_u32 s2, 0
	v_and_b32_e32 v2, 0x3ff, v0
	s_cselect_b32 s45, s3, s7
	s_cselect_b32 s2, ttmp9, s4
	s_load_b512 s[4:19], s[0:1], 0x18
	s_cmp_le_i32 s45, s44
	v_mov_b32_e32 v1, 0
	s_cselect_b32 s46, -1, 0
	s_lshl_b32 s47, s2, 5
	s_cmp_gt_i32 s2, -1
	v_dual_add_nc_u32 v4, s47, v2 :: v_dual_lshlrev_b32 v6, 2, v2
	s_cselect_b32 s48, -1, 0
	s_cmp_eq_u32 s28, 0x84
	v_bfe_u32 v0, v0, 10, 10
	s_delay_alu instid0(VALU_DEP_2) | instskip(SKIP_2) | instid1(VALU_DEP_2)
	v_ashrrev_i32_e32 v5, 31, v4
	s_cselect_b32 s49, -1, 0
	s_load_b256 s[20:27], s[0:1], 0x58
	v_dual_mov_b32 v3, v1 :: v_dual_lshlrev_b32 v7, 7, v0
	s_delay_alu instid0(VALU_DEP_2)
	v_lshl_add_u64 v[10:11], v[4:5], 2, 64
	v_dual_mov_b32 v19, v1 :: v_dual_lshlrev_b32 v18, 2, v0
	v_add_nc_u64_e32 v[8:9], 16, v[4:5]
	s_wait_kmcnt 0x0
	v_mul_u64_e32 v[14:15], s[8:9], v[4:5]
	s_lshl_b64 s[2:3], s[6:7], 2
	v_add_nc_u32_e32 v49, 0x1000, v7
	v_mad_nc_u64_u32 v[16:17], s8, v10, s[2:3]
	v_add_nc_u32_e32 v48, v6, v7
	v_sub_nc_u64_e32 v[12:13], v[4:5], v[0:1]
	s_ashr_i32 s37, s29, 31
	s_mov_b32 s36, s29
	v_add_nc_u32_e32 v50, v49, v6
	v_add_nc_u32_e32 v52, 0x400, v6
	;; [unrolled: 1-line block ×4, first 2 shown]
	s_mov_b32 s35, 0
	s_lshl_b64 s[6:7], s[22:23], 2
	v_mad_u32 v7, s9, v10, v17
	v_add_nc_u32_e32 v10, 16, v4
	s_add_nc_u64 s[20:21], s[20:21], s[6:7]
	s_lshl_b64 s[6:7], s[14:15], 2
	s_add_nc_u64 s[22:23], s[0:1], 0x80
	s_add_nc_u64 s[6:7], s[12:13], s[6:7]
	v_cmp_le_i64_e64 s1, s[36:37], v[8:9]
	v_cmp_le_i32_e64 s0, s29, v4
	v_mov_b32_e32 v51, 1.0
	s_ashr_i32 s39, s30, 31
	s_mov_b32 s38, s30
	v_mad_u32 v17, s8, v11, v7
	v_dual_mov_b32 v7, v1 :: v_dual_ashrrev_i32 v11, 31, v10
	s_add_nc_u64 s[40:41], s[36:37], -16
	s_lshl_b64 s[12:13], s[18:19], 2
	s_lshl_b64 s[14:15], s[16:17], 2
	s_delay_alu instid0(VALU_DEP_1)
	v_add_nc_u64_e32 v[20:21], s[6:7], v[6:7]
	v_lshl_add_u64 v[14:15], v[14:15], 2, s[2:3]
	v_cmp_gt_i32_e64 s2, s29, v4
	v_cmp_gt_i32_e64 s3, s29, v10
	v_lshl_add_u32 v7, s45, 5, v0
	v_add_nc_u64_e32 v[22:23], v[16:17], v[18:19]
	v_add_nc_u64_e32 v[24:25], v[14:15], v[18:19]
	;; [unrolled: 1-line block ×3, first 2 shown]
	v_add_nc_u64_e32 v[16:17], -16, v[12:13]
	v_add_nc_u64_e32 v[18:19], 64, v[20:21]
	s_lshl_b64 s[10:11], s[10:11], 2
	v_add_nc_u64_e32 v[20:21], s[4:5], v[22:23]
	v_add_nc_u64_e32 v[22:23], s[4:5], v[24:25]
	s_branch .LBB11_4
.LBB11_3:                               ;   in Loop: Header=BB11_4 Depth=1
	s_add_co_i32 s34, s34, 0x10000
	s_delay_alu instid0(SALU_CYCLE_1)
	s_cmp_ge_u32 s34, s33
	s_cbranch_scc1 .LBB11_54
.LBB11_4:                               ; =>This Loop Header: Depth=1
                                        ;     Child Loop BB11_7 Depth 2
                                        ;       Child Loop BB11_10 Depth 3
	s_and_not1_b32 vcc_lo, exec_lo, s46
	s_cbranch_vccnz .LBB11_3
; %bb.5:                                ;   in Loop: Header=BB11_4 Depth=1
	s_load_b32 s9, s[22:23], 0x4
	v_mad_nc_u64_u32 v[24:25], s12, s34, v[18:19]
	v_mad_nc_u64_u32 v[26:27], s10, s34, v[20:21]
	;; [unrolled: 1-line block ×3, first 2 shown]
	s_mul_i32 s6, s11, s34
	s_mul_u64 s[4:5], s[26:27], s[34:35]
	v_mov_b32_e32 v30, v7
	s_lshl_b64 s[4:5], s[4:5], 2
	s_mov_b32 s51, s45
	s_add_nc_u64 s[18:19], s[20:21], s[4:5]
	s_delay_alu instid0(VALU_DEP_4) | instskip(NEXT) | instid1(VALU_DEP_3)
	v_mad_u32 v25, s13, s34, v25
	v_dual_add_nc_u32 v27, s6, v27 :: v_dual_add_nc_u32 v29, s6, v29
	s_wait_kmcnt 0x0
	s_lshl_b32 s50, s9, 5
	s_branch .LBB11_7
.LBB11_6:                               ;   in Loop: Header=BB11_7 Depth=2
	s_wait_xcnt 0x0
	s_or_b32 exec_lo, exec_lo, s4
	v_add_nc_u32_e32 v30, s50, v30
	s_add_co_i32 s51, s9, s51
	s_delay_alu instid0(SALU_CYCLE_1)
	s_cmp_gt_i32 s51, s44
	s_cbranch_scc1 .LBB11_3
.LBB11_7:                               ;   Parent Loop BB11_4 Depth=1
                                        ; =>  This Loop Header: Depth=2
                                        ;       Child Loop BB11_10 Depth 3
	v_lshl_add_u32 v32, s51, 5, v0
	v_mov_b32_e32 v41, 0
	s_and_not1_b32 vcc_lo, exec_lo, s48
	s_delay_alu instid0(VALU_DEP_1)
	v_dual_mov_b32 v40, v41 :: v_dual_ashrrev_i32 v33, 31, v32
	v_dual_mov_b32 v39, v41 :: v_dual_mov_b32 v38, v41
	s_cbranch_vccnz .LBB11_46
; %bb.8:                                ;   in Loop: Header=BB11_7 Depth=2
	v_ashrrev_i32_e32 v31, 31, v30
	v_mad_nc_u64_u32 v[34:35], s14, v30, v[24:25]
	v_sub_nc_u64_e32 v[40:41], s[38:39], v[32:33]
	s_mov_b64 s[28:29], 0
	s_mov_b64 s[42:43], 0
	v_lshl_add_u64 v[38:39], v[30:31], 2, 64
	s_delay_alu instid0(VALU_DEP_2) | instskip(NEXT) | instid1(VALU_DEP_2)
	v_cmp_lt_i64_e64 s4, 16, v[40:41]
	v_mad_nc_u64_u32 v[36:37], s16, v38, v[24:25]
	v_cmp_lt_i64_e32 vcc_lo, 0, v[40:41]
	v_mad_u32 v35, s15, v30, v35
	s_delay_alu instid0(VALU_DEP_3) | instskip(SKIP_1) | instid1(VALU_DEP_3)
	v_mad_u32 v37, s17, v38, v37
	v_mov_b32_e32 v38, 0
	v_mad_u32 v35, s14, v31, v35
	s_delay_alu instid0(VALU_DEP_2) | instskip(NEXT) | instid1(VALU_DEP_4)
	v_dual_mov_b32 v41, v38 :: v_dual_mov_b32 v40, v38
	v_mad_u32 v37, s16, v39, v37
	v_mov_b32_e32 v39, v38
	s_branch .LBB11_10
.LBB11_9:                               ;   in Loop: Header=BB11_10 Depth=3
	s_wait_xcnt 0x0
	s_or_b32 exec_lo, exec_lo, s5
	s_wait_dscnt 0x0
	s_barrier_signal -1
	s_barrier_wait -1
	ds_load_b128 v[42:45], v49
	ds_load_2addr_b32 v[46:47], v6 offset1:16
	ds_load_b128 v[56:59], v49 offset:2048
	ds_load_2addr_b32 v[68:69], v6 offset0:32 offset1:48
	ds_load_2addr_b32 v[70:71], v6 offset0:64 offset1:80
	;; [unrolled: 1-line block ×3, first 2 shown]
	ds_load_b128 v[60:63], v49 offset:16
	ds_load_2addr_b32 v[74:75], v6 offset0:128 offset1:144
	ds_load_b128 v[64:67], v49 offset:2064
	s_add_nc_u64 s[42:43], s[42:43], 32
	s_add_nc_u64 s[28:29], s[28:29], 0x80
	s_sub_co_i32 s5, s42, 32
	s_delay_alu instid0(SALU_CYCLE_1)
	s_cmp_ge_i32 s5, s47
	s_wait_dscnt 0x7
	v_pk_fma_f32 v[40:41], v[46:47], v[42:43], v[40:41] op_sel_hi:[1,0,1]
	s_wait_dscnt 0x6
	v_pk_fma_f32 v[38:39], v[46:47], v[56:57], v[38:39] op_sel_hi:[1,0,1]
	ds_load_2addr_b32 v[46:47], v6 offset0:160 offset1:176
	s_wait_dscnt 0x6
	v_pk_fma_f32 v[40:41], v[68:69], v[42:43], v[40:41] op_sel:[0,1,0]
	v_pk_fma_f32 v[38:39], v[68:69], v[56:57], v[38:39] op_sel:[0,1,0]
	ds_load_2addr_b32 v[56:57], v6 offset0:192 offset1:208
	v_dual_mov_b32 v42, v45 :: v_dual_mov_b32 v68, v59
	s_wait_dscnt 0x6
	v_pk_fma_f32 v[40:41], v[70:71], v[44:45], v[40:41] op_sel_hi:[1,0,1]
	v_pk_fma_f32 v[38:39], v[70:71], v[58:59], v[38:39] op_sel_hi:[1,0,1]
	ds_load_2addr_b32 v[58:59], v6 offset0:224 offset1:240
	s_wait_dscnt 0x6
	v_pk_fma_f32 v[70:71], v[72:73], v[42:43], v[40:41] op_sel_hi:[1,0,1]
	v_pk_fma_f32 v[68:69], v[72:73], v[68:69], v[38:39] op_sel_hi:[1,0,1]
	ds_load_b128 v[38:41], v49 offset:32
	ds_load_2addr_b32 v[72:73], v52 offset1:16
	ds_load_b128 v[42:45], v49 offset:2080
	s_wait_dscnt 0x7
	v_pk_fma_f32 v[70:71], v[74:75], v[60:61], v[70:71] op_sel_hi:[1,0,1]
	s_wait_dscnt 0x6
	v_pk_fma_f32 v[68:69], v[74:75], v[64:65], v[68:69] op_sel_hi:[1,0,1]
	ds_load_2addr_b32 v[74:75], v52 offset0:32 offset1:48
	s_wait_dscnt 0x6
	v_pk_fma_f32 v[60:61], v[46:47], v[60:61], v[70:71] op_sel:[0,1,0]
	v_pk_fma_f32 v[46:47], v[46:47], v[64:65], v[68:69] op_sel:[0,1,0]
	ds_load_2addr_b32 v[64:65], v52 offset0:64 offset1:80
	v_dual_mov_b32 v68, v63 :: v_dual_mov_b32 v70, v67
	s_wait_dscnt 0x6
	v_pk_fma_f32 v[60:61], v[56:57], v[62:63], v[60:61] op_sel_hi:[1,0,1]
	v_pk_fma_f32 v[46:47], v[56:57], v[66:67], v[46:47] op_sel_hi:[1,0,1]
	ds_load_2addr_b32 v[66:67], v52 offset0:96 offset1:112
	s_wait_dscnt 0x6
	v_pk_fma_f32 v[68:69], v[58:59], v[68:69], v[60:61] op_sel_hi:[1,0,1]
	v_pk_fma_f32 v[46:47], v[58:59], v[70:71], v[46:47] op_sel_hi:[1,0,1]
	ds_load_b128 v[56:59], v49 offset:48
	ds_load_2addr_b32 v[70:71], v52 offset0:128 offset1:144
	ds_load_b128 v[60:63], v49 offset:2096
	s_wait_dscnt 0x7
	v_pk_fma_f32 v[68:69], v[72:73], v[38:39], v[68:69] op_sel_hi:[1,0,1]
	s_wait_dscnt 0x6
	v_pk_fma_f32 v[46:47], v[72:73], v[42:43], v[46:47] op_sel_hi:[1,0,1]
	ds_load_2addr_b32 v[72:73], v52 offset0:160 offset1:176
	s_wait_dscnt 0x6
	v_pk_fma_f32 v[38:39], v[74:75], v[38:39], v[68:69] op_sel:[0,1,0]
	v_pk_fma_f32 v[42:43], v[74:75], v[42:43], v[46:47] op_sel:[0,1,0]
	ds_load_2addr_b32 v[46:47], v52 offset0:192 offset1:208
	v_dual_mov_b32 v68, v41 :: v_dual_mov_b32 v74, v45
	s_wait_dscnt 0x6
	v_pk_fma_f32 v[38:39], v[64:65], v[40:41], v[38:39] op_sel_hi:[1,0,1]
	v_pk_fma_f32 v[40:41], v[64:65], v[44:45], v[42:43] op_sel_hi:[1,0,1]
	ds_load_2addr_b32 v[64:65], v52 offset0:224 offset1:240
	s_wait_dscnt 0x6
	v_pk_fma_f32 v[68:69], v[66:67], v[68:69], v[38:39] op_sel_hi:[1,0,1]
	v_pk_fma_f32 v[66:67], v[66:67], v[74:75], v[40:41] op_sel_hi:[1,0,1]
	ds_load_b128 v[38:41], v49 offset:64
	ds_load_2addr_b32 v[74:75], v53 offset1:16
	ds_load_b128 v[42:45], v49 offset:2112
	ds_load_2addr_b32 v[76:77], v53 offset0:96 offset1:112
	s_wait_dscnt 0x8
	v_pk_fma_f32 v[68:69], v[70:71], v[56:57], v[68:69] op_sel_hi:[1,0,1]
	s_wait_dscnt 0x7
	v_pk_fma_f32 v[66:67], v[70:71], v[60:61], v[66:67] op_sel_hi:[1,0,1]
	ds_load_2addr_b32 v[70:71], v53 offset0:32 offset1:48
	s_wait_dscnt 0x7
	v_pk_fma_f32 v[56:57], v[72:73], v[56:57], v[68:69] op_sel:[0,1,0]
	v_pk_fma_f32 v[60:61], v[72:73], v[60:61], v[66:67] op_sel:[0,1,0]
	ds_load_2addr_b32 v[66:67], v53 offset0:64 offset1:80
	v_dual_mov_b32 v68, v59 :: v_dual_mov_b32 v72, v63
	s_wait_dscnt 0x7
	v_pk_fma_f32 v[56:57], v[46:47], v[58:59], v[56:57] op_sel_hi:[1,0,1]
	v_pk_fma_f32 v[46:47], v[46:47], v[62:63], v[60:61] op_sel_hi:[1,0,1]
	s_wait_dscnt 0x6
	s_delay_alu instid0(VALU_DEP_2) | instskip(NEXT) | instid1(VALU_DEP_2)
	v_pk_fma_f32 v[68:69], v[64:65], v[68:69], v[56:57] op_sel_hi:[1,0,1]
	v_pk_fma_f32 v[46:47], v[64:65], v[72:73], v[46:47] op_sel_hi:[1,0,1]
	ds_load_b128 v[56:59], v49 offset:80
	ds_load_2addr_b32 v[64:65], v53 offset0:128 offset1:144
	ds_load_b128 v[60:63], v49 offset:2128
	ds_load_2addr_b32 v[72:73], v53 offset0:160 offset1:176
	s_wait_dscnt 0x8
	v_pk_fma_f32 v[68:69], v[74:75], v[38:39], v[68:69] op_sel_hi:[1,0,1]
	s_wait_dscnt 0x7
	v_pk_fma_f32 v[46:47], v[74:75], v[42:43], v[46:47] op_sel_hi:[1,0,1]
	s_wait_dscnt 0x5
	s_delay_alu instid0(VALU_DEP_2) | instskip(NEXT) | instid1(VALU_DEP_2)
	v_pk_fma_f32 v[38:39], v[70:71], v[38:39], v[68:69] op_sel:[0,1,0]
	v_pk_fma_f32 v[42:43], v[70:71], v[42:43], v[46:47] op_sel:[0,1,0]
	ds_load_2addr_b32 v[46:47], v53 offset0:192 offset1:208
	v_dual_mov_b32 v68, v41 :: v_dual_mov_b32 v70, v45
	s_wait_dscnt 0x5
	v_pk_fma_f32 v[38:39], v[66:67], v[40:41], v[38:39] op_sel_hi:[1,0,1]
	v_pk_fma_f32 v[40:41], v[66:67], v[44:45], v[42:43] op_sel_hi:[1,0,1]
	ds_load_2addr_b32 v[66:67], v53 offset0:224 offset1:240
	v_pk_fma_f32 v[68:69], v[76:77], v[68:69], v[38:39] op_sel_hi:[1,0,1]
	v_pk_fma_f32 v[70:71], v[76:77], v[70:71], v[40:41] op_sel_hi:[1,0,1]
	ds_load_b128 v[38:41], v49 offset:96
	ds_load_2addr_b32 v[74:75], v54 offset1:16
	ds_load_b128 v[42:45], v49 offset:2144
	ds_load_2addr_b32 v[76:77], v54 offset0:96 offset1:112
	s_wait_dscnt 0x8
	v_pk_fma_f32 v[68:69], v[64:65], v[56:57], v[68:69] op_sel_hi:[1,0,1]
	s_wait_dscnt 0x7
	v_pk_fma_f32 v[64:65], v[64:65], v[60:61], v[70:71] op_sel_hi:[1,0,1]
	ds_load_2addr_b32 v[70:71], v54 offset0:32 offset1:48
	s_wait_dscnt 0x7
	v_pk_fma_f32 v[56:57], v[72:73], v[56:57], v[68:69] op_sel:[0,1,0]
	v_pk_fma_f32 v[60:61], v[72:73], v[60:61], v[64:65] op_sel:[0,1,0]
	ds_load_2addr_b32 v[64:65], v54 offset0:64 offset1:80
	v_dual_mov_b32 v68, v59 :: v_dual_mov_b32 v72, v63
	s_wait_dscnt 0x7
	v_pk_fma_f32 v[56:57], v[46:47], v[58:59], v[56:57] op_sel_hi:[1,0,1]
	v_pk_fma_f32 v[46:47], v[46:47], v[62:63], v[60:61] op_sel_hi:[1,0,1]
	s_wait_dscnt 0x6
	s_delay_alu instid0(VALU_DEP_2) | instskip(NEXT) | instid1(VALU_DEP_2)
	v_pk_fma_f32 v[68:69], v[66:67], v[68:69], v[56:57] op_sel_hi:[1,0,1]
	v_pk_fma_f32 v[46:47], v[66:67], v[72:73], v[46:47] op_sel_hi:[1,0,1]
	ds_load_b128 v[56:59], v49 offset:112
	ds_load_2addr_b32 v[66:67], v54 offset0:128 offset1:144
	ds_load_b128 v[60:63], v49 offset:2160
	ds_load_2addr_b32 v[72:73], v54 offset0:160 offset1:176
	s_wait_dscnt 0x8
	v_pk_fma_f32 v[68:69], v[74:75], v[38:39], v[68:69] op_sel_hi:[1,0,1]
	s_wait_dscnt 0x7
	v_pk_fma_f32 v[46:47], v[74:75], v[42:43], v[46:47] op_sel_hi:[1,0,1]
	s_wait_dscnt 0x5
	s_delay_alu instid0(VALU_DEP_2) | instskip(NEXT) | instid1(VALU_DEP_2)
	v_pk_fma_f32 v[38:39], v[70:71], v[38:39], v[68:69] op_sel:[0,1,0]
	v_pk_fma_f32 v[42:43], v[70:71], v[42:43], v[46:47] op_sel:[0,1,0]
	ds_load_2addr_b32 v[46:47], v54 offset0:192 offset1:208
	v_dual_mov_b32 v68, v41 :: v_dual_mov_b32 v70, v45
	s_wait_dscnt 0x5
	v_pk_fma_f32 v[38:39], v[64:65], v[40:41], v[38:39] op_sel_hi:[1,0,1]
	v_pk_fma_f32 v[40:41], v[64:65], v[44:45], v[42:43] op_sel_hi:[1,0,1]
	ds_load_2addr_b32 v[42:43], v54 offset0:224 offset1:240
	s_wait_dscnt 0x0
	s_barrier_signal -1
	v_pk_fma_f32 v[38:39], v[76:77], v[68:69], v[38:39] op_sel_hi:[1,0,1]
	v_pk_fma_f32 v[40:41], v[76:77], v[70:71], v[40:41] op_sel_hi:[1,0,1]
	v_mov_b32_e32 v44, v59
	s_barrier_wait -1
	s_delay_alu instid0(VALU_DEP_3) | instskip(NEXT) | instid1(VALU_DEP_3)
	v_pk_fma_f32 v[38:39], v[66:67], v[56:57], v[38:39] op_sel_hi:[1,0,1]
	v_pk_fma_f32 v[40:41], v[66:67], v[60:61], v[40:41] op_sel_hi:[1,0,1]
	s_delay_alu instid0(VALU_DEP_2) | instskip(NEXT) | instid1(VALU_DEP_2)
	v_pk_fma_f32 v[38:39], v[72:73], v[56:57], v[38:39] op_sel:[0,1,0]
	v_pk_fma_f32 v[40:41], v[72:73], v[60:61], v[40:41] op_sel:[0,1,0]
	v_mov_b32_e32 v56, v63
	s_delay_alu instid0(VALU_DEP_3) | instskip(NEXT) | instid1(VALU_DEP_3)
	v_pk_fma_f32 v[38:39], v[46:47], v[58:59], v[38:39] op_sel_hi:[1,0,1]
	v_pk_fma_f32 v[46:47], v[46:47], v[62:63], v[40:41] op_sel_hi:[1,0,1]
	s_delay_alu instid0(VALU_DEP_2) | instskip(NEXT) | instid1(VALU_DEP_2)
	v_pk_fma_f32 v[40:41], v[42:43], v[44:45], v[38:39] op_sel_hi:[1,0,1]
	v_pk_fma_f32 v[38:39], v[42:43], v[56:57], v[46:47] op_sel_hi:[1,0,1]
	s_cbranch_scc1 .LBB11_46
.LBB11_10:                              ;   Parent Loop BB11_4 Depth=1
                                        ;     Parent Loop BB11_7 Depth=2
                                        ; =>    This Inner Loop Header: Depth=3
	v_add_nc_u64_e32 v[46:47], s[42:43], v[0:1]
	v_cmp_eq_u64_e64 s7, s[42:43], v[12:13]
	v_add_nc_u64_e32 v[42:43], s[28:29], v[28:29]
                                        ; implicit-def: $vgpr31
	s_delay_alu instid0(VALU_DEP_3) | instskip(SKIP_3) | instid1(SALU_CYCLE_1)
	v_cmp_le_i64_e64 s6, s[36:37], v[46:47]
	v_cmp_gt_i64_e64 s5, v[46:47], v[4:5]
	s_and_b32 s52, s49, s7
	s_or_b32 s7, s6, s5
	s_or_b32 s7, s7, s52
	s_delay_alu instid0(SALU_CYCLE_1) | instskip(NEXT) | instid1(SALU_CYCLE_1)
	s_nor_b32 s7, s0, s7
	s_and_saveexec_b32 s8, s7
	s_delay_alu instid0(SALU_CYCLE_1)
	s_xor_b32 s7, exec_lo, s8
	s_cbranch_execz .LBB11_12
; %bb.11:                               ;   in Loop: Header=BB11_10 Depth=3
	global_load_b32 v31, v[42:43], off
.LBB11_12:                              ;   in Loop: Header=BB11_10 Depth=3
	s_wait_xcnt 0x0
	s_and_not1_saveexec_b32 s7, s7
	s_cbranch_execz .LBB11_14
; %bb.13:                               ;   in Loop: Header=BB11_10 Depth=3
	s_wait_loadcnt 0x0
	v_cndmask_b32_e64 v31, 0, 1.0, s52
.LBB11_14:                              ;   in Loop: Header=BB11_10 Depth=3
	s_or_b32 exec_lo, exec_lo, s7
	v_cmp_eq_u64_e64 s7, s[42:43], v[14:15]
	v_cmp_lt_i64_e64 s8, v[8:9], v[46:47]
	v_add_nc_u64_e32 v[44:45], s[28:29], v[26:27]
	s_wait_loadcnt 0x0
	ds_store_b32 v48, v31
	s_and_b32 s7, s49, s7
	s_or_b32 s6, s6, s8
	s_delay_alu instid0(SALU_CYCLE_1) | instskip(NEXT) | instid1(SALU_CYCLE_1)
	s_or_b32 s6, s6, s7
	s_nor_b32 s6, s1, s6
	s_delay_alu instid0(SALU_CYCLE_1) | instskip(NEXT) | instid1(SALU_CYCLE_1)
	s_and_saveexec_b32 s8, s6
	s_xor_b32 s6, exec_lo, s8
	s_cbranch_execz .LBB11_16
; %bb.15:                               ;   in Loop: Header=BB11_10 Depth=3
	global_load_b32 v31, v[44:45], off
	s_wait_loadcnt 0x0
	ds_store_b32 v48, v31 offset:64
.LBB11_16:                              ;   in Loop: Header=BB11_10 Depth=3
	s_wait_xcnt 0x0
	s_and_not1_saveexec_b32 s6, s6
	s_cbranch_execz .LBB11_22
; %bb.17:                               ;   in Loop: Header=BB11_10 Depth=3
	s_xor_b32 s7, s7, -1
	s_delay_alu instid0(SALU_CYCLE_1) | instskip(NEXT) | instid1(SALU_CYCLE_1)
	s_and_saveexec_b32 s8, s7
	s_xor_b32 s7, exec_lo, s8
; %bb.18:                               ;   in Loop: Header=BB11_10 Depth=3
	ds_store_b32 v48, v1 offset:64
; %bb.19:                               ;   in Loop: Header=BB11_10 Depth=3
	s_and_not1_saveexec_b32 s7, s7
; %bb.20:                               ;   in Loop: Header=BB11_10 Depth=3
	ds_store_b32 v48, v51 offset:64
; %bb.21:                               ;   in Loop: Header=BB11_10 Depth=3
	s_or_b32 exec_lo, exec_lo, s7
.LBB11_22:                              ;   in Loop: Header=BB11_10 Depth=3
	s_delay_alu instid0(SALU_CYCLE_1) | instskip(SKIP_2) | instid1(VALU_DEP_2)
	s_or_b32 exec_lo, exec_lo, s6
	v_add_nc_u64_e32 v[46:47], 16, v[46:47]
	v_cmp_eq_u64_e64 s7, s[42:43], v[16:17]
                                        ; implicit-def: $vgpr31
	v_cmp_le_i64_e64 s6, s[36:37], v[46:47]
	v_cmp_gt_i64_e64 s8, v[46:47], v[4:5]
	s_and_b32 s7, s49, s7
	s_or_b32 s8, s6, s8
	s_delay_alu instid0(SALU_CYCLE_1) | instskip(NEXT) | instid1(SALU_CYCLE_1)
	s_or_b32 s8, s8, s7
	s_nor_b32 s8, s0, s8
	s_delay_alu instid0(SALU_CYCLE_1) | instskip(NEXT) | instid1(SALU_CYCLE_1)
	s_and_saveexec_b32 s53, s8
	s_xor_b32 s8, exec_lo, s53
	s_cbranch_execz .LBB11_24
; %bb.23:                               ;   in Loop: Header=BB11_10 Depth=3
	global_load_b32 v31, v[42:43], off offset:64
.LBB11_24:                              ;   in Loop: Header=BB11_10 Depth=3
	s_wait_xcnt 0x0
	s_and_not1_saveexec_b32 s8, s8
	s_cbranch_execz .LBB11_26
; %bb.25:                               ;   in Loop: Header=BB11_10 Depth=3
	s_wait_loadcnt 0x0
	v_cndmask_b32_e64 v31, 0, 1.0, s7
.LBB11_26:                              ;   in Loop: Header=BB11_10 Depth=3
	s_or_b32 exec_lo, exec_lo, s8
	s_or_b32 s5, s6, s5
	s_wait_loadcnt 0x0
	ds_store_b32 v48, v31 offset:2048
	s_or_b32 s5, s5, s52
	s_delay_alu instid0(SALU_CYCLE_1) | instskip(NEXT) | instid1(SALU_CYCLE_1)
	s_nor_b32 s5, s1, s5
	s_and_saveexec_b32 s6, s5
	s_delay_alu instid0(SALU_CYCLE_1)
	s_xor_b32 s5, exec_lo, s6
	s_cbranch_execz .LBB11_28
; %bb.27:                               ;   in Loop: Header=BB11_10 Depth=3
	global_load_b32 v31, v[44:45], off offset:64
	s_wait_loadcnt 0x0
	ds_store_b32 v48, v31 offset:2112
.LBB11_28:                              ;   in Loop: Header=BB11_10 Depth=3
	s_wait_xcnt 0x0
	s_and_not1_saveexec_b32 s5, s5
	s_cbranch_execz .LBB11_34
; %bb.29:                               ;   in Loop: Header=BB11_10 Depth=3
	s_xor_b32 s6, s52, -1
	s_delay_alu instid0(SALU_CYCLE_1) | instskip(NEXT) | instid1(SALU_CYCLE_1)
	s_and_saveexec_b32 s7, s6
	s_xor_b32 s6, exec_lo, s7
; %bb.30:                               ;   in Loop: Header=BB11_10 Depth=3
	ds_store_b32 v48, v1 offset:2112
; %bb.31:                               ;   in Loop: Header=BB11_10 Depth=3
	s_and_not1_saveexec_b32 s6, s6
; %bb.32:                               ;   in Loop: Header=BB11_10 Depth=3
	ds_store_b32 v48, v51 offset:2112
; %bb.33:                               ;   in Loop: Header=BB11_10 Depth=3
	s_or_b32 exec_lo, exec_lo, s6
.LBB11_34:                              ;   in Loop: Header=BB11_10 Depth=3
	s_delay_alu instid0(SALU_CYCLE_1) | instskip(SKIP_3) | instid1(VALU_DEP_3)
	s_or_b32 exec_lo, exec_lo, s5
	v_add_nc_u64_e32 v[44:45], s[42:43], v[2:3]
	v_add_nc_u64_e32 v[42:43], s[28:29], v[34:35]
	v_mov_b32_e32 v31, 0
	v_cmp_gt_i64_e64 s5, s[36:37], v[44:45]
	s_and_b32 s7, vcc_lo, s5
	s_delay_alu instid0(SALU_CYCLE_1)
	s_and_saveexec_b32 s6, s7
	s_cbranch_execz .LBB11_36
; %bb.35:                               ;   in Loop: Header=BB11_10 Depth=3
	global_load_b32 v31, v[42:43], off offset:-64
.LBB11_36:                              ;   in Loop: Header=BB11_10 Depth=3
	s_wait_xcnt 0x0
	s_or_b32 exec_lo, exec_lo, s6
	v_cmp_gt_i64_e64 s6, s[40:41], v[44:45]
	s_wait_loadcnt 0x0
	ds_store_b32 v50, v31
	s_and_b32 s7, vcc_lo, s6
	s_delay_alu instid0(SALU_CYCLE_1) | instskip(NEXT) | instid1(SALU_CYCLE_1)
	s_xor_b32 s7, s7, -1
	s_and_saveexec_b32 s8, s7
	s_delay_alu instid0(SALU_CYCLE_1)
	s_xor_b32 s7, exec_lo, s8
; %bb.37:                               ;   in Loop: Header=BB11_10 Depth=3
	ds_store_b32 v50, v1 offset:64
                                        ; implicit-def: $vgpr42_vgpr43
; %bb.38:                               ;   in Loop: Header=BB11_10 Depth=3
	s_and_not1_saveexec_b32 s7, s7
	s_cbranch_execz .LBB11_40
; %bb.39:                               ;   in Loop: Header=BB11_10 Depth=3
	global_load_b32 v31, v[42:43], off
	s_wait_loadcnt 0x0
	ds_store_b32 v50, v31 offset:64
.LBB11_40:                              ;   in Loop: Header=BB11_10 Depth=3
	s_wait_xcnt 0x0
	s_or_b32 exec_lo, exec_lo, s7
	v_add_nc_u64_e32 v[42:43], s[28:29], v[36:37]
	v_mov_b32_e32 v31, 0
	s_and_b32 s7, s4, s5
	s_delay_alu instid0(SALU_CYCLE_1)
	s_and_saveexec_b32 s5, s7
	s_cbranch_execz .LBB11_42
; %bb.41:                               ;   in Loop: Header=BB11_10 Depth=3
	global_load_b32 v31, v[42:43], off offset:-64
.LBB11_42:                              ;   in Loop: Header=BB11_10 Depth=3
	s_wait_xcnt 0x0
	s_or_b32 exec_lo, exec_lo, s5
	s_and_b32 s5, s4, s6
	s_wait_loadcnt 0x0
	ds_store_b32 v50, v31 offset:2048
	s_xor_b32 s5, s5, -1
	s_delay_alu instid0(SALU_CYCLE_1) | instskip(NEXT) | instid1(SALU_CYCLE_1)
	s_and_saveexec_b32 s6, s5
	s_xor_b32 s5, exec_lo, s6
; %bb.43:                               ;   in Loop: Header=BB11_10 Depth=3
	ds_store_b32 v50, v1 offset:2112
                                        ; implicit-def: $vgpr42_vgpr43
; %bb.44:                               ;   in Loop: Header=BB11_10 Depth=3
	s_and_not1_saveexec_b32 s5, s5
	s_cbranch_execz .LBB11_9
; %bb.45:                               ;   in Loop: Header=BB11_10 Depth=3
	global_load_b32 v31, v[42:43], off
	s_wait_loadcnt 0x0
	ds_store_b32 v50, v31 offset:2112
	s_branch .LBB11_9
.LBB11_46:                              ;   in Loop: Header=BB11_7 Depth=2
	s_delay_alu instid0(VALU_DEP_2) | instskip(SKIP_2) | instid1(VALU_DEP_2)
	v_mul_u64_e32 v[34:35], s[24:25], v[32:33]
	v_cmp_gt_i32_e32 vcc_lo, s30, v32
	s_and_b32 s5, s2, vcc_lo
	v_lshl_add_u64 v[34:35], v[34:35], 2, s[18:19]
	s_and_saveexec_b32 s4, s5
	s_cbranch_execz .LBB11_48
; %bb.47:                               ;   in Loop: Header=BB11_7 Depth=2
	s_delay_alu instid0(VALU_DEP_1)
	v_lshl_add_u64 v[36:37], v[4:5], 2, v[34:35]
	global_load_b32 v31, v[36:37], off
	s_wait_loadcnt 0x0
	v_fmac_f32_e32 v31, s31, v40
	global_store_b32 v[36:37], v31, off
.LBB11_48:                              ;   in Loop: Header=BB11_7 Depth=2
	s_wait_xcnt 0x0
	s_or_b32 exec_lo, exec_lo, s4
	s_and_b32 s5, s3, vcc_lo
	s_delay_alu instid0(SALU_CYCLE_1)
	s_and_saveexec_b32 s4, s5
	s_cbranch_execz .LBB11_50
; %bb.49:                               ;   in Loop: Header=BB11_7 Depth=2
	v_lshl_add_u64 v[34:35], v[10:11], 2, v[34:35]
	global_load_b32 v31, v[34:35], off
	s_wait_loadcnt 0x0
	v_fmac_f32_e32 v31, s31, v41
	global_store_b32 v[34:35], v31, off
.LBB11_50:                              ;   in Loop: Header=BB11_7 Depth=2
	s_wait_xcnt 0x0
	s_or_b32 exec_lo, exec_lo, s4
	v_add_nc_u32_e32 v32, 16, v32
	s_delay_alu instid0(VALU_DEP_1) | instskip(SKIP_1) | instid1(VALU_DEP_2)
	v_ashrrev_i32_e32 v33, 31, v32
	v_cmp_gt_i32_e32 vcc_lo, s30, v32
	v_mul_u64_e32 v[34:35], s[24:25], v[32:33]
	s_and_b32 s5, s2, vcc_lo
	s_delay_alu instid0(VALU_DEP_1)
	v_lshl_add_u64 v[32:33], v[34:35], 2, s[18:19]
	s_and_saveexec_b32 s4, s5
	s_cbranch_execz .LBB11_52
; %bb.51:                               ;   in Loop: Header=BB11_7 Depth=2
	s_delay_alu instid0(VALU_DEP_1)
	v_lshl_add_u64 v[34:35], v[4:5], 2, v[32:33]
	global_load_b32 v31, v[34:35], off
	s_wait_loadcnt 0x0
	v_fmac_f32_e32 v31, s31, v38
	global_store_b32 v[34:35], v31, off
.LBB11_52:                              ;   in Loop: Header=BB11_7 Depth=2
	s_wait_xcnt 0x0
	s_or_b32 exec_lo, exec_lo, s4
	s_and_b32 s5, s3, vcc_lo
	s_delay_alu instid0(SALU_CYCLE_1)
	s_and_saveexec_b32 s4, s5
	s_cbranch_execz .LBB11_6
; %bb.53:                               ;   in Loop: Header=BB11_7 Depth=2
	v_lshl_add_u64 v[32:33], v[10:11], 2, v[32:33]
	global_load_b32 v31, v[32:33], off
	s_wait_loadcnt 0x0
	v_fmac_f32_e32 v31, s31, v39
	global_store_b32 v[32:33], v31, off
	s_branch .LBB11_6
.LBB11_54:
	s_sendmsg sendmsg(MSG_DEALLOC_VGPRS)
	s_endpgm
	.section	.rodata,"a",@progbits
	.p2align	6, 0x0
	.amdhsa_kernel _ZL30rocblas_trmm_outofplace_kernelIfLi32ELi2ELb1ELb1ELb1ELb1EfKffEv17rocblas_diagonal_iiT6_lPT7_lllS4_lllPT8_llli
		.amdhsa_group_segment_fixed_size 8192
		.amdhsa_private_segment_fixed_size 0
		.amdhsa_kernarg_size 384
		.amdhsa_user_sgpr_count 2
		.amdhsa_user_sgpr_dispatch_ptr 0
		.amdhsa_user_sgpr_queue_ptr 0
		.amdhsa_user_sgpr_kernarg_segment_ptr 1
		.amdhsa_user_sgpr_dispatch_id 0
		.amdhsa_user_sgpr_kernarg_preload_length 0
		.amdhsa_user_sgpr_kernarg_preload_offset 0
		.amdhsa_user_sgpr_private_segment_size 0
		.amdhsa_wavefront_size32 1
		.amdhsa_uses_dynamic_stack 0
		.amdhsa_enable_private_segment 0
		.amdhsa_system_sgpr_workgroup_id_x 1
		.amdhsa_system_sgpr_workgroup_id_y 1
		.amdhsa_system_sgpr_workgroup_id_z 1
		.amdhsa_system_sgpr_workgroup_info 0
		.amdhsa_system_vgpr_workitem_id 1
		.amdhsa_next_free_vgpr 78
		.amdhsa_next_free_sgpr 54
		.amdhsa_named_barrier_count 0
		.amdhsa_reserve_vcc 1
		.amdhsa_float_round_mode_32 0
		.amdhsa_float_round_mode_16_64 0
		.amdhsa_float_denorm_mode_32 3
		.amdhsa_float_denorm_mode_16_64 3
		.amdhsa_fp16_overflow 0
		.amdhsa_memory_ordered 1
		.amdhsa_forward_progress 1
		.amdhsa_inst_pref_size 25
		.amdhsa_round_robin_scheduling 0
		.amdhsa_exception_fp_ieee_invalid_op 0
		.amdhsa_exception_fp_denorm_src 0
		.amdhsa_exception_fp_ieee_div_zero 0
		.amdhsa_exception_fp_ieee_overflow 0
		.amdhsa_exception_fp_ieee_underflow 0
		.amdhsa_exception_fp_ieee_inexact 0
		.amdhsa_exception_int_div_zero 0
	.end_amdhsa_kernel
	.section	.text._ZL30rocblas_trmm_outofplace_kernelIfLi32ELi2ELb1ELb1ELb1ELb1EfKffEv17rocblas_diagonal_iiT6_lPT7_lllS4_lllPT8_llli,"axG",@progbits,_ZL30rocblas_trmm_outofplace_kernelIfLi32ELi2ELb1ELb1ELb1ELb1EfKffEv17rocblas_diagonal_iiT6_lPT7_lllS4_lllPT8_llli,comdat
.Lfunc_end11:
	.size	_ZL30rocblas_trmm_outofplace_kernelIfLi32ELi2ELb1ELb1ELb1ELb1EfKffEv17rocblas_diagonal_iiT6_lPT7_lllS4_lllPT8_llli, .Lfunc_end11-_ZL30rocblas_trmm_outofplace_kernelIfLi32ELi2ELb1ELb1ELb1ELb1EfKffEv17rocblas_diagonal_iiT6_lPT7_lllS4_lllPT8_llli
                                        ; -- End function
	.set _ZL30rocblas_trmm_outofplace_kernelIfLi32ELi2ELb1ELb1ELb1ELb1EfKffEv17rocblas_diagonal_iiT6_lPT7_lllS4_lllPT8_llli.num_vgpr, 78
	.set _ZL30rocblas_trmm_outofplace_kernelIfLi32ELi2ELb1ELb1ELb1ELb1EfKffEv17rocblas_diagonal_iiT6_lPT7_lllS4_lllPT8_llli.num_agpr, 0
	.set _ZL30rocblas_trmm_outofplace_kernelIfLi32ELi2ELb1ELb1ELb1ELb1EfKffEv17rocblas_diagonal_iiT6_lPT7_lllS4_lllPT8_llli.numbered_sgpr, 54
	.set _ZL30rocblas_trmm_outofplace_kernelIfLi32ELi2ELb1ELb1ELb1ELb1EfKffEv17rocblas_diagonal_iiT6_lPT7_lllS4_lllPT8_llli.num_named_barrier, 0
	.set _ZL30rocblas_trmm_outofplace_kernelIfLi32ELi2ELb1ELb1ELb1ELb1EfKffEv17rocblas_diagonal_iiT6_lPT7_lllS4_lllPT8_llli.private_seg_size, 0
	.set _ZL30rocblas_trmm_outofplace_kernelIfLi32ELi2ELb1ELb1ELb1ELb1EfKffEv17rocblas_diagonal_iiT6_lPT7_lllS4_lllPT8_llli.uses_vcc, 1
	.set _ZL30rocblas_trmm_outofplace_kernelIfLi32ELi2ELb1ELb1ELb1ELb1EfKffEv17rocblas_diagonal_iiT6_lPT7_lllS4_lllPT8_llli.uses_flat_scratch, 0
	.set _ZL30rocblas_trmm_outofplace_kernelIfLi32ELi2ELb1ELb1ELb1ELb1EfKffEv17rocblas_diagonal_iiT6_lPT7_lllS4_lllPT8_llli.has_dyn_sized_stack, 0
	.set _ZL30rocblas_trmm_outofplace_kernelIfLi32ELi2ELb1ELb1ELb1ELb1EfKffEv17rocblas_diagonal_iiT6_lPT7_lllS4_lllPT8_llli.has_recursion, 0
	.set _ZL30rocblas_trmm_outofplace_kernelIfLi32ELi2ELb1ELb1ELb1ELb1EfKffEv17rocblas_diagonal_iiT6_lPT7_lllS4_lllPT8_llli.has_indirect_call, 0
	.section	.AMDGPU.csdata,"",@progbits
; Kernel info:
; codeLenInByte = 3140
; TotalNumSgprs: 56
; NumVgprs: 78
; ScratchSize: 0
; MemoryBound: 0
; FloatMode: 240
; IeeeMode: 1
; LDSByteSize: 8192 bytes/workgroup (compile time only)
; SGPRBlocks: 0
; VGPRBlocks: 4
; NumSGPRsForWavesPerEU: 56
; NumVGPRsForWavesPerEU: 78
; NamedBarCnt: 0
; Occupancy: 12
; WaveLimiterHint : 0
; COMPUTE_PGM_RSRC2:SCRATCH_EN: 0
; COMPUTE_PGM_RSRC2:USER_SGPR: 2
; COMPUTE_PGM_RSRC2:TRAP_HANDLER: 0
; COMPUTE_PGM_RSRC2:TGID_X_EN: 1
; COMPUTE_PGM_RSRC2:TGID_Y_EN: 1
; COMPUTE_PGM_RSRC2:TGID_Z_EN: 1
; COMPUTE_PGM_RSRC2:TIDIG_COMP_CNT: 1
	.section	.text._ZL30rocblas_trmm_outofplace_kernelIfLi32ELi2ELb0ELb0ELb0ELb0EPKfS0_fEv17rocblas_diagonal_iiT6_lPT7_lllS5_lllPT8_llli,"axG",@progbits,_ZL30rocblas_trmm_outofplace_kernelIfLi32ELi2ELb0ELb0ELb0ELb0EPKfS0_fEv17rocblas_diagonal_iiT6_lPT7_lllS5_lllPT8_llli,comdat
	.globl	_ZL30rocblas_trmm_outofplace_kernelIfLi32ELi2ELb0ELb0ELb0ELb0EPKfS0_fEv17rocblas_diagonal_iiT6_lPT7_lllS5_lllPT8_llli ; -- Begin function _ZL30rocblas_trmm_outofplace_kernelIfLi32ELi2ELb0ELb0ELb0ELb0EPKfS0_fEv17rocblas_diagonal_iiT6_lPT7_lllS5_lllPT8_llli
	.p2align	8
	.type	_ZL30rocblas_trmm_outofplace_kernelIfLi32ELi2ELb0ELb0ELb0ELb0EPKfS0_fEv17rocblas_diagonal_iiT6_lPT7_lllS5_lllPT8_llli,@function
_ZL30rocblas_trmm_outofplace_kernelIfLi32ELi2ELb0ELb0ELb0ELb0EPKfS0_fEv17rocblas_diagonal_iiT6_lPT7_lllS5_lllPT8_llli: ; @_ZL30rocblas_trmm_outofplace_kernelIfLi32ELi2ELb0ELb0ELb0ELb0EPKfS0_fEv17rocblas_diagonal_iiT6_lPT7_lllS5_lllPT8_llli
; %bb.0:
	s_load_b32 s11, s[0:1], 0x80
	s_bfe_u32 s2, ttmp6, 0x40014
	s_lshr_b32 s3, ttmp7, 16
	s_add_co_i32 s2, s2, 1
	s_bfe_u32 s5, ttmp6, 0x40008
	s_mul_i32 s4, s3, s2
	s_getreg_b32 s2, hwreg(HW_REG_IB_STS2, 6, 4)
	s_add_co_i32 s5, s5, s4
	s_cmp_eq_u32 s2, 0
	s_mov_b32 s35, 0
	s_cselect_b32 s34, s3, s5
	s_wait_kmcnt 0x0
	s_cmp_ge_u32 s34, s11
	s_cbranch_scc1 .LBB12_56
; %bb.1:
	s_clause 0x3
	s_load_b96 s[8:10], s[0:1], 0x0
	s_load_b512 s[12:27], s[0:1], 0x10
	s_load_b128 s[28:31], s[0:1], 0x70
	s_load_b256 s[36:43], s[0:1], 0x50
	s_bfe_u32 s4, ttmp6, 0x4000c
	s_bfe_u32 s6, ttmp6, 0x40010
	s_add_co_i32 s4, s4, 1
	s_and_b32 s3, ttmp6, 15
	s_and_b32 s5, ttmp7, 0xffff
	s_add_nc_u64 s[44:45], s[0:1], 0x88
	s_add_co_i32 s6, s6, 1
	s_wait_xcnt 0x0
	s_mul_i32 s0, ttmp9, s4
	s_bfe_u32 s7, ttmp6, 0x40004
	s_mul_i32 s1, s5, s6
	s_add_co_i32 s3, s3, s0
	s_add_co_i32 s7, s7, s1
	v_bfe_u32 v42, v0, 10, 10
	v_and_b32_e32 v6, 0x3ff, v0
	v_dual_mov_b32 v50, 1.0 :: v_dual_mov_b32 v49, 0
	s_wait_kmcnt 0x0
	s_add_co_i32 s0, s10, -1
	v_lshlrev_b32_e32 v43, 7, v42
	s_ashr_i32 s1, s0, 31
	v_lshlrev_b32_e32 v0, 2, v6
	s_lshr_b32 s1, s1, 27
	s_delay_alu instid0(SALU_CYCLE_1)
	s_add_co_i32 s4, s0, s1
	s_lshl_b64 s[0:1], s[42:43], 2
	s_ashr_i32 s33, s4, 5
	s_cmp_eq_u32 s2, 0
	v_add_nc_u32_e32 v44, v43, v0
	s_cselect_b32 s2, ttmp9, s3
	v_or_b32_e32 v45, 0x1000, v0
	v_lshl_add_u32 v0, s2, 5, v6
	s_cselect_b32 s54, s5, s7
	s_mov_b32 s2, s9
	s_cmp_le_i32 s54, s33
	s_add_nc_u64 s[40:41], s[40:41], s[0:1]
	v_ashrrev_i32_e32 v1, 31, v0
	s_cselect_b32 s55, -1, 0
	s_cmp_eq_u32 s8, 0x84
	v_add_nc_u32_e32 v2, 16, v0
	s_cselect_b32 s56, -1, 0
	s_ashr_i32 s3, s9, 31
	s_lshl_b64 s[4:5], s[26:27], 2
	v_sub_nc_u64_e32 v[4:5], s[2:3], v[0:1]
	s_lshl_b32 s6, s54, 5
	s_add_nc_u64 s[4:5], s[24:25], s[4:5]
	v_add_nc_u32_e32 v46, v45, v43
	v_cmp_gt_i32_e64 s0, s9, v0
	v_cmp_gt_i32_e64 s1, s9, v2
	v_ashrrev_i32_e32 v3, 31, v2
	v_cmp_gt_i64_e64 s2, 1, v[4:5]
	v_cmp_gt_i64_e64 s3, 17, v[4:5]
	v_add_nc_u32_e32 v47, s6, v6
	v_add_nc_u32_e32 v48, s6, v42
	v_lshl_add_u64 v[4:5], v[0:1], 2, s[4:5]
	s_mov_b32 s42, s10
	s_ashr_i32 s43, s10, 31
	s_lshl_b64 s[4:5], s[18:19], 2
	s_lshl_b64 s[46:47], s[36:37], 7
	s_add_nc_u64 s[48:49], s[42:43], -16
	s_lshl_b64 s[24:25], s[36:37], 2
	s_lshl_b64 s[26:27], s[38:39], 2
	s_add_nc_u64 s[16:17], s[16:17], s[4:5]
	s_lshl_b64 s[18:19], s[22:23], 2
	s_lshl_b64 s[22:23], s[20:21], 2
	s_branch .LBB12_4
.LBB12_2:                               ;   in Loop: Header=BB12_4 Depth=1
	s_add_co_i32 s34, s34, 0x10000
	s_delay_alu instid0(SALU_CYCLE_1)
	s_cmp_ge_u32 s34, s11
	s_cselect_b32 s4, -1, 0
.LBB12_3:                               ;   in Loop: Header=BB12_4 Depth=1
	s_delay_alu instid0(SALU_CYCLE_1)
	s_and_b32 vcc_lo, exec_lo, s4
	s_cbranch_vccnz .LBB12_56
.LBB12_4:                               ; =>This Loop Header: Depth=1
                                        ;     Child Loop BB12_8 Depth 2
                                        ;       Child Loop BB12_11 Depth 3
	s_mul_u64 s[4:5], s[14:15], s[34:35]
	s_delay_alu instid0(SALU_CYCLE_1) | instskip(NEXT) | instid1(SALU_CYCLE_1)
	s_lshl_b64 s[4:5], s[4:5], 2
	s_add_nc_u64 s[4:5], s[12:13], s[4:5]
	global_load_b32 v51, v49, s[4:5]
	s_wait_xcnt 0x0
	s_mov_b32 s4, -1
	s_wait_loadcnt 0x0
	v_cmp_eq_f32_e32 vcc_lo, 0, v51
	s_cbranch_vccnz .LBB12_3
; %bb.5:                                ;   in Loop: Header=BB12_4 Depth=1
	s_and_not1_b32 vcc_lo, exec_lo, s55
	s_cbranch_vccnz .LBB12_2
; %bb.6:                                ;   in Loop: Header=BB12_4 Depth=1
	s_load_b32 s57, s[44:45], 0x4
	v_mad_nc_u64_u32 v[6:7], s26, s34, v[4:5]
	s_mul_u64 s[6:7], s[30:31], s[34:35]
	v_dual_mov_b32 v8, v48 :: v_dual_mov_b32 v10, v47
	s_mul_u64 s[4:5], s[18:19], s[34:35]
	s_lshl_b64 s[6:7], s[6:7], 2
	s_add_nc_u64 s[38:39], s[16:17], s[4:5]
	s_add_nc_u64 s[50:51], s[40:41], s[6:7]
	s_mov_b32 s59, s54
	s_delay_alu instid0(VALU_DEP_2)
	v_mad_u32 v7, s27, s34, v7
	s_wait_kmcnt 0x0
	s_lshl_b32 s58, s57, 5
	s_branch .LBB12_8
.LBB12_7:                               ;   in Loop: Header=BB12_8 Depth=2
	s_wait_xcnt 0x0
	s_or_b32 exec_lo, exec_lo, s4
	v_dual_add_nc_u32 v10, s58, v10 :: v_dual_add_nc_u32 v8, s58, v8
	s_add_co_i32 s59, s57, s59
	s_delay_alu instid0(SALU_CYCLE_1)
	s_cmp_gt_i32 s59, s33
	s_cbranch_scc1 .LBB12_2
.LBB12_8:                               ;   Parent Loop BB12_4 Depth=1
                                        ; =>  This Loop Header: Depth=2
                                        ;       Child Loop BB12_11 Depth 3
	s_lshl_b32 s4, s59, 5
	s_delay_alu instid0(SALU_CYCLE_1) | instskip(SKIP_2) | instid1(SALU_CYCLE_1)
	v_dual_ashrrev_i32 v9, 31, v8 :: v_dual_add_nc_u32 v12, s4, v42
	v_ashrrev_i32_e32 v11, 31, v10
	s_sub_co_i32 s60, s10, s4
	s_cmp_lt_i32 s60, 1
	s_delay_alu instid0(VALU_DEP_2)
	v_ashrrev_i32_e32 v13, 31, v12
	s_cbranch_scc1 .LBB12_47
; %bb.9:                                ;   in Loop: Header=BB12_8 Depth=2
	v_lshl_add_u64 v[28:29], v[8:9], 2, 64
	v_mad_nc_u64_u32 v[14:15], s24, v8, 64
	v_mad_nc_u64_u32 v[16:17], s22, v8, s[38:39]
	v_sub_nc_u64_e32 v[22:23], v[8:9], v[10:11]
	v_add_nc_u64_e32 v[26:27], 16, v[12:13]
	v_mad_nc_u64_u32 v[18:19], s20, v28, s[38:39]
	v_mad_nc_u64_u32 v[20:21], s36, v28, 64
	v_mov_b32_e32 v34, 0
	v_lshlrev_b64_e32 v[24:25], 2, v[10:11]
	v_mov_b64_e32 v[32:33], v[6:7]
	v_add_nc_u64_e32 v[30:31], -16, v[22:23]
	v_cmp_le_i64_e64 s4, s[42:43], v[26:27]
	v_mad_u32 v15, s25, v8, v15
	v_mad_u32 v17, s23, v8, v17
	v_dual_mov_b32 v35, v34 :: v_dual_mov_b32 v36, v34
	v_mad_u32 v19, s21, v28, v19
	v_mad_u32 v21, s37, v28, v21
	v_mov_b32_e32 v37, v34
	s_mov_b64 s[52:53], 0
	v_cmp_le_i32_e32 vcc_lo, s10, v12
	v_mad_u32 v15, s24, v9, v15
	v_mad_u32 v17, s22, v9, v17
	;; [unrolled: 1-line block ×4, first 2 shown]
	v_add_nc_u64_e32 v[28:29], 16, v[22:23]
	s_branch .LBB12_11
.LBB12_10:                              ;   in Loop: Header=BB12_11 Depth=3
	s_or_b32 exec_lo, exec_lo, s5
	s_wait_dscnt 0x0
	s_barrier_signal -1
	s_barrier_wait -1
	ds_load_b128 v[38:41], v43
	ds_load_2addr_b32 v[64:65], v45 offset1:16
	ds_load_b128 v[52:55], v43 offset:2048
	ds_load_2addr_b32 v[66:67], v45 offset0:32 offset1:48
	ds_load_2addr_b32 v[68:69], v45 offset0:64 offset1:80
	;; [unrolled: 1-line block ×3, first 2 shown]
	ds_load_b128 v[56:59], v43 offset:16
	ds_load_2addr_b32 v[72:73], v45 offset0:128 offset1:144
	ds_load_b128 v[60:63], v43 offset:2064
	v_add_nc_u32_e32 v74, 0x400, v45
	v_add_nc_u64_e32 v[32:33], s[46:47], v[32:33]
	v_add_nc_u64_e32 v[18:19], 0x80, v[18:19]
	v_add_nc_u64_e32 v[16:17], 0x80, v[16:17]
	s_add_nc_u64 s[52:53], s[52:53], 32
	s_delay_alu instid0(SALU_CYCLE_1)
	s_cmp_ge_i32 s52, s60
	s_wait_dscnt 0x7
	v_pk_fma_f32 v[36:37], v[64:65], v[38:39], v[36:37] op_sel_hi:[1,0,1]
	s_wait_dscnt 0x6
	v_pk_fma_f32 v[34:35], v[64:65], v[52:53], v[34:35] op_sel_hi:[1,0,1]
	ds_load_2addr_b32 v[64:65], v45 offset0:160 offset1:176
	s_wait_dscnt 0x6
	v_pk_fma_f32 v[36:37], v[66:67], v[38:39], v[36:37] op_sel:[0,1,0]
	v_pk_fma_f32 v[34:35], v[66:67], v[52:53], v[34:35] op_sel:[0,1,0]
	ds_load_2addr_b32 v[52:53], v45 offset0:192 offset1:208
	v_dual_mov_b32 v38, v41 :: v_dual_mov_b32 v66, v55
	s_wait_dscnt 0x6
	v_pk_fma_f32 v[36:37], v[68:69], v[40:41], v[36:37] op_sel_hi:[1,0,1]
	v_pk_fma_f32 v[34:35], v[68:69], v[54:55], v[34:35] op_sel_hi:[1,0,1]
	ds_load_2addr_b32 v[54:55], v45 offset0:224 offset1:240
	s_wait_dscnt 0x6
	v_pk_fma_f32 v[68:69], v[70:71], v[38:39], v[36:37] op_sel_hi:[1,0,1]
	v_pk_fma_f32 v[66:67], v[70:71], v[66:67], v[34:35] op_sel_hi:[1,0,1]
	ds_load_b128 v[34:37], v43 offset:32
	ds_load_b128 v[38:41], v43 offset:2080
	ds_load_2addr_b32 v[70:71], v74 offset1:16
	s_wait_dscnt 0x7
	v_pk_fma_f32 v[68:69], v[72:73], v[56:57], v[68:69] op_sel_hi:[1,0,1]
	s_wait_dscnt 0x6
	v_pk_fma_f32 v[66:67], v[72:73], v[60:61], v[66:67] op_sel_hi:[1,0,1]
	ds_load_2addr_b32 v[72:73], v74 offset0:32 offset1:48
	s_wait_dscnt 0x6
	v_pk_fma_f32 v[56:57], v[64:65], v[56:57], v[68:69] op_sel:[0,1,0]
	v_pk_fma_f32 v[60:61], v[64:65], v[60:61], v[66:67] op_sel:[0,1,0]
	ds_load_2addr_b32 v[64:65], v74 offset0:64 offset1:80
	v_dual_mov_b32 v66, v59 :: v_dual_mov_b32 v68, v63
	s_wait_dscnt 0x6
	v_pk_fma_f32 v[56:57], v[52:53], v[58:59], v[56:57] op_sel_hi:[1,0,1]
	v_pk_fma_f32 v[52:53], v[52:53], v[62:63], v[60:61] op_sel_hi:[1,0,1]
	ds_load_2addr_b32 v[60:61], v74 offset0:96 offset1:112
	s_wait_dscnt 0x6
	v_pk_fma_f32 v[62:63], v[54:55], v[66:67], v[56:57] op_sel_hi:[1,0,1]
	v_pk_fma_f32 v[66:67], v[54:55], v[68:69], v[52:53] op_sel_hi:[1,0,1]
	ds_load_b128 v[52:55], v43 offset:48
	ds_load_b128 v[56:59], v43 offset:2096
	ds_load_2addr_b32 v[68:69], v74 offset0:128 offset1:144
	v_add_nc_u32_e32 v75, 0x800, v45
	s_wait_dscnt 0x6
	v_pk_fma_f32 v[62:63], v[70:71], v[34:35], v[62:63] op_sel_hi:[1,0,1]
	v_pk_fma_f32 v[66:67], v[70:71], v[38:39], v[66:67] op_sel_hi:[1,0,1]
	ds_load_2addr_b32 v[70:71], v74 offset0:160 offset1:176
	s_wait_dscnt 0x6
	v_pk_fma_f32 v[34:35], v[72:73], v[34:35], v[62:63] op_sel:[0,1,0]
	v_pk_fma_f32 v[38:39], v[72:73], v[38:39], v[66:67] op_sel:[0,1,0]
	v_dual_mov_b32 v66, v37 :: v_dual_mov_b32 v72, v41
	ds_load_2addr_b32 v[62:63], v74 offset0:192 offset1:208
	s_wait_dscnt 0x6
	v_pk_fma_f32 v[34:35], v[64:65], v[36:37], v[34:35] op_sel_hi:[1,0,1]
	v_pk_fma_f32 v[36:37], v[64:65], v[40:41], v[38:39] op_sel_hi:[1,0,1]
	ds_load_2addr_b32 v[64:65], v74 offset0:224 offset1:240
	v_add_nc_u32_e32 v74, 0xc00, v45
	s_wait_dscnt 0x6
	v_pk_fma_f32 v[66:67], v[60:61], v[66:67], v[34:35] op_sel_hi:[1,0,1]
	v_pk_fma_f32 v[60:61], v[60:61], v[72:73], v[36:37] op_sel_hi:[1,0,1]
	s_wait_dscnt 0x3
	s_delay_alu instid0(VALU_DEP_2) | instskip(NEXT) | instid1(VALU_DEP_2)
	v_pk_fma_f32 v[66:67], v[68:69], v[52:53], v[66:67] op_sel_hi:[1,0,1]
	v_pk_fma_f32 v[60:61], v[68:69], v[56:57], v[60:61] op_sel_hi:[1,0,1]
	s_wait_dscnt 0x2
	s_delay_alu instid0(VALU_DEP_2)
	v_pk_fma_f32 v[52:53], v[70:71], v[52:53], v[66:67] op_sel:[0,1,0]
	v_mov_b32_e32 v66, v55
	ds_load_b128 v[34:37], v43 offset:64
	ds_load_b128 v[38:41], v43 offset:2112
	ds_load_2addr_b32 v[72:73], v75 offset1:16
	ds_load_2addr_b32 v[68:69], v75 offset0:32 offset1:48
	v_pk_fma_f32 v[56:57], v[70:71], v[56:57], v[60:61] op_sel:[0,1,0]
	s_wait_dscnt 0x5
	v_pk_fma_f32 v[52:53], v[62:63], v[54:55], v[52:53] op_sel_hi:[1,0,1]
	ds_load_2addr_b32 v[60:61], v75 offset0:64 offset1:80
	v_mov_b32_e32 v70, v59
	v_pk_fma_f32 v[54:55], v[62:63], v[58:59], v[56:57] op_sel_hi:[1,0,1]
	s_wait_dscnt 0x5
	v_pk_fma_f32 v[66:67], v[64:65], v[66:67], v[52:53] op_sel_hi:[1,0,1]
	ds_load_2addr_b32 v[62:63], v75 offset0:96 offset1:112
	s_wait_dscnt 0x3
	v_pk_fma_f32 v[66:67], v[72:73], v[34:35], v[66:67] op_sel_hi:[1,0,1]
	s_wait_dscnt 0x2
	s_delay_alu instid0(VALU_DEP_1)
	v_pk_fma_f32 v[34:35], v[68:69], v[34:35], v[66:67] op_sel:[0,1,0]
	v_mov_b32_e32 v66, v37
	v_pk_fma_f32 v[64:65], v[64:65], v[70:71], v[54:55] op_sel_hi:[1,0,1]
	ds_load_b128 v[52:55], v43 offset:80
	ds_load_b128 v[56:59], v43 offset:2128
	ds_load_2addr_b32 v[70:71], v75 offset0:128 offset1:144
	s_wait_dscnt 0x4
	v_pk_fma_f32 v[34:35], v[60:61], v[36:37], v[34:35] op_sel_hi:[1,0,1]
	v_pk_fma_f32 v[64:65], v[72:73], v[38:39], v[64:65] op_sel_hi:[1,0,1]
	ds_load_2addr_b32 v[72:73], v75 offset0:160 offset1:176
	s_wait_dscnt 0x4
	v_pk_fma_f32 v[66:67], v[62:63], v[66:67], v[34:35] op_sel_hi:[1,0,1]
	v_pk_fma_f32 v[38:39], v[68:69], v[38:39], v[64:65] op_sel:[0,1,0]
	ds_load_2addr_b32 v[64:65], v75 offset0:192 offset1:208
	v_mov_b32_e32 v68, v41
	v_pk_fma_f32 v[36:37], v[60:61], v[40:41], v[38:39] op_sel_hi:[1,0,1]
	ds_load_2addr_b32 v[60:61], v75 offset0:224 offset1:240
	s_wait_dscnt 0x3
	v_pk_fma_f32 v[66:67], v[70:71], v[52:53], v[66:67] op_sel_hi:[1,0,1]
	s_wait_dscnt 0x2
	s_delay_alu instid0(VALU_DEP_1)
	v_pk_fma_f32 v[52:53], v[72:73], v[52:53], v[66:67] op_sel:[0,1,0]
	v_mov_b32_e32 v66, v55
	v_pk_fma_f32 v[62:63], v[62:63], v[68:69], v[36:37] op_sel_hi:[1,0,1]
	ds_load_b128 v[34:37], v43 offset:96
	ds_load_b128 v[38:41], v43 offset:2144
	ds_load_2addr_b32 v[68:69], v74 offset1:16
	s_wait_dscnt 0x4
	v_pk_fma_f32 v[52:53], v[64:65], v[54:55], v[52:53] op_sel_hi:[1,0,1]
	v_pk_fma_f32 v[62:63], v[70:71], v[56:57], v[62:63] op_sel_hi:[1,0,1]
	ds_load_2addr_b32 v[70:71], v74 offset0:32 offset1:48
	s_wait_dscnt 0x4
	v_pk_fma_f32 v[66:67], v[60:61], v[66:67], v[52:53] op_sel_hi:[1,0,1]
	v_pk_fma_f32 v[56:57], v[72:73], v[56:57], v[62:63] op_sel:[0,1,0]
	ds_load_2addr_b32 v[62:63], v74 offset0:64 offset1:80
	v_mov_b32_e32 v72, v59
	v_pk_fma_f32 v[54:55], v[64:65], v[58:59], v[56:57] op_sel_hi:[1,0,1]
	ds_load_2addr_b32 v[64:65], v74 offset0:96 offset1:112
	s_wait_dscnt 0x3
	v_pk_fma_f32 v[66:67], v[68:69], v[34:35], v[66:67] op_sel_hi:[1,0,1]
	s_wait_dscnt 0x2
	s_delay_alu instid0(VALU_DEP_1)
	v_pk_fma_f32 v[34:35], v[70:71], v[34:35], v[66:67] op_sel:[0,1,0]
	v_mov_b32_e32 v66, v37
	v_pk_fma_f32 v[60:61], v[60:61], v[72:73], v[54:55] op_sel_hi:[1,0,1]
	ds_load_b128 v[52:55], v43 offset:112
	ds_load_b128 v[56:59], v43 offset:2160
	ds_load_2addr_b32 v[72:73], v74 offset0:128 offset1:144
	s_wait_dscnt 0x4
	v_pk_fma_f32 v[34:35], v[62:63], v[36:37], v[34:35] op_sel_hi:[1,0,1]
	v_pk_fma_f32 v[60:61], v[68:69], v[38:39], v[60:61] op_sel_hi:[1,0,1]
	ds_load_2addr_b32 v[68:69], v74 offset0:160 offset1:176
	s_wait_dscnt 0x4
	v_pk_fma_f32 v[34:35], v[64:65], v[66:67], v[34:35] op_sel_hi:[1,0,1]
	v_pk_fma_f32 v[38:39], v[70:71], v[38:39], v[60:61] op_sel:[0,1,0]
	ds_load_2addr_b32 v[60:61], v74 offset0:192 offset1:208
	v_mov_b32_e32 v70, v41
	v_pk_fma_f32 v[36:37], v[62:63], v[40:41], v[38:39] op_sel_hi:[1,0,1]
	ds_load_2addr_b32 v[38:39], v74 offset0:224 offset1:240
	s_wait_dscnt 0x0
	s_barrier_signal -1
	v_mov_b32_e32 v40, v55
	v_pk_fma_f32 v[36:37], v[64:65], v[70:71], v[36:37] op_sel_hi:[1,0,1]
	v_pk_fma_f32 v[34:35], v[72:73], v[52:53], v[34:35] op_sel_hi:[1,0,1]
	s_barrier_wait -1
	s_delay_alu instid0(VALU_DEP_2) | instskip(NEXT) | instid1(VALU_DEP_2)
	v_pk_fma_f32 v[36:37], v[72:73], v[56:57], v[36:37] op_sel_hi:[1,0,1]
	v_pk_fma_f32 v[34:35], v[68:69], v[52:53], v[34:35] op_sel:[0,1,0]
	v_mov_b32_e32 v52, v59
	s_delay_alu instid0(VALU_DEP_3) | instskip(NEXT) | instid1(VALU_DEP_3)
	v_pk_fma_f32 v[36:37], v[68:69], v[56:57], v[36:37] op_sel:[0,1,0]
	v_pk_fma_f32 v[34:35], v[60:61], v[54:55], v[34:35] op_sel_hi:[1,0,1]
	s_delay_alu instid0(VALU_DEP_2) | instskip(NEXT) | instid1(VALU_DEP_2)
	v_pk_fma_f32 v[54:55], v[60:61], v[58:59], v[36:37] op_sel_hi:[1,0,1]
	v_pk_fma_f32 v[36:37], v[38:39], v[40:41], v[34:35] op_sel_hi:[1,0,1]
	s_delay_alu instid0(VALU_DEP_2)
	v_pk_fma_f32 v[34:35], v[38:39], v[52:53], v[54:55] op_sel_hi:[1,0,1]
	s_cbranch_scc1 .LBB12_48
.LBB12_11:                              ;   Parent Loop BB12_4 Depth=1
                                        ;     Parent Loop BB12_8 Depth=2
                                        ; =>    This Inner Loop Header: Depth=3
	v_add_nc_u64_e32 v[38:39], s[52:53], v[10:11]
	v_cmp_eq_u64_e64 s7, s[52:53], v[22:23]
	v_add_nc_u64_e32 v[40:41], v[16:17], v[24:25]
                                        ; implicit-def: $vgpr52
	s_delay_alu instid0(VALU_DEP_3) | instskip(SKIP_3) | instid1(SALU_CYCLE_1)
	v_cmp_lt_i64_e64 s5, v[38:39], v[12:13]
	v_cmp_le_i64_e64 s6, s[42:43], v[38:39]
	s_and_b32 s61, s56, s7
	s_or_b32 s8, vcc_lo, s5
	s_or_b32 s7, s6, s8
	s_delay_alu instid0(SALU_CYCLE_1) | instskip(NEXT) | instid1(SALU_CYCLE_1)
	s_nor_b32 s7, s7, s61
	s_and_saveexec_b32 s8, s7
	s_delay_alu instid0(SALU_CYCLE_1)
	s_xor_b32 s7, exec_lo, s8
	s_cbranch_execz .LBB12_13
; %bb.12:                               ;   in Loop: Header=BB12_11 Depth=3
	global_load_b32 v52, v[40:41], off
.LBB12_13:                              ;   in Loop: Header=BB12_11 Depth=3
	s_wait_xcnt 0x0
	s_and_not1_saveexec_b32 s7, s7
	s_cbranch_execz .LBB12_15
; %bb.14:                               ;   in Loop: Header=BB12_11 Depth=3
	s_wait_loadcnt 0x0
	v_cndmask_b32_e64 v52, 0, 1.0, s61
.LBB12_15:                              ;   in Loop: Header=BB12_11 Depth=3
	s_or_b32 exec_lo, exec_lo, s7
	v_add_nc_u64_e32 v[54:55], 16, v[38:39]
	v_cmp_eq_u64_e64 s9, s[52:53], v[30:31]
	s_wait_loadcnt 0x0
	ds_store_b32 v44, v52
	v_cmp_lt_i64_e64 s8, v[54:55], v[12:13]
	v_cmp_le_i64_e64 s7, s[42:43], v[54:55]
	s_and_b32 s9, s56, s9
	s_or_b32 s8, vcc_lo, s8
	s_delay_alu instid0(SALU_CYCLE_1) | instskip(NEXT) | instid1(SALU_CYCLE_1)
	s_or_b32 s8, s7, s8
	s_nor_b32 s8, s8, s9
	s_delay_alu instid0(SALU_CYCLE_1) | instskip(NEXT) | instid1(SALU_CYCLE_1)
	s_and_saveexec_b32 s62, s8
	s_xor_b32 s8, exec_lo, s62
	s_cbranch_execz .LBB12_17
; %bb.16:                               ;   in Loop: Header=BB12_11 Depth=3
	global_load_b32 v40, v[40:41], off offset:64
	s_wait_loadcnt 0x0
	ds_store_b32 v44, v40 offset:64
.LBB12_17:                              ;   in Loop: Header=BB12_11 Depth=3
	s_wait_xcnt 0x0
	s_and_not1_saveexec_b32 s8, s8
	s_cbranch_execz .LBB12_23
; %bb.18:                               ;   in Loop: Header=BB12_11 Depth=3
	s_xor_b32 s9, s9, -1
	s_delay_alu instid0(SALU_CYCLE_1) | instskip(NEXT) | instid1(SALU_CYCLE_1)
	s_and_saveexec_b32 s62, s9
	s_xor_b32 s9, exec_lo, s62
; %bb.19:                               ;   in Loop: Header=BB12_11 Depth=3
	ds_store_b32 v44, v49 offset:64
; %bb.20:                               ;   in Loop: Header=BB12_11 Depth=3
	s_and_not1_saveexec_b32 s9, s9
; %bb.21:                               ;   in Loop: Header=BB12_11 Depth=3
	ds_store_b32 v44, v50 offset:64
; %bb.22:                               ;   in Loop: Header=BB12_11 Depth=3
	s_or_b32 exec_lo, exec_lo, s9
.LBB12_23:                              ;   in Loop: Header=BB12_11 Depth=3
	s_delay_alu instid0(SALU_CYCLE_1)
	s_or_b32 exec_lo, exec_lo, s8
	v_cmp_eq_u64_e64 s8, s[52:53], v[28:29]
	v_cmp_lt_i64_e64 s9, v[38:39], v[26:27]
	v_add_nc_u64_e32 v[38:39], v[18:19], v[24:25]
                                        ; implicit-def: $vgpr40
	s_and_b32 s8, s56, s8
	s_or_b32 s9, s4, s9
	s_delay_alu instid0(SALU_CYCLE_1) | instskip(NEXT) | instid1(SALU_CYCLE_1)
	s_or_b32 s9, s9, s8
	s_nor_b32 s6, s6, s9
	s_delay_alu instid0(SALU_CYCLE_1) | instskip(NEXT) | instid1(SALU_CYCLE_1)
	s_and_saveexec_b32 s9, s6
	s_xor_b32 s6, exec_lo, s9
	s_cbranch_execz .LBB12_25
; %bb.24:                               ;   in Loop: Header=BB12_11 Depth=3
	global_load_b32 v40, v[38:39], off
.LBB12_25:                              ;   in Loop: Header=BB12_11 Depth=3
	s_wait_xcnt 0x0
	s_and_not1_saveexec_b32 s6, s6
	s_cbranch_execz .LBB12_27
; %bb.26:                               ;   in Loop: Header=BB12_11 Depth=3
	s_wait_loadcnt 0x0
	v_cndmask_b32_e64 v40, 0, 1.0, s8
.LBB12_27:                              ;   in Loop: Header=BB12_11 Depth=3
	s_or_b32 exec_lo, exec_lo, s6
	s_or_b32 s5, s4, s5
	s_wait_loadcnt 0x0
	ds_store_b32 v44, v40 offset:2048
	s_or_b32 s5, s7, s5
	s_delay_alu instid0(SALU_CYCLE_1) | instskip(NEXT) | instid1(SALU_CYCLE_1)
	s_nor_b32 s5, s5, s61
	s_and_saveexec_b32 s6, s5
	s_delay_alu instid0(SALU_CYCLE_1)
	s_xor_b32 s5, exec_lo, s6
	s_cbranch_execz .LBB12_29
; %bb.28:                               ;   in Loop: Header=BB12_11 Depth=3
	global_load_b32 v38, v[38:39], off offset:64
	s_wait_loadcnt 0x0
	ds_store_b32 v44, v38 offset:2112
.LBB12_29:                              ;   in Loop: Header=BB12_11 Depth=3
	s_wait_xcnt 0x0
	s_and_not1_saveexec_b32 s5, s5
	s_cbranch_execz .LBB12_35
; %bb.30:                               ;   in Loop: Header=BB12_11 Depth=3
	s_xor_b32 s6, s61, -1
	s_delay_alu instid0(SALU_CYCLE_1) | instskip(NEXT) | instid1(SALU_CYCLE_1)
	s_and_saveexec_b32 s7, s6
	s_xor_b32 s6, exec_lo, s7
; %bb.31:                               ;   in Loop: Header=BB12_11 Depth=3
	ds_store_b32 v44, v49 offset:2112
; %bb.32:                               ;   in Loop: Header=BB12_11 Depth=3
	s_and_not1_saveexec_b32 s6, s6
; %bb.33:                               ;   in Loop: Header=BB12_11 Depth=3
	ds_store_b32 v44, v50 offset:2112
; %bb.34:                               ;   in Loop: Header=BB12_11 Depth=3
	s_or_b32 exec_lo, exec_lo, s6
.LBB12_35:                              ;   in Loop: Header=BB12_11 Depth=3
	s_delay_alu instid0(SALU_CYCLE_1) | instskip(SKIP_3) | instid1(VALU_DEP_3)
	s_or_b32 exec_lo, exec_lo, s5
	v_add_nc_u64_e32 v[38:39], s[52:53], v[8:9]
	v_add_nc_u64_e32 v[40:41], v[32:33], v[14:15]
	v_mov_b32_e32 v52, 0
	v_cmp_le_i64_e64 s5, s[42:43], v[38:39]
	s_nor_b32 s7, s5, s2
	s_delay_alu instid0(SALU_CYCLE_1)
	s_and_saveexec_b32 s6, s7
	s_cbranch_execz .LBB12_37
; %bb.36:                               ;   in Loop: Header=BB12_11 Depth=3
	global_load_b32 v52, v[40:41], off offset:-64
.LBB12_37:                              ;   in Loop: Header=BB12_11 Depth=3
	s_wait_xcnt 0x0
	s_or_b32 exec_lo, exec_lo, s6
	s_nor_b32 s5, s5, s3
	s_wait_loadcnt 0x0
	ds_store_b32 v46, v52
	s_and_saveexec_b32 s6, s5
	s_delay_alu instid0(SALU_CYCLE_1)
	s_xor_b32 s5, exec_lo, s6
	s_cbranch_execz .LBB12_39
; %bb.38:                               ;   in Loop: Header=BB12_11 Depth=3
	global_load_b32 v40, v[40:41], off
	s_wait_loadcnt 0x0
	ds_store_b32 v46, v40 offset:64
.LBB12_39:                              ;   in Loop: Header=BB12_11 Depth=3
	s_wait_xcnt 0x0
	s_and_not1_saveexec_b32 s5, s5
; %bb.40:                               ;   in Loop: Header=BB12_11 Depth=3
	ds_store_b32 v46, v49 offset:64
; %bb.41:                               ;   in Loop: Header=BB12_11 Depth=3
	s_or_b32 exec_lo, exec_lo, s5
	v_cmp_le_i64_e64 s5, s[48:49], v[38:39]
	v_add_nc_u64_e32 v[38:39], v[32:33], v[20:21]
	v_mov_b32_e32 v40, 0
	s_nor_b32 s7, s5, s2
	s_delay_alu instid0(SALU_CYCLE_1)
	s_and_saveexec_b32 s6, s7
	s_cbranch_execz .LBB12_43
; %bb.42:                               ;   in Loop: Header=BB12_11 Depth=3
	global_load_b32 v40, v[38:39], off offset:-64
.LBB12_43:                              ;   in Loop: Header=BB12_11 Depth=3
	s_wait_xcnt 0x0
	s_or_b32 exec_lo, exec_lo, s6
	s_nor_b32 s5, s5, s3
	s_wait_loadcnt 0x0
	ds_store_b32 v46, v40 offset:2048
	s_and_saveexec_b32 s6, s5
	s_delay_alu instid0(SALU_CYCLE_1)
	s_xor_b32 s5, exec_lo, s6
	s_cbranch_execz .LBB12_45
; %bb.44:                               ;   in Loop: Header=BB12_11 Depth=3
	global_load_b32 v38, v[38:39], off
	s_wait_loadcnt 0x0
	ds_store_b32 v46, v38 offset:2112
.LBB12_45:                              ;   in Loop: Header=BB12_11 Depth=3
	s_wait_xcnt 0x0
	s_and_not1_saveexec_b32 s5, s5
	s_cbranch_execz .LBB12_10
; %bb.46:                               ;   in Loop: Header=BB12_11 Depth=3
	ds_store_b32 v46, v49 offset:2112
	s_branch .LBB12_10
.LBB12_47:                              ;   in Loop: Header=BB12_8 Depth=2
	v_mov_b32_e32 v37, 0
	s_delay_alu instid0(VALU_DEP_1)
	v_dual_mov_b32 v36, v37 :: v_dual_mov_b32 v35, v37
	v_mov_b32_e32 v34, v37
.LBB12_48:                              ;   in Loop: Header=BB12_8 Depth=2
	v_mul_u64_e32 v[14:15], s[28:29], v[12:13]
	v_cmp_gt_i32_e32 vcc_lo, s10, v12
	s_and_b32 s5, s0, vcc_lo
	s_delay_alu instid0(VALU_DEP_2)
	v_lshl_add_u64 v[14:15], v[14:15], 2, s[50:51]
	s_and_saveexec_b32 s4, s5
	s_cbranch_execz .LBB12_50
; %bb.49:                               ;   in Loop: Header=BB12_8 Depth=2
	s_delay_alu instid0(VALU_DEP_1)
	v_lshl_add_u64 v[16:17], v[0:1], 2, v[14:15]
	global_load_b32 v9, v[16:17], off
	s_wait_loadcnt 0x0
	v_fmac_f32_e32 v9, v51, v36
	global_store_b32 v[16:17], v9, off
.LBB12_50:                              ;   in Loop: Header=BB12_8 Depth=2
	s_wait_xcnt 0x0
	s_or_b32 exec_lo, exec_lo, s4
	s_and_b32 s5, s1, vcc_lo
	s_delay_alu instid0(SALU_CYCLE_1)
	s_and_saveexec_b32 s4, s5
	s_cbranch_execz .LBB12_52
; %bb.51:                               ;   in Loop: Header=BB12_8 Depth=2
	v_lshl_add_u64 v[14:15], v[2:3], 2, v[14:15]
	global_load_b32 v9, v[14:15], off
	s_wait_loadcnt 0x0
	v_fmac_f32_e32 v9, v51, v37
	global_store_b32 v[14:15], v9, off
.LBB12_52:                              ;   in Loop: Header=BB12_8 Depth=2
	s_wait_xcnt 0x0
	s_or_b32 exec_lo, exec_lo, s4
	v_add_nc_u32_e32 v12, 16, v12
	s_delay_alu instid0(VALU_DEP_1) | instskip(SKIP_1) | instid1(VALU_DEP_2)
	v_ashrrev_i32_e32 v13, 31, v12
	v_cmp_gt_i32_e32 vcc_lo, s10, v12
	v_mul_u64_e32 v[14:15], s[28:29], v[12:13]
	s_and_b32 s5, s0, vcc_lo
	s_delay_alu instid0(VALU_DEP_1)
	v_lshl_add_u64 v[12:13], v[14:15], 2, s[50:51]
	s_and_saveexec_b32 s4, s5
	s_cbranch_execz .LBB12_54
; %bb.53:                               ;   in Loop: Header=BB12_8 Depth=2
	s_delay_alu instid0(VALU_DEP_1)
	v_lshl_add_u64 v[14:15], v[0:1], 2, v[12:13]
	global_load_b32 v9, v[14:15], off
	s_wait_loadcnt 0x0
	v_fmac_f32_e32 v9, v51, v34
	global_store_b32 v[14:15], v9, off
.LBB12_54:                              ;   in Loop: Header=BB12_8 Depth=2
	s_wait_xcnt 0x0
	s_or_b32 exec_lo, exec_lo, s4
	s_and_b32 s5, s1, vcc_lo
	s_delay_alu instid0(SALU_CYCLE_1)
	s_and_saveexec_b32 s4, s5
	s_cbranch_execz .LBB12_7
; %bb.55:                               ;   in Loop: Header=BB12_8 Depth=2
	v_lshl_add_u64 v[12:13], v[2:3], 2, v[12:13]
	global_load_b32 v9, v[12:13], off
	s_wait_loadcnt 0x0
	v_fmac_f32_e32 v9, v51, v35
	global_store_b32 v[12:13], v9, off
	s_branch .LBB12_7
.LBB12_56:
	s_sendmsg sendmsg(MSG_DEALLOC_VGPRS)
	s_endpgm
	.section	.rodata,"a",@progbits
	.p2align	6, 0x0
	.amdhsa_kernel _ZL30rocblas_trmm_outofplace_kernelIfLi32ELi2ELb0ELb0ELb0ELb0EPKfS0_fEv17rocblas_diagonal_iiT6_lPT7_lllS5_lllPT8_llli
		.amdhsa_group_segment_fixed_size 8192
		.amdhsa_private_segment_fixed_size 0
		.amdhsa_kernarg_size 392
		.amdhsa_user_sgpr_count 2
		.amdhsa_user_sgpr_dispatch_ptr 0
		.amdhsa_user_sgpr_queue_ptr 0
		.amdhsa_user_sgpr_kernarg_segment_ptr 1
		.amdhsa_user_sgpr_dispatch_id 0
		.amdhsa_user_sgpr_kernarg_preload_length 0
		.amdhsa_user_sgpr_kernarg_preload_offset 0
		.amdhsa_user_sgpr_private_segment_size 0
		.amdhsa_wavefront_size32 1
		.amdhsa_uses_dynamic_stack 0
		.amdhsa_enable_private_segment 0
		.amdhsa_system_sgpr_workgroup_id_x 1
		.amdhsa_system_sgpr_workgroup_id_y 1
		.amdhsa_system_sgpr_workgroup_id_z 1
		.amdhsa_system_sgpr_workgroup_info 0
		.amdhsa_system_vgpr_workitem_id 1
		.amdhsa_next_free_vgpr 76
		.amdhsa_next_free_sgpr 63
		.amdhsa_named_barrier_count 0
		.amdhsa_reserve_vcc 1
		.amdhsa_float_round_mode_32 0
		.amdhsa_float_round_mode_16_64 0
		.amdhsa_float_denorm_mode_32 3
		.amdhsa_float_denorm_mode_16_64 3
		.amdhsa_fp16_overflow 0
		.amdhsa_memory_ordered 1
		.amdhsa_forward_progress 1
		.amdhsa_inst_pref_size 25
		.amdhsa_round_robin_scheduling 0
		.amdhsa_exception_fp_ieee_invalid_op 0
		.amdhsa_exception_fp_denorm_src 0
		.amdhsa_exception_fp_ieee_div_zero 0
		.amdhsa_exception_fp_ieee_overflow 0
		.amdhsa_exception_fp_ieee_underflow 0
		.amdhsa_exception_fp_ieee_inexact 0
		.amdhsa_exception_int_div_zero 0
	.end_amdhsa_kernel
	.section	.text._ZL30rocblas_trmm_outofplace_kernelIfLi32ELi2ELb0ELb0ELb0ELb0EPKfS0_fEv17rocblas_diagonal_iiT6_lPT7_lllS5_lllPT8_llli,"axG",@progbits,_ZL30rocblas_trmm_outofplace_kernelIfLi32ELi2ELb0ELb0ELb0ELb0EPKfS0_fEv17rocblas_diagonal_iiT6_lPT7_lllS5_lllPT8_llli,comdat
.Lfunc_end12:
	.size	_ZL30rocblas_trmm_outofplace_kernelIfLi32ELi2ELb0ELb0ELb0ELb0EPKfS0_fEv17rocblas_diagonal_iiT6_lPT7_lllS5_lllPT8_llli, .Lfunc_end12-_ZL30rocblas_trmm_outofplace_kernelIfLi32ELi2ELb0ELb0ELb0ELb0EPKfS0_fEv17rocblas_diagonal_iiT6_lPT7_lllS5_lllPT8_llli
                                        ; -- End function
	.set _ZL30rocblas_trmm_outofplace_kernelIfLi32ELi2ELb0ELb0ELb0ELb0EPKfS0_fEv17rocblas_diagonal_iiT6_lPT7_lllS5_lllPT8_llli.num_vgpr, 76
	.set _ZL30rocblas_trmm_outofplace_kernelIfLi32ELi2ELb0ELb0ELb0ELb0EPKfS0_fEv17rocblas_diagonal_iiT6_lPT7_lllS5_lllPT8_llli.num_agpr, 0
	.set _ZL30rocblas_trmm_outofplace_kernelIfLi32ELi2ELb0ELb0ELb0ELb0EPKfS0_fEv17rocblas_diagonal_iiT6_lPT7_lllS5_lllPT8_llli.numbered_sgpr, 63
	.set _ZL30rocblas_trmm_outofplace_kernelIfLi32ELi2ELb0ELb0ELb0ELb0EPKfS0_fEv17rocblas_diagonal_iiT6_lPT7_lllS5_lllPT8_llli.num_named_barrier, 0
	.set _ZL30rocblas_trmm_outofplace_kernelIfLi32ELi2ELb0ELb0ELb0ELb0EPKfS0_fEv17rocblas_diagonal_iiT6_lPT7_lllS5_lllPT8_llli.private_seg_size, 0
	.set _ZL30rocblas_trmm_outofplace_kernelIfLi32ELi2ELb0ELb0ELb0ELb0EPKfS0_fEv17rocblas_diagonal_iiT6_lPT7_lllS5_lllPT8_llli.uses_vcc, 1
	.set _ZL30rocblas_trmm_outofplace_kernelIfLi32ELi2ELb0ELb0ELb0ELb0EPKfS0_fEv17rocblas_diagonal_iiT6_lPT7_lllS5_lllPT8_llli.uses_flat_scratch, 0
	.set _ZL30rocblas_trmm_outofplace_kernelIfLi32ELi2ELb0ELb0ELb0ELb0EPKfS0_fEv17rocblas_diagonal_iiT6_lPT7_lllS5_lllPT8_llli.has_dyn_sized_stack, 0
	.set _ZL30rocblas_trmm_outofplace_kernelIfLi32ELi2ELb0ELb0ELb0ELb0EPKfS0_fEv17rocblas_diagonal_iiT6_lPT7_lllS5_lllPT8_llli.has_recursion, 0
	.set _ZL30rocblas_trmm_outofplace_kernelIfLi32ELi2ELb0ELb0ELb0ELb0EPKfS0_fEv17rocblas_diagonal_iiT6_lPT7_lllS5_lllPT8_llli.has_indirect_call, 0
	.section	.AMDGPU.csdata,"",@progbits
; Kernel info:
; codeLenInByte = 3144
; TotalNumSgprs: 65
; NumVgprs: 76
; ScratchSize: 0
; MemoryBound: 0
; FloatMode: 240
; IeeeMode: 1
; LDSByteSize: 8192 bytes/workgroup (compile time only)
; SGPRBlocks: 0
; VGPRBlocks: 4
; NumSGPRsForWavesPerEU: 65
; NumVGPRsForWavesPerEU: 76
; NamedBarCnt: 0
; Occupancy: 12
; WaveLimiterHint : 0
; COMPUTE_PGM_RSRC2:SCRATCH_EN: 0
; COMPUTE_PGM_RSRC2:USER_SGPR: 2
; COMPUTE_PGM_RSRC2:TRAP_HANDLER: 0
; COMPUTE_PGM_RSRC2:TGID_X_EN: 1
; COMPUTE_PGM_RSRC2:TGID_Y_EN: 1
; COMPUTE_PGM_RSRC2:TGID_Z_EN: 1
; COMPUTE_PGM_RSRC2:TIDIG_COMP_CNT: 1
	.section	.text._ZL30rocblas_trmm_outofplace_kernelIfLi32ELi2ELb0ELb0ELb0ELb0EfKffEv17rocblas_diagonal_iiT6_lPT7_lllS4_lllPT8_llli,"axG",@progbits,_ZL30rocblas_trmm_outofplace_kernelIfLi32ELi2ELb0ELb0ELb0ELb0EfKffEv17rocblas_diagonal_iiT6_lPT7_lllS4_lllPT8_llli,comdat
	.globl	_ZL30rocblas_trmm_outofplace_kernelIfLi32ELi2ELb0ELb0ELb0ELb0EfKffEv17rocblas_diagonal_iiT6_lPT7_lllS4_lllPT8_llli ; -- Begin function _ZL30rocblas_trmm_outofplace_kernelIfLi32ELi2ELb0ELb0ELb0ELb0EfKffEv17rocblas_diagonal_iiT6_lPT7_lllS4_lllPT8_llli
	.p2align	8
	.type	_ZL30rocblas_trmm_outofplace_kernelIfLi32ELi2ELb0ELb0ELb0ELb0EfKffEv17rocblas_diagonal_iiT6_lPT7_lllS4_lllPT8_llli,@function
_ZL30rocblas_trmm_outofplace_kernelIfLi32ELi2ELb0ELb0ELb0ELb0EfKffEv17rocblas_diagonal_iiT6_lPT7_lllS4_lllPT8_llli: ; @_ZL30rocblas_trmm_outofplace_kernelIfLi32ELi2ELb0ELb0ELb0ELb0EfKffEv17rocblas_diagonal_iiT6_lPT7_lllS4_lllPT8_llli
; %bb.0:
	s_load_b32 s33, s[0:1], 0x78
	s_bfe_u32 s2, ttmp6, 0x40014
	s_lshr_b32 s3, ttmp7, 16
	s_add_co_i32 s2, s2, 1
	s_bfe_u32 s5, ttmp6, 0x40008
	s_mul_i32 s4, s3, s2
	s_getreg_b32 s2, hwreg(HW_REG_IB_STS2, 6, 4)
	s_add_co_i32 s5, s5, s4
	s_cmp_eq_u32 s2, 0
	s_cselect_b32 s34, s3, s5
	s_wait_kmcnt 0x0
	s_cmp_ge_u32 s34, s33
	s_cbranch_scc1 .LBB13_55
; %bb.1:
	s_load_b128 s[36:39], s[0:1], 0x0
	s_wait_kmcnt 0x0
	s_cmp_eq_f32 s39, 0
	s_cbranch_scc1 .LBB13_55
; %bb.2:
	s_add_co_i32 s3, s38, -1
	s_bfe_u32 s6, ttmp6, 0x4000c
	s_ashr_i32 s5, s3, 31
	s_bfe_u32 s7, ttmp6, 0x40010
	s_lshr_b32 s5, s5, 27
	v_and_b32_e32 v6, 0x3ff, v0
	s_add_co_i32 s3, s3, s5
	v_bfe_u32 v42, v0, 10, 10
	s_add_co_i32 s6, s6, 1
	s_ashr_i32 s50, s3, 5
	s_and_b32 s3, ttmp7, 0xffff
	s_add_co_i32 s7, s7, 1
	s_and_b32 s4, ttmp6, 15
	s_mul_i32 s5, ttmp9, s6
	s_mul_i32 s6, s3, s7
	s_bfe_u32 s7, ttmp6, 0x40004
	s_add_co_i32 s4, s4, s5
	s_add_co_i32 s7, s7, s6
	s_load_b512 s[8:23], s[0:1], 0x18
	v_lshlrev_b32_e32 v43, 7, v42
	v_lshlrev_b32_e32 v0, 2, v6
	s_cmp_eq_u32 s2, 0
	s_load_b256 s[24:31], s[0:1], 0x58
	s_cselect_b32 s2, ttmp9, s4
	s_cselect_b32 s51, s3, s7
	v_lshl_add_u32 v2, s2, 5, v6
	v_or_b32_e32 v44, 0x1000, v0
	s_cmp_le_i32 s51, s50
	s_mov_b32 s2, s37
	s_cselect_b32 s52, -1, 0
	s_cmp_eq_u32 s36, 0x84
	v_dual_add_nc_u32 v46, v44, v43 :: v_dual_ashrrev_i32 v3, 31, v2
	v_add_nc_u32_e32 v45, v43, v0
	s_cselect_b32 s53, -1, 0
	s_ashr_i32 s3, s37, 31
	v_dual_mov_b32 v49, 0 :: v_dual_add_nc_u32 v0, 16, v2
	v_sub_nc_u64_e32 v[4:5], s[2:3], v[2:3]
	s_wait_kmcnt 0x0
	s_lshl_b64 s[4:5], s[18:19], 2
	s_lshl_b32 s6, s51, 5
	s_add_nc_u64 s[4:5], s[16:17], s[4:5]
	s_lshl_b64 s[2:3], s[26:27], 2
	s_add_nc_u64 s[26:27], s[0:1], 0x80
	s_add_nc_u64 s[24:25], s[24:25], s[2:3]
	v_cmp_gt_i64_e64 s0, 1, v[4:5]
	v_cmp_gt_i64_e64 s1, 17, v[4:5]
	v_cmp_gt_i32_e64 s2, s37, v2
	v_cmp_gt_i32_e64 s3, s37, v0
	v_dual_ashrrev_i32 v1, 31, v0 :: v_dual_add_nc_u32 v47, s6, v6
	v_dual_mov_b32 v50, 1.0 :: v_dual_add_nc_u32 v48, s6, v42
	v_lshl_add_u64 v[4:5], v[2:3], 2, s[4:5]
	s_ashr_i32 s41, s38, 31
	s_mov_b32 s40, s38
	s_lshl_b64 s[4:5], s[10:11], 2
	s_mov_b32 s35, 0
	s_lshl_b64 s[42:43], s[20:21], 7
	s_add_nc_u64 s[44:45], s[40:41], -16
	s_lshl_b64 s[16:17], s[20:21], 2
	s_lshl_b64 s[18:19], s[22:23], 2
	s_add_nc_u64 s[10:11], s[8:9], s[4:5]
	s_lshl_b64 s[14:15], s[14:15], 2
	s_lshl_b64 s[22:23], s[12:13], 2
	s_branch .LBB13_4
.LBB13_3:                               ;   in Loop: Header=BB13_4 Depth=1
	s_add_co_i32 s34, s34, 0x10000
	s_delay_alu instid0(SALU_CYCLE_1)
	s_cmp_ge_u32 s34, s33
	s_cbranch_scc1 .LBB13_55
.LBB13_4:                               ; =>This Loop Header: Depth=1
                                        ;     Child Loop BB13_7 Depth 2
                                        ;       Child Loop BB13_10 Depth 3
	s_and_not1_b32 vcc_lo, exec_lo, s52
	s_cbranch_vccnz .LBB13_3
; %bb.5:                                ;   in Loop: Header=BB13_4 Depth=1
	s_load_b32 s54, s[26:27], 0x4
	v_mad_nc_u64_u32 v[6:7], s18, s34, v[4:5]
	s_mul_u64 s[6:7], s[30:31], s[34:35]
	v_dual_mov_b32 v8, v48 :: v_dual_mov_b32 v10, v47
	s_mul_u64 s[4:5], s[14:15], s[34:35]
	s_lshl_b64 s[6:7], s[6:7], 2
	s_add_nc_u64 s[36:37], s[10:11], s[4:5]
	s_add_nc_u64 s[46:47], s[24:25], s[6:7]
	s_mov_b32 s56, s51
	s_delay_alu instid0(VALU_DEP_2)
	v_mad_u32 v7, s19, s34, v7
	s_wait_kmcnt 0x0
	s_lshl_b32 s55, s54, 5
	s_branch .LBB13_7
.LBB13_6:                               ;   in Loop: Header=BB13_7 Depth=2
	s_wait_xcnt 0x0
	s_or_b32 exec_lo, exec_lo, s4
	v_dual_add_nc_u32 v10, s55, v10 :: v_dual_add_nc_u32 v8, s55, v8
	s_add_co_i32 s56, s54, s56
	s_delay_alu instid0(SALU_CYCLE_1)
	s_cmp_gt_i32 s56, s50
	s_cbranch_scc1 .LBB13_3
.LBB13_7:                               ;   Parent Loop BB13_4 Depth=1
                                        ; =>  This Loop Header: Depth=2
                                        ;       Child Loop BB13_10 Depth 3
	s_lshl_b32 s4, s56, 5
	s_delay_alu instid0(SALU_CYCLE_1) | instskip(SKIP_2) | instid1(SALU_CYCLE_1)
	v_dual_ashrrev_i32 v9, 31, v8 :: v_dual_add_nc_u32 v12, s4, v42
	v_ashrrev_i32_e32 v11, 31, v10
	s_sub_co_i32 s57, s38, s4
	s_cmp_lt_i32 s57, 1
	s_delay_alu instid0(VALU_DEP_2)
	v_ashrrev_i32_e32 v13, 31, v12
	s_cbranch_scc1 .LBB13_46
; %bb.8:                                ;   in Loop: Header=BB13_7 Depth=2
	v_lshl_add_u64 v[28:29], v[8:9], 2, 64
	v_mad_nc_u64_u32 v[14:15], s16, v8, 64
	v_mad_nc_u64_u32 v[16:17], s22, v8, s[36:37]
	v_sub_nc_u64_e32 v[22:23], v[8:9], v[10:11]
	v_add_nc_u64_e32 v[26:27], 16, v[12:13]
	v_mad_nc_u64_u32 v[18:19], s12, v28, s[36:37]
	v_mad_nc_u64_u32 v[20:21], s20, v28, 64
	v_mov_b32_e32 v34, 0
	v_lshlrev_b64_e32 v[24:25], 2, v[10:11]
	v_mov_b64_e32 v[32:33], v[6:7]
	v_add_nc_u64_e32 v[30:31], -16, v[22:23]
	v_cmp_le_i64_e64 s4, s[40:41], v[26:27]
	v_mad_u32 v15, s17, v8, v15
	v_mad_u32 v17, s23, v8, v17
	v_dual_mov_b32 v35, v34 :: v_dual_mov_b32 v36, v34
	v_mad_u32 v19, s13, v28, v19
	v_mad_u32 v21, s21, v28, v21
	v_mov_b32_e32 v37, v34
	s_mov_b64 s[48:49], 0
	v_cmp_le_i32_e32 vcc_lo, s38, v12
	v_mad_u32 v15, s16, v9, v15
	v_mad_u32 v17, s22, v9, v17
	;; [unrolled: 1-line block ×4, first 2 shown]
	v_add_nc_u64_e32 v[28:29], 16, v[22:23]
	s_branch .LBB13_10
.LBB13_9:                               ;   in Loop: Header=BB13_10 Depth=3
	s_or_b32 exec_lo, exec_lo, s5
	s_wait_dscnt 0x0
	s_barrier_signal -1
	s_barrier_wait -1
	ds_load_b128 v[38:41], v43
	ds_load_2addr_b32 v[64:65], v44 offset1:16
	ds_load_b128 v[52:55], v43 offset:2048
	ds_load_2addr_b32 v[66:67], v44 offset0:32 offset1:48
	ds_load_2addr_b32 v[68:69], v44 offset0:64 offset1:80
	;; [unrolled: 1-line block ×3, first 2 shown]
	ds_load_b128 v[56:59], v43 offset:16
	ds_load_2addr_b32 v[72:73], v44 offset0:128 offset1:144
	ds_load_b128 v[60:63], v43 offset:2064
	v_add_nc_u32_e32 v51, 0x400, v44
	v_add_nc_u32_e32 v74, 0x800, v44
	v_add_nc_u64_e32 v[32:33], s[42:43], v[32:33]
	v_add_nc_u64_e32 v[18:19], 0x80, v[18:19]
	;; [unrolled: 1-line block ×3, first 2 shown]
	s_add_nc_u64 s[48:49], s[48:49], 32
	s_delay_alu instid0(SALU_CYCLE_1)
	s_cmp_ge_i32 s48, s57
	s_wait_dscnt 0x7
	v_pk_fma_f32 v[36:37], v[64:65], v[38:39], v[36:37] op_sel_hi:[1,0,1]
	s_wait_dscnt 0x6
	v_pk_fma_f32 v[34:35], v[64:65], v[52:53], v[34:35] op_sel_hi:[1,0,1]
	ds_load_2addr_b32 v[64:65], v44 offset0:160 offset1:176
	s_wait_dscnt 0x6
	v_pk_fma_f32 v[36:37], v[66:67], v[38:39], v[36:37] op_sel:[0,1,0]
	v_pk_fma_f32 v[34:35], v[66:67], v[52:53], v[34:35] op_sel:[0,1,0]
	v_dual_mov_b32 v38, v41 :: v_dual_mov_b32 v66, v55
	ds_load_2addr_b32 v[52:53], v44 offset0:192 offset1:208
	s_wait_dscnt 0x6
	v_pk_fma_f32 v[36:37], v[68:69], v[40:41], v[36:37] op_sel_hi:[1,0,1]
	v_pk_fma_f32 v[34:35], v[68:69], v[54:55], v[34:35] op_sel_hi:[1,0,1]
	ds_load_2addr_b32 v[54:55], v44 offset0:224 offset1:240
	s_wait_dscnt 0x6
	v_pk_fma_f32 v[68:69], v[70:71], v[38:39], v[36:37] op_sel_hi:[1,0,1]
	v_pk_fma_f32 v[66:67], v[70:71], v[66:67], v[34:35] op_sel_hi:[1,0,1]
	s_wait_dscnt 0x4
	s_delay_alu instid0(VALU_DEP_2) | instskip(SKIP_1) | instid1(VALU_DEP_2)
	v_pk_fma_f32 v[68:69], v[72:73], v[56:57], v[68:69] op_sel_hi:[1,0,1]
	s_wait_dscnt 0x3
	v_pk_fma_f32 v[66:67], v[72:73], v[60:61], v[66:67] op_sel_hi:[1,0,1]
	s_wait_dscnt 0x2
	s_delay_alu instid0(VALU_DEP_2) | instskip(NEXT) | instid1(VALU_DEP_2)
	v_pk_fma_f32 v[56:57], v[64:65], v[56:57], v[68:69] op_sel:[0,1,0]
	v_pk_fma_f32 v[60:61], v[64:65], v[60:61], v[66:67] op_sel:[0,1,0]
	v_mov_b32_e32 v66, v59
	ds_load_b128 v[34:37], v43 offset:32
	ds_load_b128 v[38:41], v43 offset:2080
	ds_load_2addr_b32 v[70:71], v51 offset1:16
	ds_load_2addr_b32 v[72:73], v51 offset0:32 offset1:48
	ds_load_2addr_b32 v[64:65], v51 offset0:64 offset1:80
	s_wait_dscnt 0x6
	v_pk_fma_f32 v[56:57], v[52:53], v[58:59], v[56:57] op_sel_hi:[1,0,1]
	v_mov_b32_e32 v68, v63
	v_pk_fma_f32 v[52:53], v[52:53], v[62:63], v[60:61] op_sel_hi:[1,0,1]
	ds_load_2addr_b32 v[60:61], v51 offset0:96 offset1:112
	s_wait_dscnt 0x6
	v_pk_fma_f32 v[62:63], v[54:55], v[66:67], v[56:57] op_sel_hi:[1,0,1]
	v_pk_fma_f32 v[66:67], v[54:55], v[68:69], v[52:53] op_sel_hi:[1,0,1]
	ds_load_b128 v[52:55], v43 offset:48
	ds_load_b128 v[56:59], v43 offset:2096
	ds_load_2addr_b32 v[68:69], v51 offset0:128 offset1:144
	s_wait_dscnt 0x6
	v_pk_fma_f32 v[62:63], v[70:71], v[34:35], v[62:63] op_sel_hi:[1,0,1]
	v_pk_fma_f32 v[66:67], v[70:71], v[38:39], v[66:67] op_sel_hi:[1,0,1]
	ds_load_2addr_b32 v[70:71], v51 offset0:160 offset1:176
	s_wait_dscnt 0x6
	v_pk_fma_f32 v[34:35], v[72:73], v[34:35], v[62:63] op_sel:[0,1,0]
	v_pk_fma_f32 v[38:39], v[72:73], v[38:39], v[66:67] op_sel:[0,1,0]
	v_mov_b32_e32 v66, v37
	ds_load_2addr_b32 v[62:63], v51 offset0:192 offset1:208
	v_mov_b32_e32 v72, v41
	s_wait_dscnt 0x6
	v_pk_fma_f32 v[34:35], v[64:65], v[36:37], v[34:35] op_sel_hi:[1,0,1]
	v_pk_fma_f32 v[36:37], v[64:65], v[40:41], v[38:39] op_sel_hi:[1,0,1]
	ds_load_2addr_b32 v[64:65], v51 offset0:224 offset1:240
	v_add_nc_u32_e32 v51, 0xc00, v44
	s_wait_dscnt 0x6
	v_pk_fma_f32 v[66:67], v[60:61], v[66:67], v[34:35] op_sel_hi:[1,0,1]
	s_wait_dscnt 0x3
	s_delay_alu instid0(VALU_DEP_1) | instskip(SKIP_1) | instid1(VALU_DEP_1)
	v_pk_fma_f32 v[66:67], v[68:69], v[52:53], v[66:67] op_sel_hi:[1,0,1]
	s_wait_dscnt 0x2
	v_pk_fma_f32 v[52:53], v[70:71], v[52:53], v[66:67] op_sel:[0,1,0]
	v_mov_b32_e32 v66, v55
	v_pk_fma_f32 v[60:61], v[60:61], v[72:73], v[36:37] op_sel_hi:[1,0,1]
	ds_load_b128 v[34:37], v43 offset:64
	ds_load_b128 v[38:41], v43 offset:2112
	ds_load_2addr_b32 v[72:73], v74 offset1:16
	s_wait_dscnt 0x4
	v_pk_fma_f32 v[52:53], v[62:63], v[54:55], v[52:53] op_sel_hi:[1,0,1]
	v_pk_fma_f32 v[60:61], v[68:69], v[56:57], v[60:61] op_sel_hi:[1,0,1]
	ds_load_2addr_b32 v[68:69], v74 offset0:32 offset1:48
	s_wait_dscnt 0x4
	v_pk_fma_f32 v[66:67], v[64:65], v[66:67], v[52:53] op_sel_hi:[1,0,1]
	v_pk_fma_f32 v[56:57], v[70:71], v[56:57], v[60:61] op_sel:[0,1,0]
	ds_load_2addr_b32 v[60:61], v74 offset0:64 offset1:80
	v_mov_b32_e32 v70, v59
	v_pk_fma_f32 v[54:55], v[62:63], v[58:59], v[56:57] op_sel_hi:[1,0,1]
	ds_load_2addr_b32 v[62:63], v74 offset0:96 offset1:112
	s_wait_dscnt 0x3
	v_pk_fma_f32 v[66:67], v[72:73], v[34:35], v[66:67] op_sel_hi:[1,0,1]
	s_wait_dscnt 0x2
	s_delay_alu instid0(VALU_DEP_1)
	v_pk_fma_f32 v[34:35], v[68:69], v[34:35], v[66:67] op_sel:[0,1,0]
	v_mov_b32_e32 v66, v37
	v_pk_fma_f32 v[64:65], v[64:65], v[70:71], v[54:55] op_sel_hi:[1,0,1]
	ds_load_b128 v[52:55], v43 offset:80
	ds_load_b128 v[56:59], v43 offset:2128
	ds_load_2addr_b32 v[70:71], v74 offset0:128 offset1:144
	s_wait_dscnt 0x4
	v_pk_fma_f32 v[34:35], v[60:61], v[36:37], v[34:35] op_sel_hi:[1,0,1]
	v_pk_fma_f32 v[64:65], v[72:73], v[38:39], v[64:65] op_sel_hi:[1,0,1]
	ds_load_2addr_b32 v[72:73], v74 offset0:160 offset1:176
	s_wait_dscnt 0x4
	v_pk_fma_f32 v[66:67], v[62:63], v[66:67], v[34:35] op_sel_hi:[1,0,1]
	v_pk_fma_f32 v[38:39], v[68:69], v[38:39], v[64:65] op_sel:[0,1,0]
	ds_load_2addr_b32 v[64:65], v74 offset0:192 offset1:208
	v_mov_b32_e32 v68, v41
	v_pk_fma_f32 v[36:37], v[60:61], v[40:41], v[38:39] op_sel_hi:[1,0,1]
	ds_load_2addr_b32 v[60:61], v74 offset0:224 offset1:240
	v_pk_fma_f32 v[62:63], v[62:63], v[68:69], v[36:37] op_sel_hi:[1,0,1]
	ds_load_b128 v[34:37], v43 offset:96
	ds_load_b128 v[38:41], v43 offset:2144
	ds_load_2addr_b32 v[68:69], v51 offset1:16
	s_wait_dscnt 0x6
	v_pk_fma_f32 v[66:67], v[70:71], v[52:53], v[66:67] op_sel_hi:[1,0,1]
	v_pk_fma_f32 v[62:63], v[70:71], v[56:57], v[62:63] op_sel_hi:[1,0,1]
	ds_load_2addr_b32 v[70:71], v51 offset0:32 offset1:48
	s_wait_dscnt 0x6
	v_pk_fma_f32 v[52:53], v[72:73], v[52:53], v[66:67] op_sel:[0,1,0]
	v_mov_b32_e32 v66, v55
	v_pk_fma_f32 v[56:57], v[72:73], v[56:57], v[62:63] op_sel:[0,1,0]
	ds_load_2addr_b32 v[62:63], v51 offset0:64 offset1:80
	v_mov_b32_e32 v72, v59
	s_wait_dscnt 0x6
	v_pk_fma_f32 v[52:53], v[64:65], v[54:55], v[52:53] op_sel_hi:[1,0,1]
	v_pk_fma_f32 v[54:55], v[64:65], v[58:59], v[56:57] op_sel_hi:[1,0,1]
	ds_load_2addr_b32 v[64:65], v51 offset0:96 offset1:112
	s_wait_dscnt 0x6
	v_pk_fma_f32 v[66:67], v[60:61], v[66:67], v[52:53] op_sel_hi:[1,0,1]
	v_pk_fma_f32 v[60:61], v[60:61], v[72:73], v[54:55] op_sel_hi:[1,0,1]
	ds_load_b128 v[52:55], v43 offset:112
	ds_load_b128 v[56:59], v43 offset:2160
	ds_load_2addr_b32 v[72:73], v51 offset0:128 offset1:144
	s_wait_dscnt 0x6
	v_pk_fma_f32 v[66:67], v[68:69], v[34:35], v[66:67] op_sel_hi:[1,0,1]
	v_pk_fma_f32 v[60:61], v[68:69], v[38:39], v[60:61] op_sel_hi:[1,0,1]
	ds_load_2addr_b32 v[68:69], v51 offset0:160 offset1:176
	s_wait_dscnt 0x6
	v_pk_fma_f32 v[34:35], v[70:71], v[34:35], v[66:67] op_sel:[0,1,0]
	v_mov_b32_e32 v66, v37
	v_pk_fma_f32 v[38:39], v[70:71], v[38:39], v[60:61] op_sel:[0,1,0]
	ds_load_2addr_b32 v[60:61], v51 offset0:192 offset1:208
	v_mov_b32_e32 v70, v41
	s_wait_dscnt 0x6
	v_pk_fma_f32 v[34:35], v[62:63], v[36:37], v[34:35] op_sel_hi:[1,0,1]
	v_pk_fma_f32 v[36:37], v[62:63], v[40:41], v[38:39] op_sel_hi:[1,0,1]
	ds_load_2addr_b32 v[38:39], v51 offset0:224 offset1:240
	s_wait_dscnt 0x0
	v_pk_fma_f32 v[34:35], v[64:65], v[66:67], v[34:35] op_sel_hi:[1,0,1]
	v_mov_b32_e32 v40, v55
	v_pk_fma_f32 v[36:37], v[64:65], v[70:71], v[36:37] op_sel_hi:[1,0,1]
	s_barrier_signal -1
	s_barrier_wait -1
	v_pk_fma_f32 v[34:35], v[72:73], v[52:53], v[34:35] op_sel_hi:[1,0,1]
	s_delay_alu instid0(VALU_DEP_2) | instskip(NEXT) | instid1(VALU_DEP_2)
	v_pk_fma_f32 v[36:37], v[72:73], v[56:57], v[36:37] op_sel_hi:[1,0,1]
	v_pk_fma_f32 v[34:35], v[68:69], v[52:53], v[34:35] op_sel:[0,1,0]
	v_mov_b32_e32 v52, v59
	s_delay_alu instid0(VALU_DEP_3) | instskip(NEXT) | instid1(VALU_DEP_3)
	v_pk_fma_f32 v[36:37], v[68:69], v[56:57], v[36:37] op_sel:[0,1,0]
	v_pk_fma_f32 v[34:35], v[60:61], v[54:55], v[34:35] op_sel_hi:[1,0,1]
	s_delay_alu instid0(VALU_DEP_2) | instskip(NEXT) | instid1(VALU_DEP_2)
	v_pk_fma_f32 v[54:55], v[60:61], v[58:59], v[36:37] op_sel_hi:[1,0,1]
	v_pk_fma_f32 v[36:37], v[38:39], v[40:41], v[34:35] op_sel_hi:[1,0,1]
	s_delay_alu instid0(VALU_DEP_2)
	v_pk_fma_f32 v[34:35], v[38:39], v[52:53], v[54:55] op_sel_hi:[1,0,1]
	s_cbranch_scc1 .LBB13_47
.LBB13_10:                              ;   Parent Loop BB13_4 Depth=1
                                        ;     Parent Loop BB13_7 Depth=2
                                        ; =>    This Inner Loop Header: Depth=3
	v_add_nc_u64_e32 v[38:39], s[48:49], v[10:11]
	v_cmp_eq_u64_e64 s7, s[48:49], v[22:23]
	v_add_nc_u64_e32 v[40:41], v[16:17], v[24:25]
                                        ; implicit-def: $vgpr51
	s_delay_alu instid0(VALU_DEP_3) | instskip(SKIP_3) | instid1(SALU_CYCLE_1)
	v_cmp_lt_i64_e64 s5, v[38:39], v[12:13]
	v_cmp_le_i64_e64 s6, s[40:41], v[38:39]
	s_and_b32 s58, s53, s7
	s_or_b32 s8, vcc_lo, s5
	s_or_b32 s7, s6, s8
	s_delay_alu instid0(SALU_CYCLE_1) | instskip(NEXT) | instid1(SALU_CYCLE_1)
	s_nor_b32 s7, s7, s58
	s_and_saveexec_b32 s8, s7
	s_delay_alu instid0(SALU_CYCLE_1)
	s_xor_b32 s7, exec_lo, s8
	s_cbranch_execz .LBB13_12
; %bb.11:                               ;   in Loop: Header=BB13_10 Depth=3
	global_load_b32 v51, v[40:41], off
.LBB13_12:                              ;   in Loop: Header=BB13_10 Depth=3
	s_wait_xcnt 0x0
	s_and_not1_saveexec_b32 s7, s7
	s_cbranch_execz .LBB13_14
; %bb.13:                               ;   in Loop: Header=BB13_10 Depth=3
	s_wait_loadcnt 0x0
	v_cndmask_b32_e64 v51, 0, 1.0, s58
.LBB13_14:                              ;   in Loop: Header=BB13_10 Depth=3
	s_or_b32 exec_lo, exec_lo, s7
	v_add_nc_u64_e32 v[52:53], 16, v[38:39]
	v_cmp_eq_u64_e64 s9, s[48:49], v[30:31]
	s_wait_loadcnt 0x0
	ds_store_b32 v45, v51
	v_cmp_lt_i64_e64 s8, v[52:53], v[12:13]
	v_cmp_le_i64_e64 s7, s[40:41], v[52:53]
	s_and_b32 s9, s53, s9
	s_or_b32 s8, vcc_lo, s8
	s_delay_alu instid0(SALU_CYCLE_1) | instskip(NEXT) | instid1(SALU_CYCLE_1)
	s_or_b32 s8, s7, s8
	s_nor_b32 s8, s8, s9
	s_delay_alu instid0(SALU_CYCLE_1) | instskip(NEXT) | instid1(SALU_CYCLE_1)
	s_and_saveexec_b32 s59, s8
	s_xor_b32 s8, exec_lo, s59
	s_cbranch_execz .LBB13_16
; %bb.15:                               ;   in Loop: Header=BB13_10 Depth=3
	global_load_b32 v40, v[40:41], off offset:64
	s_wait_loadcnt 0x0
	ds_store_b32 v45, v40 offset:64
.LBB13_16:                              ;   in Loop: Header=BB13_10 Depth=3
	s_wait_xcnt 0x0
	s_and_not1_saveexec_b32 s8, s8
	s_cbranch_execz .LBB13_22
; %bb.17:                               ;   in Loop: Header=BB13_10 Depth=3
	s_xor_b32 s9, s9, -1
	s_delay_alu instid0(SALU_CYCLE_1) | instskip(NEXT) | instid1(SALU_CYCLE_1)
	s_and_saveexec_b32 s59, s9
	s_xor_b32 s9, exec_lo, s59
; %bb.18:                               ;   in Loop: Header=BB13_10 Depth=3
	ds_store_b32 v45, v49 offset:64
; %bb.19:                               ;   in Loop: Header=BB13_10 Depth=3
	s_and_not1_saveexec_b32 s9, s9
; %bb.20:                               ;   in Loop: Header=BB13_10 Depth=3
	ds_store_b32 v45, v50 offset:64
; %bb.21:                               ;   in Loop: Header=BB13_10 Depth=3
	s_or_b32 exec_lo, exec_lo, s9
.LBB13_22:                              ;   in Loop: Header=BB13_10 Depth=3
	s_delay_alu instid0(SALU_CYCLE_1)
	s_or_b32 exec_lo, exec_lo, s8
	v_cmp_eq_u64_e64 s8, s[48:49], v[28:29]
	v_cmp_lt_i64_e64 s9, v[38:39], v[26:27]
	v_add_nc_u64_e32 v[38:39], v[18:19], v[24:25]
                                        ; implicit-def: $vgpr40
	s_and_b32 s8, s53, s8
	s_or_b32 s9, s4, s9
	s_delay_alu instid0(SALU_CYCLE_1) | instskip(NEXT) | instid1(SALU_CYCLE_1)
	s_or_b32 s9, s9, s8
	s_nor_b32 s6, s6, s9
	s_delay_alu instid0(SALU_CYCLE_1) | instskip(NEXT) | instid1(SALU_CYCLE_1)
	s_and_saveexec_b32 s9, s6
	s_xor_b32 s6, exec_lo, s9
	s_cbranch_execz .LBB13_24
; %bb.23:                               ;   in Loop: Header=BB13_10 Depth=3
	global_load_b32 v40, v[38:39], off
.LBB13_24:                              ;   in Loop: Header=BB13_10 Depth=3
	s_wait_xcnt 0x0
	s_and_not1_saveexec_b32 s6, s6
	s_cbranch_execz .LBB13_26
; %bb.25:                               ;   in Loop: Header=BB13_10 Depth=3
	s_wait_loadcnt 0x0
	v_cndmask_b32_e64 v40, 0, 1.0, s8
.LBB13_26:                              ;   in Loop: Header=BB13_10 Depth=3
	s_or_b32 exec_lo, exec_lo, s6
	s_or_b32 s5, s4, s5
	s_wait_loadcnt 0x0
	ds_store_b32 v45, v40 offset:2048
	s_or_b32 s5, s7, s5
	s_delay_alu instid0(SALU_CYCLE_1) | instskip(NEXT) | instid1(SALU_CYCLE_1)
	s_nor_b32 s5, s5, s58
	s_and_saveexec_b32 s6, s5
	s_delay_alu instid0(SALU_CYCLE_1)
	s_xor_b32 s5, exec_lo, s6
	s_cbranch_execz .LBB13_28
; %bb.27:                               ;   in Loop: Header=BB13_10 Depth=3
	global_load_b32 v38, v[38:39], off offset:64
	s_wait_loadcnt 0x0
	ds_store_b32 v45, v38 offset:2112
.LBB13_28:                              ;   in Loop: Header=BB13_10 Depth=3
	s_wait_xcnt 0x0
	s_and_not1_saveexec_b32 s5, s5
	s_cbranch_execz .LBB13_34
; %bb.29:                               ;   in Loop: Header=BB13_10 Depth=3
	s_xor_b32 s6, s58, -1
	s_delay_alu instid0(SALU_CYCLE_1) | instskip(NEXT) | instid1(SALU_CYCLE_1)
	s_and_saveexec_b32 s7, s6
	s_xor_b32 s6, exec_lo, s7
; %bb.30:                               ;   in Loop: Header=BB13_10 Depth=3
	ds_store_b32 v45, v49 offset:2112
; %bb.31:                               ;   in Loop: Header=BB13_10 Depth=3
	s_and_not1_saveexec_b32 s6, s6
; %bb.32:                               ;   in Loop: Header=BB13_10 Depth=3
	ds_store_b32 v45, v50 offset:2112
; %bb.33:                               ;   in Loop: Header=BB13_10 Depth=3
	s_or_b32 exec_lo, exec_lo, s6
.LBB13_34:                              ;   in Loop: Header=BB13_10 Depth=3
	s_delay_alu instid0(SALU_CYCLE_1) | instskip(SKIP_3) | instid1(VALU_DEP_3)
	s_or_b32 exec_lo, exec_lo, s5
	v_add_nc_u64_e32 v[38:39], s[48:49], v[8:9]
	v_add_nc_u64_e32 v[40:41], v[32:33], v[14:15]
	v_mov_b32_e32 v51, 0
	v_cmp_le_i64_e64 s5, s[40:41], v[38:39]
	s_nor_b32 s7, s5, s0
	s_delay_alu instid0(SALU_CYCLE_1)
	s_and_saveexec_b32 s6, s7
	s_cbranch_execz .LBB13_36
; %bb.35:                               ;   in Loop: Header=BB13_10 Depth=3
	global_load_b32 v51, v[40:41], off offset:-64
.LBB13_36:                              ;   in Loop: Header=BB13_10 Depth=3
	s_wait_xcnt 0x0
	s_or_b32 exec_lo, exec_lo, s6
	s_nor_b32 s5, s5, s1
	s_wait_loadcnt 0x0
	ds_store_b32 v46, v51
	s_and_saveexec_b32 s6, s5
	s_delay_alu instid0(SALU_CYCLE_1)
	s_xor_b32 s5, exec_lo, s6
	s_cbranch_execz .LBB13_38
; %bb.37:                               ;   in Loop: Header=BB13_10 Depth=3
	global_load_b32 v40, v[40:41], off
	s_wait_loadcnt 0x0
	ds_store_b32 v46, v40 offset:64
.LBB13_38:                              ;   in Loop: Header=BB13_10 Depth=3
	s_wait_xcnt 0x0
	s_and_not1_saveexec_b32 s5, s5
; %bb.39:                               ;   in Loop: Header=BB13_10 Depth=3
	ds_store_b32 v46, v49 offset:64
; %bb.40:                               ;   in Loop: Header=BB13_10 Depth=3
	s_or_b32 exec_lo, exec_lo, s5
	v_cmp_le_i64_e64 s5, s[44:45], v[38:39]
	v_add_nc_u64_e32 v[38:39], v[32:33], v[20:21]
	v_mov_b32_e32 v40, 0
	s_nor_b32 s7, s5, s0
	s_delay_alu instid0(SALU_CYCLE_1)
	s_and_saveexec_b32 s6, s7
	s_cbranch_execz .LBB13_42
; %bb.41:                               ;   in Loop: Header=BB13_10 Depth=3
	global_load_b32 v40, v[38:39], off offset:-64
.LBB13_42:                              ;   in Loop: Header=BB13_10 Depth=3
	s_wait_xcnt 0x0
	s_or_b32 exec_lo, exec_lo, s6
	s_nor_b32 s5, s5, s1
	s_wait_loadcnt 0x0
	ds_store_b32 v46, v40 offset:2048
	s_and_saveexec_b32 s6, s5
	s_delay_alu instid0(SALU_CYCLE_1)
	s_xor_b32 s5, exec_lo, s6
	s_cbranch_execz .LBB13_44
; %bb.43:                               ;   in Loop: Header=BB13_10 Depth=3
	global_load_b32 v38, v[38:39], off
	s_wait_loadcnt 0x0
	ds_store_b32 v46, v38 offset:2112
.LBB13_44:                              ;   in Loop: Header=BB13_10 Depth=3
	s_wait_xcnt 0x0
	s_and_not1_saveexec_b32 s5, s5
	s_cbranch_execz .LBB13_9
; %bb.45:                               ;   in Loop: Header=BB13_10 Depth=3
	ds_store_b32 v46, v49 offset:2112
	s_branch .LBB13_9
.LBB13_46:                              ;   in Loop: Header=BB13_7 Depth=2
	v_mov_b32_e32 v37, 0
	s_delay_alu instid0(VALU_DEP_1)
	v_dual_mov_b32 v36, v37 :: v_dual_mov_b32 v35, v37
	v_mov_b32_e32 v34, v37
.LBB13_47:                              ;   in Loop: Header=BB13_7 Depth=2
	v_mul_u64_e32 v[14:15], s[28:29], v[12:13]
	v_cmp_gt_i32_e32 vcc_lo, s38, v12
	s_and_b32 s5, s2, vcc_lo
	s_delay_alu instid0(VALU_DEP_2)
	v_lshl_add_u64 v[14:15], v[14:15], 2, s[46:47]
	s_and_saveexec_b32 s4, s5
	s_cbranch_execz .LBB13_49
; %bb.48:                               ;   in Loop: Header=BB13_7 Depth=2
	s_delay_alu instid0(VALU_DEP_1)
	v_lshl_add_u64 v[16:17], v[2:3], 2, v[14:15]
	global_load_b32 v9, v[16:17], off
	s_wait_loadcnt 0x0
	v_fmac_f32_e32 v9, s39, v36
	global_store_b32 v[16:17], v9, off
.LBB13_49:                              ;   in Loop: Header=BB13_7 Depth=2
	s_wait_xcnt 0x0
	s_or_b32 exec_lo, exec_lo, s4
	s_and_b32 s5, s3, vcc_lo
	s_delay_alu instid0(SALU_CYCLE_1)
	s_and_saveexec_b32 s4, s5
	s_cbranch_execz .LBB13_51
; %bb.50:                               ;   in Loop: Header=BB13_7 Depth=2
	v_lshl_add_u64 v[14:15], v[0:1], 2, v[14:15]
	global_load_b32 v9, v[14:15], off
	s_wait_loadcnt 0x0
	v_fmac_f32_e32 v9, s39, v37
	global_store_b32 v[14:15], v9, off
.LBB13_51:                              ;   in Loop: Header=BB13_7 Depth=2
	s_wait_xcnt 0x0
	s_or_b32 exec_lo, exec_lo, s4
	v_add_nc_u32_e32 v12, 16, v12
	s_delay_alu instid0(VALU_DEP_1) | instskip(SKIP_1) | instid1(VALU_DEP_2)
	v_ashrrev_i32_e32 v13, 31, v12
	v_cmp_gt_i32_e32 vcc_lo, s38, v12
	v_mul_u64_e32 v[14:15], s[28:29], v[12:13]
	s_and_b32 s5, s2, vcc_lo
	s_delay_alu instid0(VALU_DEP_1)
	v_lshl_add_u64 v[12:13], v[14:15], 2, s[46:47]
	s_and_saveexec_b32 s4, s5
	s_cbranch_execz .LBB13_53
; %bb.52:                               ;   in Loop: Header=BB13_7 Depth=2
	s_delay_alu instid0(VALU_DEP_1)
	v_lshl_add_u64 v[14:15], v[2:3], 2, v[12:13]
	global_load_b32 v9, v[14:15], off
	s_wait_loadcnt 0x0
	v_fmac_f32_e32 v9, s39, v34
	global_store_b32 v[14:15], v9, off
.LBB13_53:                              ;   in Loop: Header=BB13_7 Depth=2
	s_wait_xcnt 0x0
	s_or_b32 exec_lo, exec_lo, s4
	s_and_b32 s5, s3, vcc_lo
	s_delay_alu instid0(SALU_CYCLE_1)
	s_and_saveexec_b32 s4, s5
	s_cbranch_execz .LBB13_6
; %bb.54:                               ;   in Loop: Header=BB13_7 Depth=2
	v_lshl_add_u64 v[12:13], v[0:1], 2, v[12:13]
	global_load_b32 v9, v[12:13], off
	s_wait_loadcnt 0x0
	v_fmac_f32_e32 v9, s39, v35
	global_store_b32 v[12:13], v9, off
	s_branch .LBB13_6
.LBB13_55:
	s_sendmsg sendmsg(MSG_DEALLOC_VGPRS)
	s_endpgm
	.section	.rodata,"a",@progbits
	.p2align	6, 0x0
	.amdhsa_kernel _ZL30rocblas_trmm_outofplace_kernelIfLi32ELi2ELb0ELb0ELb0ELb0EfKffEv17rocblas_diagonal_iiT6_lPT7_lllS4_lllPT8_llli
		.amdhsa_group_segment_fixed_size 8192
		.amdhsa_private_segment_fixed_size 0
		.amdhsa_kernarg_size 384
		.amdhsa_user_sgpr_count 2
		.amdhsa_user_sgpr_dispatch_ptr 0
		.amdhsa_user_sgpr_queue_ptr 0
		.amdhsa_user_sgpr_kernarg_segment_ptr 1
		.amdhsa_user_sgpr_dispatch_id 0
		.amdhsa_user_sgpr_kernarg_preload_length 0
		.amdhsa_user_sgpr_kernarg_preload_offset 0
		.amdhsa_user_sgpr_private_segment_size 0
		.amdhsa_wavefront_size32 1
		.amdhsa_uses_dynamic_stack 0
		.amdhsa_enable_private_segment 0
		.amdhsa_system_sgpr_workgroup_id_x 1
		.amdhsa_system_sgpr_workgroup_id_y 1
		.amdhsa_system_sgpr_workgroup_id_z 1
		.amdhsa_system_sgpr_workgroup_info 0
		.amdhsa_system_vgpr_workitem_id 1
		.amdhsa_next_free_vgpr 75
		.amdhsa_next_free_sgpr 60
		.amdhsa_named_barrier_count 0
		.amdhsa_reserve_vcc 1
		.amdhsa_float_round_mode_32 0
		.amdhsa_float_round_mode_16_64 0
		.amdhsa_float_denorm_mode_32 3
		.amdhsa_float_denorm_mode_16_64 3
		.amdhsa_fp16_overflow 0
		.amdhsa_memory_ordered 1
		.amdhsa_forward_progress 1
		.amdhsa_inst_pref_size 24
		.amdhsa_round_robin_scheduling 0
		.amdhsa_exception_fp_ieee_invalid_op 0
		.amdhsa_exception_fp_denorm_src 0
		.amdhsa_exception_fp_ieee_div_zero 0
		.amdhsa_exception_fp_ieee_overflow 0
		.amdhsa_exception_fp_ieee_underflow 0
		.amdhsa_exception_fp_ieee_inexact 0
		.amdhsa_exception_int_div_zero 0
	.end_amdhsa_kernel
	.section	.text._ZL30rocblas_trmm_outofplace_kernelIfLi32ELi2ELb0ELb0ELb0ELb0EfKffEv17rocblas_diagonal_iiT6_lPT7_lllS4_lllPT8_llli,"axG",@progbits,_ZL30rocblas_trmm_outofplace_kernelIfLi32ELi2ELb0ELb0ELb0ELb0EfKffEv17rocblas_diagonal_iiT6_lPT7_lllS4_lllPT8_llli,comdat
.Lfunc_end13:
	.size	_ZL30rocblas_trmm_outofplace_kernelIfLi32ELi2ELb0ELb0ELb0ELb0EfKffEv17rocblas_diagonal_iiT6_lPT7_lllS4_lllPT8_llli, .Lfunc_end13-_ZL30rocblas_trmm_outofplace_kernelIfLi32ELi2ELb0ELb0ELb0ELb0EfKffEv17rocblas_diagonal_iiT6_lPT7_lllS4_lllPT8_llli
                                        ; -- End function
	.set _ZL30rocblas_trmm_outofplace_kernelIfLi32ELi2ELb0ELb0ELb0ELb0EfKffEv17rocblas_diagonal_iiT6_lPT7_lllS4_lllPT8_llli.num_vgpr, 75
	.set _ZL30rocblas_trmm_outofplace_kernelIfLi32ELi2ELb0ELb0ELb0ELb0EfKffEv17rocblas_diagonal_iiT6_lPT7_lllS4_lllPT8_llli.num_agpr, 0
	.set _ZL30rocblas_trmm_outofplace_kernelIfLi32ELi2ELb0ELb0ELb0ELb0EfKffEv17rocblas_diagonal_iiT6_lPT7_lllS4_lllPT8_llli.numbered_sgpr, 60
	.set _ZL30rocblas_trmm_outofplace_kernelIfLi32ELi2ELb0ELb0ELb0ELb0EfKffEv17rocblas_diagonal_iiT6_lPT7_lllS4_lllPT8_llli.num_named_barrier, 0
	.set _ZL30rocblas_trmm_outofplace_kernelIfLi32ELi2ELb0ELb0ELb0ELb0EfKffEv17rocblas_diagonal_iiT6_lPT7_lllS4_lllPT8_llli.private_seg_size, 0
	.set _ZL30rocblas_trmm_outofplace_kernelIfLi32ELi2ELb0ELb0ELb0ELb0EfKffEv17rocblas_diagonal_iiT6_lPT7_lllS4_lllPT8_llli.uses_vcc, 1
	.set _ZL30rocblas_trmm_outofplace_kernelIfLi32ELi2ELb0ELb0ELb0ELb0EfKffEv17rocblas_diagonal_iiT6_lPT7_lllS4_lllPT8_llli.uses_flat_scratch, 0
	.set _ZL30rocblas_trmm_outofplace_kernelIfLi32ELi2ELb0ELb0ELb0ELb0EfKffEv17rocblas_diagonal_iiT6_lPT7_lllS4_lllPT8_llli.has_dyn_sized_stack, 0
	.set _ZL30rocblas_trmm_outofplace_kernelIfLi32ELi2ELb0ELb0ELb0ELb0EfKffEv17rocblas_diagonal_iiT6_lPT7_lllS4_lllPT8_llli.has_recursion, 0
	.set _ZL30rocblas_trmm_outofplace_kernelIfLi32ELi2ELb0ELb0ELb0ELb0EfKffEv17rocblas_diagonal_iiT6_lPT7_lllS4_lllPT8_llli.has_indirect_call, 0
	.section	.AMDGPU.csdata,"",@progbits
; Kernel info:
; codeLenInByte = 3072
; TotalNumSgprs: 62
; NumVgprs: 75
; ScratchSize: 0
; MemoryBound: 0
; FloatMode: 240
; IeeeMode: 1
; LDSByteSize: 8192 bytes/workgroup (compile time only)
; SGPRBlocks: 0
; VGPRBlocks: 4
; NumSGPRsForWavesPerEU: 62
; NumVGPRsForWavesPerEU: 75
; NamedBarCnt: 0
; Occupancy: 12
; WaveLimiterHint : 0
; COMPUTE_PGM_RSRC2:SCRATCH_EN: 0
; COMPUTE_PGM_RSRC2:USER_SGPR: 2
; COMPUTE_PGM_RSRC2:TRAP_HANDLER: 0
; COMPUTE_PGM_RSRC2:TGID_X_EN: 1
; COMPUTE_PGM_RSRC2:TGID_Y_EN: 1
; COMPUTE_PGM_RSRC2:TGID_Z_EN: 1
; COMPUTE_PGM_RSRC2:TIDIG_COMP_CNT: 1
	.section	.text._ZL30rocblas_trmm_outofplace_kernelIfLi32ELi2ELb0ELb1ELb0ELb0EPKfS0_fEv17rocblas_diagonal_iiT6_lPT7_lllS5_lllPT8_llli,"axG",@progbits,_ZL30rocblas_trmm_outofplace_kernelIfLi32ELi2ELb0ELb1ELb0ELb0EPKfS0_fEv17rocblas_diagonal_iiT6_lPT7_lllS5_lllPT8_llli,comdat
	.globl	_ZL30rocblas_trmm_outofplace_kernelIfLi32ELi2ELb0ELb1ELb0ELb0EPKfS0_fEv17rocblas_diagonal_iiT6_lPT7_lllS5_lllPT8_llli ; -- Begin function _ZL30rocblas_trmm_outofplace_kernelIfLi32ELi2ELb0ELb1ELb0ELb0EPKfS0_fEv17rocblas_diagonal_iiT6_lPT7_lllS5_lllPT8_llli
	.p2align	8
	.type	_ZL30rocblas_trmm_outofplace_kernelIfLi32ELi2ELb0ELb1ELb0ELb0EPKfS0_fEv17rocblas_diagonal_iiT6_lPT7_lllS5_lllPT8_llli,@function
_ZL30rocblas_trmm_outofplace_kernelIfLi32ELi2ELb0ELb1ELb0ELb0EPKfS0_fEv17rocblas_diagonal_iiT6_lPT7_lllS5_lllPT8_llli: ; @_ZL30rocblas_trmm_outofplace_kernelIfLi32ELi2ELb0ELb1ELb0ELb0EPKfS0_fEv17rocblas_diagonal_iiT6_lPT7_lllS5_lllPT8_llli
; %bb.0:
	s_load_b32 s33, s[0:1], 0x80
	s_bfe_u32 s2, ttmp6, 0x40014
	s_lshr_b32 s3, ttmp7, 16
	s_add_co_i32 s2, s2, 1
	s_bfe_u32 s5, ttmp6, 0x40008
	s_mul_i32 s4, s3, s2
	s_getreg_b32 s2, hwreg(HW_REG_IB_STS2, 6, 4)
	s_add_co_i32 s5, s5, s4
	s_cmp_eq_u32 s2, 0
	s_mov_b32 s35, 0
	s_cselect_b32 s34, s3, s5
	s_wait_kmcnt 0x0
	s_cmp_ge_u32 s34, s33
	s_cbranch_scc1 .LBB14_55
; %bb.1:
	s_clause 0x3
	s_load_b96 s[36:38], s[0:1], 0x0
	s_load_b512 s[12:27], s[0:1], 0x10
	s_load_b128 s[28:31], s[0:1], 0x70
	s_load_b256 s[4:11], s[0:1], 0x50
	v_and_b32_e32 v2, 0x3ff, v0
	v_bfe_u32 v0, v0, 10, 10
	v_mov_b32_e32 v3, 0
	s_bfe_u32 s39, ttmp6, 0x4000c
	s_and_b32 s3, ttmp6, 15
	s_add_co_i32 s39, s39, 1
	s_delay_alu instid0(VALU_DEP_1)
	v_dual_mov_b32 v1, v3 :: v_dual_lshlrev_b32 v46, 7, v0
	v_dual_lshlrev_b32 v4, 2, v2 :: v_dual_lshlrev_b32 v8, 2, v0
	v_mov_b32_e32 v9, v3
	s_bfe_u32 s41, ttmp6, 0x40010
	s_mul_i32 s39, ttmp9, s39
	s_and_b32 s40, ttmp7, 0xffff
	s_add_co_i32 s41, s41, 1
	v_add_nc_u64_e32 v[8:9], 64, v[8:9]
	s_wait_kmcnt 0x0
	s_add_co_i32 s43, s38, -1
	s_add_co_i32 s3, s3, s39
	s_ashr_i32 s44, s43, 31
	v_mul_u64_e32 v[14:15], s[4:5], v[0:1]
	s_lshr_b32 s39, s44, 27
	s_bfe_u32 s42, ttmp6, 0x40004
	s_mul_i32 s41, s40, s41
	s_add_co_i32 s43, s43, s39
	s_add_co_i32 s42, s42, s41
	s_lshl_b64 s[10:11], s[10:11], 2
	s_ashr_i32 s39, s43, 5
	v_mul_u64_e32 v[8:9], s[4:5], v[8:9]
	s_cmp_eq_u32 s2, 0
	v_or_b32_e32 v47, 0x1000, v4
	s_cselect_b32 s2, ttmp9, s3
	s_cselect_b32 s50, s40, s42
	v_lshl_add_u32 v6, s2, 5, v2
	s_cmp_le_i32 s50, s39
	s_mov_b32 s2, s37
	s_cselect_b32 s51, -1, 0
	s_cmp_eq_u32 s36, 0x84
	v_dual_ashrrev_i32 v7, 31, v6 :: v_dual_add_nc_u32 v48, v46, v4
	s_cselect_b32 s52, -1, 0
	s_ashr_i32 s3, s37, 31
	s_lshl_b64 s[42:43], s[4:5], 7
	s_delay_alu instid0(VALU_DEP_1)
	v_sub_nc_u64_e32 v[10:11], s[2:3], v[6:7]
	s_lshl_b64 s[4:5], s[26:27], 2
	s_add_nc_u64 s[44:45], s[0:1], 0x88
	s_add_nc_u64 s[4:5], s[24:25], s[4:5]
	v_sub_nc_u64_e32 v[12:13], 0, v[2:3]
	v_lshl_add_u64 v[16:17], v[6:7], 2, s[4:5]
	v_dual_add_nc_u32 v49, v47, v46 :: v_dual_mov_b32 v51, 1.0
	v_cmp_gt_i64_e64 s0, 1, v[10:11]
	v_cmp_gt_i64_e64 s1, 17, v[10:11]
	v_dual_mov_b32 v5, v3 :: v_dual_add_nc_u32 v10, 16, v6
	v_lshlrev_b64_e32 v[14:15], 2, v[14:15]
	v_add_nc_u64_e32 v[16:17], 64, v[16:17]
	v_cmp_gt_i32_e64 s2, s37, v6
	s_delay_alu instid0(VALU_DEP_4)
	v_cmp_gt_i32_e64 s3, s37, v10
	v_ashrrev_i32_e32 v11, 31, v10
	v_lshl_add_u32 v50, s50, 5, v0
	v_add_nc_u32_e32 v52, 0x400, v47
	v_add_nc_u32_e32 v53, 0x800, v47
	s_ashr_i32 s41, s38, 31
	s_mov_b32 s40, s38
	s_lshl_b64 s[4:5], s[18:19], 2
	s_add_nc_u64 s[10:11], s[8:9], s[10:11]
	s_add_nc_u64 s[46:47], s[40:41], -16
	s_lshl_b64 s[24:25], s[6:7], 2
	s_add_nc_u64 s[16:17], s[16:17], s[4:5]
	s_lshl_b64 s[18:19], s[22:23], 2
	s_lshl_b64 s[22:23], s[20:21], 2
	s_branch .LBB14_4
.LBB14_2:                               ;   in Loop: Header=BB14_4 Depth=1
	s_add_co_i32 s34, s34, 0x10000
	s_delay_alu instid0(SALU_CYCLE_1)
	s_cmp_ge_u32 s34, s33
	s_cselect_b32 s4, -1, 0
.LBB14_3:                               ;   in Loop: Header=BB14_4 Depth=1
	s_delay_alu instid0(SALU_CYCLE_1)
	s_and_b32 vcc_lo, exec_lo, s4
	s_cbranch_vccnz .LBB14_55
.LBB14_4:                               ; =>This Loop Header: Depth=1
                                        ;     Child Loop BB14_8 Depth 2
                                        ;       Child Loop BB14_11 Depth 3
	s_mul_u64 s[4:5], s[14:15], s[34:35]
	s_delay_alu instid0(SALU_CYCLE_1) | instskip(NEXT) | instid1(SALU_CYCLE_1)
	s_lshl_b64 s[4:5], s[4:5], 2
	s_add_nc_u64 s[4:5], s[12:13], s[4:5]
	global_load_b32 v54, v3, s[4:5]
	s_wait_xcnt 0x0
	s_mov_b32 s4, -1
	s_wait_loadcnt 0x0
	v_cmp_eq_f32_e32 vcc_lo, 0, v54
	s_cbranch_vccnz .LBB14_3
; %bb.5:                                ;   in Loop: Header=BB14_4 Depth=1
	s_and_not1_b32 vcc_lo, exec_lo, s51
	s_cbranch_vccnz .LBB14_2
; %bb.6:                                ;   in Loop: Header=BB14_4 Depth=1
	s_load_b32 s53, s[44:45], 0x4
	v_mad_nc_u64_u32 v[18:19], s24, s34, v[16:17]
	s_mul_u64 s[6:7], s[30:31], s[34:35]
	v_mov_b32_e32 v20, v50
	s_mul_u64 s[4:5], s[18:19], s[34:35]
	s_lshl_b64 s[6:7], s[6:7], 2
	s_add_nc_u64 s[26:27], s[16:17], s[4:5]
	s_add_nc_u64 s[36:37], s[10:11], s[6:7]
	s_mov_b32 s55, s50
	s_delay_alu instid0(VALU_DEP_2)
	v_mad_u32 v19, s25, s34, v19
	s_wait_kmcnt 0x0
	s_lshl_b32 s54, s53, 5
	s_branch .LBB14_8
.LBB14_7:                               ;   in Loop: Header=BB14_8 Depth=2
	s_wait_xcnt 0x0
	s_or_b32 exec_lo, exec_lo, s4
	v_add_nc_u32_e32 v20, s54, v20
	s_add_co_i32 s55, s53, s55
	s_delay_alu instid0(SALU_CYCLE_1)
	s_cmp_gt_i32 s55, s39
	s_cbranch_scc1 .LBB14_2
.LBB14_8:                               ;   Parent Loop BB14_4 Depth=1
                                        ; =>  This Loop Header: Depth=2
                                        ;       Child Loop BB14_11 Depth 3
	s_lshl_b32 s56, s55, 5
	s_delay_alu instid0(SALU_CYCLE_1) | instskip(SKIP_1) | instid1(VALU_DEP_1)
	v_dual_mov_b32 v41, 0 :: v_dual_add_nc_u32 v22, s56, v0
	s_cmp_lt_i32 s55, 0
	v_dual_mov_b32 v40, v41 :: v_dual_mov_b32 v39, v41
	s_delay_alu instid0(VALU_DEP_2)
	v_dual_mov_b32 v38, v41 :: v_dual_ashrrev_i32 v23, 31, v22
	s_cbranch_scc1 .LBB14_47
; %bb.9:                                ;   in Loop: Header=BB14_8 Depth=2
	v_dual_mov_b32 v38, 0 :: v_dual_ashrrev_i32 v21, 31, v20
	v_mad_nc_u64_u32 v[24:25], s22, v20, s[26:27]
	s_delay_alu instid0(VALU_DEP_3) | instskip(SKIP_1) | instid1(VALU_DEP_4)
	v_add_nc_u64_e32 v[28:29], 16, v[22:23]
	v_mov_b64_e32 v[36:37], v[18:19]
	v_lshl_add_u64 v[32:33], v[20:21], 2, 64
	v_add_nc_u64_e32 v[30:31], v[12:13], v[20:21]
	v_dual_mov_b32 v39, v38 :: v_dual_mov_b32 v40, v38
	v_mov_b32_e32 v41, v38
	s_delay_alu instid0(VALU_DEP_4)
	v_mad_nc_u64_u32 v[26:27], s20, v32, s[26:27]
	v_cmp_le_i64_e64 s4, s[40:41], v[28:29]
	s_mov_b64 s[48:49], 0
	v_mad_u32 v25, s23, v20, v25
	v_add_nc_u64_e32 v[34:35], -16, v[30:31]
	v_cmp_le_i32_e32 vcc_lo, s38, v22
	v_mad_u32 v27, s21, v32, v27
	s_delay_alu instid0(VALU_DEP_4) | instskip(NEXT) | instid1(VALU_DEP_2)
	v_mad_u32 v25, s22, v21, v25
	v_mad_u32 v27, s20, v33, v27
	v_add_nc_u64_e32 v[32:33], 16, v[30:31]
	s_branch .LBB14_11
.LBB14_10:                              ;   in Loop: Header=BB14_11 Depth=3
	s_or_b32 exec_lo, exec_lo, s5
	s_wait_dscnt 0x0
	s_barrier_signal -1
	s_barrier_wait -1
	ds_load_b128 v[42:45], v46
	ds_load_2addr_b32 v[68:69], v47 offset1:16
	ds_load_b128 v[56:59], v46 offset:2048
	ds_load_2addr_b32 v[70:71], v47 offset0:32 offset1:48
	ds_load_2addr_b32 v[72:73], v47 offset0:64 offset1:80
	;; [unrolled: 1-line block ×3, first 2 shown]
	ds_load_b128 v[60:63], v46 offset:16
	ds_load_2addr_b32 v[76:77], v47 offset0:128 offset1:144
	ds_load_b128 v[64:67], v46 offset:2064
	v_add_nc_u64_e32 v[36:37], s[42:43], v[36:37]
	v_add_nc_u64_e32 v[26:27], 0x80, v[26:27]
	;; [unrolled: 1-line block ×3, first 2 shown]
	s_add_nc_u64 s[48:49], s[48:49], 32
	s_delay_alu instid0(SALU_CYCLE_1) | instskip(NEXT) | instid1(SALU_CYCLE_1)
	s_sub_co_i32 s5, s48, 32
	s_cmp_ge_i32 s5, s56
	s_wait_dscnt 0x7
	v_pk_fma_f32 v[40:41], v[68:69], v[42:43], v[40:41] op_sel_hi:[1,0,1]
	s_wait_dscnt 0x6
	v_pk_fma_f32 v[38:39], v[68:69], v[56:57], v[38:39] op_sel_hi:[1,0,1]
	ds_load_2addr_b32 v[68:69], v47 offset0:160 offset1:176
	s_wait_dscnt 0x6
	v_pk_fma_f32 v[40:41], v[70:71], v[42:43], v[40:41] op_sel:[0,1,0]
	v_pk_fma_f32 v[38:39], v[70:71], v[56:57], v[38:39] op_sel:[0,1,0]
	ds_load_2addr_b32 v[56:57], v47 offset0:192 offset1:208
	v_dual_mov_b32 v42, v45 :: v_dual_mov_b32 v70, v59
	s_wait_dscnt 0x6
	v_pk_fma_f32 v[40:41], v[72:73], v[44:45], v[40:41] op_sel_hi:[1,0,1]
	v_pk_fma_f32 v[38:39], v[72:73], v[58:59], v[38:39] op_sel_hi:[1,0,1]
	ds_load_2addr_b32 v[58:59], v47 offset0:224 offset1:240
	s_wait_dscnt 0x6
	v_pk_fma_f32 v[72:73], v[74:75], v[42:43], v[40:41] op_sel_hi:[1,0,1]
	v_pk_fma_f32 v[70:71], v[74:75], v[70:71], v[38:39] op_sel_hi:[1,0,1]
	ds_load_b128 v[38:41], v46 offset:32
	ds_load_2addr_b32 v[74:75], v52 offset1:16
	ds_load_b128 v[42:45], v46 offset:2080
	s_wait_dscnt 0x7
	v_pk_fma_f32 v[72:73], v[76:77], v[60:61], v[72:73] op_sel_hi:[1,0,1]
	s_wait_dscnt 0x6
	v_pk_fma_f32 v[70:71], v[76:77], v[64:65], v[70:71] op_sel_hi:[1,0,1]
	ds_load_2addr_b32 v[76:77], v52 offset0:32 offset1:48
	s_wait_dscnt 0x6
	v_pk_fma_f32 v[60:61], v[68:69], v[60:61], v[72:73] op_sel:[0,1,0]
	v_pk_fma_f32 v[64:65], v[68:69], v[64:65], v[70:71] op_sel:[0,1,0]
	ds_load_2addr_b32 v[68:69], v52 offset0:64 offset1:80
	v_dual_mov_b32 v70, v63 :: v_dual_mov_b32 v72, v67
	s_wait_dscnt 0x6
	v_pk_fma_f32 v[60:61], v[56:57], v[62:63], v[60:61] op_sel_hi:[1,0,1]
	v_pk_fma_f32 v[56:57], v[56:57], v[66:67], v[64:65] op_sel_hi:[1,0,1]
	ds_load_2addr_b32 v[64:65], v52 offset0:96 offset1:112
	s_wait_dscnt 0x6
	v_pk_fma_f32 v[66:67], v[58:59], v[70:71], v[60:61] op_sel_hi:[1,0,1]
	v_pk_fma_f32 v[70:71], v[58:59], v[72:73], v[56:57] op_sel_hi:[1,0,1]
	ds_load_b128 v[56:59], v46 offset:48
	ds_load_2addr_b32 v[72:73], v52 offset0:128 offset1:144
	ds_load_b128 v[60:63], v46 offset:2096
	s_wait_dscnt 0x7
	v_pk_fma_f32 v[66:67], v[74:75], v[38:39], v[66:67] op_sel_hi:[1,0,1]
	s_wait_dscnt 0x6
	v_pk_fma_f32 v[70:71], v[74:75], v[42:43], v[70:71] op_sel_hi:[1,0,1]
	ds_load_2addr_b32 v[74:75], v52 offset0:160 offset1:176
	s_wait_dscnt 0x6
	v_pk_fma_f32 v[38:39], v[76:77], v[38:39], v[66:67] op_sel:[0,1,0]
	v_pk_fma_f32 v[42:43], v[76:77], v[42:43], v[70:71] op_sel:[0,1,0]
	ds_load_2addr_b32 v[66:67], v52 offset0:192 offset1:208
	v_dual_mov_b32 v70, v41 :: v_dual_mov_b32 v76, v45
	s_wait_dscnt 0x6
	v_pk_fma_f32 v[38:39], v[68:69], v[40:41], v[38:39] op_sel_hi:[1,0,1]
	v_pk_fma_f32 v[40:41], v[68:69], v[44:45], v[42:43] op_sel_hi:[1,0,1]
	ds_load_2addr_b32 v[68:69], v52 offset0:224 offset1:240
	s_wait_dscnt 0x6
	v_pk_fma_f32 v[70:71], v[64:65], v[70:71], v[38:39] op_sel_hi:[1,0,1]
	v_pk_fma_f32 v[64:65], v[64:65], v[76:77], v[40:41] op_sel_hi:[1,0,1]
	ds_load_b128 v[38:41], v46 offset:64
	ds_load_2addr_b32 v[76:77], v53 offset1:16
	ds_load_b128 v[42:45], v46 offset:2112
	s_wait_dscnt 0x7
	v_pk_fma_f32 v[70:71], v[72:73], v[56:57], v[70:71] op_sel_hi:[1,0,1]
	s_wait_dscnt 0x6
	v_pk_fma_f32 v[64:65], v[72:73], v[60:61], v[64:65] op_sel_hi:[1,0,1]
	ds_load_2addr_b32 v[72:73], v53 offset0:32 offset1:48
	s_wait_dscnt 0x6
	v_pk_fma_f32 v[56:57], v[74:75], v[56:57], v[70:71] op_sel:[0,1,0]
	v_pk_fma_f32 v[60:61], v[74:75], v[60:61], v[64:65] op_sel:[0,1,0]
	ds_load_2addr_b32 v[64:65], v53 offset0:64 offset1:80
	v_dual_mov_b32 v70, v59 :: v_dual_mov_b32 v74, v63
	s_wait_dscnt 0x6
	v_pk_fma_f32 v[56:57], v[66:67], v[58:59], v[56:57] op_sel_hi:[1,0,1]
	v_pk_fma_f32 v[58:59], v[66:67], v[62:63], v[60:61] op_sel_hi:[1,0,1]
	ds_load_2addr_b32 v[66:67], v53 offset0:96 offset1:112
	s_wait_dscnt 0x6
	v_pk_fma_f32 v[70:71], v[68:69], v[70:71], v[56:57] op_sel_hi:[1,0,1]
	v_pk_fma_f32 v[68:69], v[68:69], v[74:75], v[58:59] op_sel_hi:[1,0,1]
	ds_load_b128 v[56:59], v46 offset:80
	ds_load_2addr_b32 v[74:75], v53 offset0:128 offset1:144
	ds_load_b128 v[60:63], v46 offset:2128
	v_add_nc_u32_e32 v21, 0xc00, v47
	s_wait_dscnt 0x7
	v_pk_fma_f32 v[70:71], v[76:77], v[38:39], v[70:71] op_sel_hi:[1,0,1]
	s_wait_dscnt 0x6
	v_pk_fma_f32 v[68:69], v[76:77], v[42:43], v[68:69] op_sel_hi:[1,0,1]
	ds_load_2addr_b32 v[76:77], v53 offset0:160 offset1:176
	s_wait_dscnt 0x6
	v_pk_fma_f32 v[38:39], v[72:73], v[38:39], v[70:71] op_sel:[0,1,0]
	v_mov_b32_e32 v70, v41
	v_pk_fma_f32 v[42:43], v[72:73], v[42:43], v[68:69] op_sel:[0,1,0]
	ds_load_2addr_b32 v[68:69], v53 offset0:192 offset1:208
	v_mov_b32_e32 v72, v45
	s_wait_dscnt 0x6
	v_pk_fma_f32 v[38:39], v[64:65], v[40:41], v[38:39] op_sel_hi:[1,0,1]
	v_pk_fma_f32 v[40:41], v[64:65], v[44:45], v[42:43] op_sel_hi:[1,0,1]
	ds_load_2addr_b32 v[64:65], v53 offset0:224 offset1:240
	s_wait_dscnt 0x6
	v_pk_fma_f32 v[70:71], v[66:67], v[70:71], v[38:39] op_sel_hi:[1,0,1]
	v_pk_fma_f32 v[66:67], v[66:67], v[72:73], v[40:41] op_sel_hi:[1,0,1]
	s_wait_dscnt 0x4
	s_delay_alu instid0(VALU_DEP_2) | instskip(SKIP_1) | instid1(VALU_DEP_2)
	v_pk_fma_f32 v[70:71], v[74:75], v[56:57], v[70:71] op_sel_hi:[1,0,1]
	s_wait_dscnt 0x3
	v_pk_fma_f32 v[66:67], v[74:75], v[60:61], v[66:67] op_sel_hi:[1,0,1]
	s_wait_dscnt 0x2
	s_delay_alu instid0(VALU_DEP_2)
	v_pk_fma_f32 v[56:57], v[76:77], v[56:57], v[70:71] op_sel:[0,1,0]
	v_mov_b32_e32 v70, v59
	ds_load_b128 v[38:41], v46 offset:96
	ds_load_b128 v[42:45], v46 offset:2144
	ds_load_2addr_b32 v[72:73], v21 offset1:16
	ds_load_2addr_b32 v[74:75], v21 offset0:32 offset1:48
	v_pk_fma_f32 v[60:61], v[76:77], v[60:61], v[66:67] op_sel:[0,1,0]
	s_wait_dscnt 0x5
	v_pk_fma_f32 v[56:57], v[68:69], v[58:59], v[56:57] op_sel_hi:[1,0,1]
	ds_load_2addr_b32 v[66:67], v21 offset0:64 offset1:80
	v_mov_b32_e32 v76, v63
	v_pk_fma_f32 v[58:59], v[68:69], v[62:63], v[60:61] op_sel_hi:[1,0,1]
	s_wait_dscnt 0x5
	v_pk_fma_f32 v[70:71], v[64:65], v[70:71], v[56:57] op_sel_hi:[1,0,1]
	ds_load_2addr_b32 v[68:69], v21 offset0:96 offset1:112
	s_wait_dscnt 0x3
	v_pk_fma_f32 v[70:71], v[72:73], v[38:39], v[70:71] op_sel_hi:[1,0,1]
	s_wait_dscnt 0x2
	s_delay_alu instid0(VALU_DEP_1)
	v_pk_fma_f32 v[38:39], v[74:75], v[38:39], v[70:71] op_sel:[0,1,0]
	v_mov_b32_e32 v70, v41
	v_pk_fma_f32 v[64:65], v[64:65], v[76:77], v[58:59] op_sel_hi:[1,0,1]
	ds_load_b128 v[56:59], v46 offset:112
	ds_load_b128 v[60:63], v46 offset:2160
	ds_load_2addr_b32 v[76:77], v21 offset0:128 offset1:144
	s_wait_dscnt 0x4
	v_pk_fma_f32 v[38:39], v[66:67], v[40:41], v[38:39] op_sel_hi:[1,0,1]
	v_pk_fma_f32 v[64:65], v[72:73], v[42:43], v[64:65] op_sel_hi:[1,0,1]
	ds_load_2addr_b32 v[72:73], v21 offset0:160 offset1:176
	s_wait_dscnt 0x4
	v_pk_fma_f32 v[38:39], v[68:69], v[70:71], v[38:39] op_sel_hi:[1,0,1]
	v_pk_fma_f32 v[42:43], v[74:75], v[42:43], v[64:65] op_sel:[0,1,0]
	ds_load_2addr_b32 v[64:65], v21 offset0:192 offset1:208
	v_mov_b32_e32 v74, v45
	v_pk_fma_f32 v[40:41], v[66:67], v[44:45], v[42:43] op_sel_hi:[1,0,1]
	ds_load_2addr_b32 v[42:43], v21 offset0:224 offset1:240
	s_wait_dscnt 0x0
	s_barrier_signal -1
	v_mov_b32_e32 v44, v59
	v_pk_fma_f32 v[40:41], v[68:69], v[74:75], v[40:41] op_sel_hi:[1,0,1]
	v_pk_fma_f32 v[38:39], v[76:77], v[56:57], v[38:39] op_sel_hi:[1,0,1]
	s_barrier_wait -1
	s_delay_alu instid0(VALU_DEP_2) | instskip(NEXT) | instid1(VALU_DEP_2)
	v_pk_fma_f32 v[40:41], v[76:77], v[60:61], v[40:41] op_sel_hi:[1,0,1]
	v_pk_fma_f32 v[38:39], v[72:73], v[56:57], v[38:39] op_sel:[0,1,0]
	v_mov_b32_e32 v56, v63
	s_delay_alu instid0(VALU_DEP_3) | instskip(NEXT) | instid1(VALU_DEP_3)
	v_pk_fma_f32 v[40:41], v[72:73], v[60:61], v[40:41] op_sel:[0,1,0]
	v_pk_fma_f32 v[38:39], v[64:65], v[58:59], v[38:39] op_sel_hi:[1,0,1]
	s_delay_alu instid0(VALU_DEP_2) | instskip(NEXT) | instid1(VALU_DEP_2)
	v_pk_fma_f32 v[58:59], v[64:65], v[62:63], v[40:41] op_sel_hi:[1,0,1]
	v_pk_fma_f32 v[40:41], v[42:43], v[44:45], v[38:39] op_sel_hi:[1,0,1]
	s_delay_alu instid0(VALU_DEP_2)
	v_pk_fma_f32 v[38:39], v[42:43], v[56:57], v[58:59] op_sel_hi:[1,0,1]
	s_cbranch_scc1 .LBB14_47
.LBB14_11:                              ;   Parent Loop BB14_4 Depth=1
                                        ;     Parent Loop BB14_8 Depth=2
                                        ; =>    This Inner Loop Header: Depth=3
	v_add_nc_u64_e32 v[42:43], s[48:49], v[2:3]
	v_cmp_eq_u64_e64 s7, s[48:49], v[30:31]
	v_add_nc_u64_e32 v[44:45], v[24:25], v[4:5]
                                        ; implicit-def: $vgpr21
	s_delay_alu instid0(VALU_DEP_3) | instskip(SKIP_3) | instid1(SALU_CYCLE_1)
	v_cmp_gt_i64_e64 s5, v[42:43], v[22:23]
	v_cmp_le_i64_e64 s6, s[40:41], v[42:43]
	s_and_b32 s57, s52, s7
	s_or_b32 s7, vcc_lo, s5
	s_or_b32 s7, s7, s57
	s_delay_alu instid0(SALU_CYCLE_1) | instskip(NEXT) | instid1(SALU_CYCLE_1)
	s_nor_b32 s7, s6, s7
	s_and_saveexec_b32 s8, s7
	s_delay_alu instid0(SALU_CYCLE_1)
	s_xor_b32 s7, exec_lo, s8
	s_cbranch_execz .LBB14_13
; %bb.12:                               ;   in Loop: Header=BB14_11 Depth=3
	global_load_b32 v21, v[44:45], off
.LBB14_13:                              ;   in Loop: Header=BB14_11 Depth=3
	s_wait_xcnt 0x0
	s_and_not1_saveexec_b32 s7, s7
	s_cbranch_execz .LBB14_15
; %bb.14:                               ;   in Loop: Header=BB14_11 Depth=3
	s_wait_loadcnt 0x0
	v_cndmask_b32_e64 v21, 0, 1.0, s57
.LBB14_15:                              ;   in Loop: Header=BB14_11 Depth=3
	s_or_b32 exec_lo, exec_lo, s7
	v_add_nc_u64_e32 v[56:57], 16, v[42:43]
	v_cmp_eq_u64_e64 s8, s[48:49], v[34:35]
	s_wait_loadcnt 0x0
	ds_store_b32 v48, v21
	v_cmp_gt_i64_e64 s9, v[56:57], v[22:23]
	v_cmp_le_i64_e64 s7, s[40:41], v[56:57]
	s_and_b32 s58, s52, s8
	s_or_b32 s8, vcc_lo, s9
	s_delay_alu instid0(SALU_CYCLE_1) | instskip(NEXT) | instid1(SALU_CYCLE_1)
	s_or_b32 s8, s8, s58
	s_nor_b32 s8, s7, s8
	s_delay_alu instid0(SALU_CYCLE_1) | instskip(NEXT) | instid1(SALU_CYCLE_1)
	s_and_saveexec_b32 s9, s8
	s_xor_b32 s8, exec_lo, s9
	s_cbranch_execz .LBB14_17
; %bb.16:                               ;   in Loop: Header=BB14_11 Depth=3
	global_load_b32 v21, v[44:45], off offset:64
	s_wait_loadcnt 0x0
	ds_store_b32 v48, v21 offset:64
.LBB14_17:                              ;   in Loop: Header=BB14_11 Depth=3
	s_wait_xcnt 0x0
	s_and_not1_saveexec_b32 s8, s8
	s_cbranch_execz .LBB14_23
; %bb.18:                               ;   in Loop: Header=BB14_11 Depth=3
	s_xor_b32 s9, s58, -1
	s_delay_alu instid0(SALU_CYCLE_1) | instskip(NEXT) | instid1(SALU_CYCLE_1)
	s_and_saveexec_b32 s58, s9
	s_xor_b32 s9, exec_lo, s58
; %bb.19:                               ;   in Loop: Header=BB14_11 Depth=3
	ds_store_b32 v48, v3 offset:64
; %bb.20:                               ;   in Loop: Header=BB14_11 Depth=3
	s_and_not1_saveexec_b32 s9, s9
; %bb.21:                               ;   in Loop: Header=BB14_11 Depth=3
	ds_store_b32 v48, v51 offset:64
; %bb.22:                               ;   in Loop: Header=BB14_11 Depth=3
	s_or_b32 exec_lo, exec_lo, s9
.LBB14_23:                              ;   in Loop: Header=BB14_11 Depth=3
	s_delay_alu instid0(SALU_CYCLE_1)
	s_or_b32 exec_lo, exec_lo, s8
	v_cmp_eq_u64_e64 s8, s[48:49], v[32:33]
	v_cmp_gt_i64_e64 s9, v[42:43], v[28:29]
	v_add_nc_u64_e32 v[42:43], v[26:27], v[4:5]
                                        ; implicit-def: $vgpr21
	s_and_b32 s8, s52, s8
	s_or_b32 s9, s4, s9
	s_delay_alu instid0(SALU_CYCLE_1) | instskip(NEXT) | instid1(SALU_CYCLE_1)
	s_or_b32 s9, s9, s8
	s_nor_b32 s6, s6, s9
	s_delay_alu instid0(SALU_CYCLE_1) | instskip(NEXT) | instid1(SALU_CYCLE_1)
	s_and_saveexec_b32 s9, s6
	s_xor_b32 s6, exec_lo, s9
	s_cbranch_execz .LBB14_25
; %bb.24:                               ;   in Loop: Header=BB14_11 Depth=3
	global_load_b32 v21, v[42:43], off
.LBB14_25:                              ;   in Loop: Header=BB14_11 Depth=3
	s_wait_xcnt 0x0
	s_and_not1_saveexec_b32 s6, s6
	s_cbranch_execz .LBB14_27
; %bb.26:                               ;   in Loop: Header=BB14_11 Depth=3
	s_wait_loadcnt 0x0
	v_cndmask_b32_e64 v21, 0, 1.0, s8
.LBB14_27:                              ;   in Loop: Header=BB14_11 Depth=3
	s_or_b32 exec_lo, exec_lo, s6
	s_or_b32 s5, s4, s5
	s_wait_loadcnt 0x0
	ds_store_b32 v48, v21 offset:2048
	s_or_b32 s5, s5, s57
	s_delay_alu instid0(SALU_CYCLE_1) | instskip(NEXT) | instid1(SALU_CYCLE_1)
	s_nor_b32 s5, s7, s5
	s_and_saveexec_b32 s6, s5
	s_delay_alu instid0(SALU_CYCLE_1)
	s_xor_b32 s5, exec_lo, s6
	s_cbranch_execz .LBB14_29
; %bb.28:                               ;   in Loop: Header=BB14_11 Depth=3
	global_load_b32 v21, v[42:43], off offset:64
	s_wait_loadcnt 0x0
	ds_store_b32 v48, v21 offset:2112
.LBB14_29:                              ;   in Loop: Header=BB14_11 Depth=3
	s_wait_xcnt 0x0
	s_and_not1_saveexec_b32 s5, s5
	s_cbranch_execz .LBB14_35
; %bb.30:                               ;   in Loop: Header=BB14_11 Depth=3
	s_xor_b32 s6, s57, -1
	s_delay_alu instid0(SALU_CYCLE_1) | instskip(NEXT) | instid1(SALU_CYCLE_1)
	s_and_saveexec_b32 s7, s6
	s_xor_b32 s6, exec_lo, s7
; %bb.31:                               ;   in Loop: Header=BB14_11 Depth=3
	ds_store_b32 v48, v3 offset:2112
; %bb.32:                               ;   in Loop: Header=BB14_11 Depth=3
	s_and_not1_saveexec_b32 s6, s6
; %bb.33:                               ;   in Loop: Header=BB14_11 Depth=3
	ds_store_b32 v48, v51 offset:2112
; %bb.34:                               ;   in Loop: Header=BB14_11 Depth=3
	s_or_b32 exec_lo, exec_lo, s6
.LBB14_35:                              ;   in Loop: Header=BB14_11 Depth=3
	s_delay_alu instid0(SALU_CYCLE_1) | instskip(SKIP_3) | instid1(VALU_DEP_3)
	s_or_b32 exec_lo, exec_lo, s5
	v_add_nc_u64_e32 v[42:43], s[48:49], v[0:1]
	v_add_nc_u64_e32 v[44:45], v[36:37], v[14:15]
	v_mov_b32_e32 v21, 0
	v_cmp_le_i64_e64 s5, s[40:41], v[42:43]
	s_nor_b32 s7, s5, s0
	s_delay_alu instid0(SALU_CYCLE_1)
	s_and_saveexec_b32 s6, s7
	s_cbranch_execz .LBB14_37
; %bb.36:                               ;   in Loop: Header=BB14_11 Depth=3
	global_load_b32 v21, v[44:45], off offset:-64
.LBB14_37:                              ;   in Loop: Header=BB14_11 Depth=3
	s_wait_xcnt 0x0
	s_or_b32 exec_lo, exec_lo, s6
	s_nor_b32 s5, s5, s1
	s_wait_loadcnt 0x0
	ds_store_b32 v49, v21
	s_and_saveexec_b32 s6, s5
	s_delay_alu instid0(SALU_CYCLE_1)
	s_xor_b32 s5, exec_lo, s6
	s_cbranch_execz .LBB14_39
; %bb.38:                               ;   in Loop: Header=BB14_11 Depth=3
	global_load_b32 v21, v[44:45], off
	s_wait_loadcnt 0x0
	ds_store_b32 v49, v21 offset:64
.LBB14_39:                              ;   in Loop: Header=BB14_11 Depth=3
	s_wait_xcnt 0x0
	s_and_not1_saveexec_b32 s5, s5
; %bb.40:                               ;   in Loop: Header=BB14_11 Depth=3
	ds_store_b32 v49, v3 offset:64
; %bb.41:                               ;   in Loop: Header=BB14_11 Depth=3
	s_or_b32 exec_lo, exec_lo, s5
	v_cmp_le_i64_e64 s5, s[46:47], v[42:43]
	v_add_nc_u64_e32 v[42:43], v[36:37], v[8:9]
	v_mov_b32_e32 v21, 0
	s_nor_b32 s7, s5, s0
	s_delay_alu instid0(SALU_CYCLE_1)
	s_and_saveexec_b32 s6, s7
	s_cbranch_execz .LBB14_43
; %bb.42:                               ;   in Loop: Header=BB14_11 Depth=3
	global_load_b32 v21, v[42:43], off offset:-64
.LBB14_43:                              ;   in Loop: Header=BB14_11 Depth=3
	s_wait_xcnt 0x0
	s_or_b32 exec_lo, exec_lo, s6
	s_nor_b32 s5, s5, s1
	s_wait_loadcnt 0x0
	ds_store_b32 v49, v21 offset:2048
	s_and_saveexec_b32 s6, s5
	s_delay_alu instid0(SALU_CYCLE_1)
	s_xor_b32 s5, exec_lo, s6
	s_cbranch_execz .LBB14_45
; %bb.44:                               ;   in Loop: Header=BB14_11 Depth=3
	global_load_b32 v21, v[42:43], off
	s_wait_loadcnt 0x0
	ds_store_b32 v49, v21 offset:2112
.LBB14_45:                              ;   in Loop: Header=BB14_11 Depth=3
	s_wait_xcnt 0x0
	s_and_not1_saveexec_b32 s5, s5
	s_cbranch_execz .LBB14_10
; %bb.46:                               ;   in Loop: Header=BB14_11 Depth=3
	ds_store_b32 v49, v3 offset:2112
	s_branch .LBB14_10
.LBB14_47:                              ;   in Loop: Header=BB14_8 Depth=2
	s_delay_alu instid0(VALU_DEP_1) | instskip(SKIP_2) | instid1(VALU_DEP_2)
	v_mul_u64_e32 v[24:25], s[28:29], v[22:23]
	v_cmp_gt_i32_e32 vcc_lo, s38, v22
	s_and_b32 s5, s2, vcc_lo
	v_lshl_add_u64 v[24:25], v[24:25], 2, s[36:37]
	s_and_saveexec_b32 s4, s5
	s_cbranch_execz .LBB14_49
; %bb.48:                               ;   in Loop: Header=BB14_8 Depth=2
	s_delay_alu instid0(VALU_DEP_1)
	v_lshl_add_u64 v[26:27], v[6:7], 2, v[24:25]
	global_load_b32 v21, v[26:27], off
	s_wait_loadcnt 0x0
	v_fmac_f32_e32 v21, v54, v40
	global_store_b32 v[26:27], v21, off
.LBB14_49:                              ;   in Loop: Header=BB14_8 Depth=2
	s_wait_xcnt 0x0
	s_or_b32 exec_lo, exec_lo, s4
	s_and_b32 s5, s3, vcc_lo
	s_delay_alu instid0(SALU_CYCLE_1)
	s_and_saveexec_b32 s4, s5
	s_cbranch_execz .LBB14_51
; %bb.50:                               ;   in Loop: Header=BB14_8 Depth=2
	v_lshl_add_u64 v[24:25], v[10:11], 2, v[24:25]
	global_load_b32 v21, v[24:25], off
	s_wait_loadcnt 0x0
	v_fmac_f32_e32 v21, v54, v41
	global_store_b32 v[24:25], v21, off
.LBB14_51:                              ;   in Loop: Header=BB14_8 Depth=2
	s_wait_xcnt 0x0
	s_or_b32 exec_lo, exec_lo, s4
	v_add_nc_u32_e32 v22, 16, v22
	s_delay_alu instid0(VALU_DEP_1) | instskip(SKIP_1) | instid1(VALU_DEP_2)
	v_ashrrev_i32_e32 v23, 31, v22
	v_cmp_gt_i32_e32 vcc_lo, s38, v22
	v_mul_u64_e32 v[24:25], s[28:29], v[22:23]
	s_and_b32 s5, s2, vcc_lo
	s_delay_alu instid0(VALU_DEP_1)
	v_lshl_add_u64 v[22:23], v[24:25], 2, s[36:37]
	s_and_saveexec_b32 s4, s5
	s_cbranch_execz .LBB14_53
; %bb.52:                               ;   in Loop: Header=BB14_8 Depth=2
	s_delay_alu instid0(VALU_DEP_1)
	v_lshl_add_u64 v[24:25], v[6:7], 2, v[22:23]
	global_load_b32 v21, v[24:25], off
	s_wait_loadcnt 0x0
	v_fmac_f32_e32 v21, v54, v38
	global_store_b32 v[24:25], v21, off
.LBB14_53:                              ;   in Loop: Header=BB14_8 Depth=2
	s_wait_xcnt 0x0
	s_or_b32 exec_lo, exec_lo, s4
	s_and_b32 s5, s3, vcc_lo
	s_delay_alu instid0(SALU_CYCLE_1)
	s_and_saveexec_b32 s4, s5
	s_cbranch_execz .LBB14_7
; %bb.54:                               ;   in Loop: Header=BB14_8 Depth=2
	v_lshl_add_u64 v[22:23], v[10:11], 2, v[22:23]
	global_load_b32 v21, v[22:23], off
	s_wait_loadcnt 0x0
	v_fmac_f32_e32 v21, v54, v39
	global_store_b32 v[22:23], v21, off
	s_branch .LBB14_7
.LBB14_55:
	s_sendmsg sendmsg(MSG_DEALLOC_VGPRS)
	s_endpgm
	.section	.rodata,"a",@progbits
	.p2align	6, 0x0
	.amdhsa_kernel _ZL30rocblas_trmm_outofplace_kernelIfLi32ELi2ELb0ELb1ELb0ELb0EPKfS0_fEv17rocblas_diagonal_iiT6_lPT7_lllS5_lllPT8_llli
		.amdhsa_group_segment_fixed_size 8192
		.amdhsa_private_segment_fixed_size 0
		.amdhsa_kernarg_size 392
		.amdhsa_user_sgpr_count 2
		.amdhsa_user_sgpr_dispatch_ptr 0
		.amdhsa_user_sgpr_queue_ptr 0
		.amdhsa_user_sgpr_kernarg_segment_ptr 1
		.amdhsa_user_sgpr_dispatch_id 0
		.amdhsa_user_sgpr_kernarg_preload_length 0
		.amdhsa_user_sgpr_kernarg_preload_offset 0
		.amdhsa_user_sgpr_private_segment_size 0
		.amdhsa_wavefront_size32 1
		.amdhsa_uses_dynamic_stack 0
		.amdhsa_enable_private_segment 0
		.amdhsa_system_sgpr_workgroup_id_x 1
		.amdhsa_system_sgpr_workgroup_id_y 1
		.amdhsa_system_sgpr_workgroup_id_z 1
		.amdhsa_system_sgpr_workgroup_info 0
		.amdhsa_system_vgpr_workitem_id 1
		.amdhsa_next_free_vgpr 78
		.amdhsa_next_free_sgpr 59
		.amdhsa_named_barrier_count 0
		.amdhsa_reserve_vcc 1
		.amdhsa_float_round_mode_32 0
		.amdhsa_float_round_mode_16_64 0
		.amdhsa_float_denorm_mode_32 3
		.amdhsa_float_denorm_mode_16_64 3
		.amdhsa_fp16_overflow 0
		.amdhsa_memory_ordered 1
		.amdhsa_forward_progress 1
		.amdhsa_inst_pref_size 25
		.amdhsa_round_robin_scheduling 0
		.amdhsa_exception_fp_ieee_invalid_op 0
		.amdhsa_exception_fp_denorm_src 0
		.amdhsa_exception_fp_ieee_div_zero 0
		.amdhsa_exception_fp_ieee_overflow 0
		.amdhsa_exception_fp_ieee_underflow 0
		.amdhsa_exception_fp_ieee_inexact 0
		.amdhsa_exception_int_div_zero 0
	.end_amdhsa_kernel
	.section	.text._ZL30rocblas_trmm_outofplace_kernelIfLi32ELi2ELb0ELb1ELb0ELb0EPKfS0_fEv17rocblas_diagonal_iiT6_lPT7_lllS5_lllPT8_llli,"axG",@progbits,_ZL30rocblas_trmm_outofplace_kernelIfLi32ELi2ELb0ELb1ELb0ELb0EPKfS0_fEv17rocblas_diagonal_iiT6_lPT7_lllS5_lllPT8_llli,comdat
.Lfunc_end14:
	.size	_ZL30rocblas_trmm_outofplace_kernelIfLi32ELi2ELb0ELb1ELb0ELb0EPKfS0_fEv17rocblas_diagonal_iiT6_lPT7_lllS5_lllPT8_llli, .Lfunc_end14-_ZL30rocblas_trmm_outofplace_kernelIfLi32ELi2ELb0ELb1ELb0ELb0EPKfS0_fEv17rocblas_diagonal_iiT6_lPT7_lllS5_lllPT8_llli
                                        ; -- End function
	.set _ZL30rocblas_trmm_outofplace_kernelIfLi32ELi2ELb0ELb1ELb0ELb0EPKfS0_fEv17rocblas_diagonal_iiT6_lPT7_lllS5_lllPT8_llli.num_vgpr, 78
	.set _ZL30rocblas_trmm_outofplace_kernelIfLi32ELi2ELb0ELb1ELb0ELb0EPKfS0_fEv17rocblas_diagonal_iiT6_lPT7_lllS5_lllPT8_llli.num_agpr, 0
	.set _ZL30rocblas_trmm_outofplace_kernelIfLi32ELi2ELb0ELb1ELb0ELb0EPKfS0_fEv17rocblas_diagonal_iiT6_lPT7_lllS5_lllPT8_llli.numbered_sgpr, 59
	.set _ZL30rocblas_trmm_outofplace_kernelIfLi32ELi2ELb0ELb1ELb0ELb0EPKfS0_fEv17rocblas_diagonal_iiT6_lPT7_lllS5_lllPT8_llli.num_named_barrier, 0
	.set _ZL30rocblas_trmm_outofplace_kernelIfLi32ELi2ELb0ELb1ELb0ELb0EPKfS0_fEv17rocblas_diagonal_iiT6_lPT7_lllS5_lllPT8_llli.private_seg_size, 0
	.set _ZL30rocblas_trmm_outofplace_kernelIfLi32ELi2ELb0ELb1ELb0ELb0EPKfS0_fEv17rocblas_diagonal_iiT6_lPT7_lllS5_lllPT8_llli.uses_vcc, 1
	.set _ZL30rocblas_trmm_outofplace_kernelIfLi32ELi2ELb0ELb1ELb0ELb0EPKfS0_fEv17rocblas_diagonal_iiT6_lPT7_lllS5_lllPT8_llli.uses_flat_scratch, 0
	.set _ZL30rocblas_trmm_outofplace_kernelIfLi32ELi2ELb0ELb1ELb0ELb0EPKfS0_fEv17rocblas_diagonal_iiT6_lPT7_lllS5_lllPT8_llli.has_dyn_sized_stack, 0
	.set _ZL30rocblas_trmm_outofplace_kernelIfLi32ELi2ELb0ELb1ELb0ELb0EPKfS0_fEv17rocblas_diagonal_iiT6_lPT7_lllS5_lllPT8_llli.has_recursion, 0
	.set _ZL30rocblas_trmm_outofplace_kernelIfLi32ELi2ELb0ELb1ELb0ELb0EPKfS0_fEv17rocblas_diagonal_iiT6_lPT7_lllS5_lllPT8_llli.has_indirect_call, 0
	.section	.AMDGPU.csdata,"",@progbits
; Kernel info:
; codeLenInByte = 3136
; TotalNumSgprs: 61
; NumVgprs: 78
; ScratchSize: 0
; MemoryBound: 0
; FloatMode: 240
; IeeeMode: 1
; LDSByteSize: 8192 bytes/workgroup (compile time only)
; SGPRBlocks: 0
; VGPRBlocks: 4
; NumSGPRsForWavesPerEU: 61
; NumVGPRsForWavesPerEU: 78
; NamedBarCnt: 0
; Occupancy: 12
; WaveLimiterHint : 0
; COMPUTE_PGM_RSRC2:SCRATCH_EN: 0
; COMPUTE_PGM_RSRC2:USER_SGPR: 2
; COMPUTE_PGM_RSRC2:TRAP_HANDLER: 0
; COMPUTE_PGM_RSRC2:TGID_X_EN: 1
; COMPUTE_PGM_RSRC2:TGID_Y_EN: 1
; COMPUTE_PGM_RSRC2:TGID_Z_EN: 1
; COMPUTE_PGM_RSRC2:TIDIG_COMP_CNT: 1
	.section	.text._ZL30rocblas_trmm_outofplace_kernelIfLi32ELi2ELb0ELb1ELb0ELb0EfKffEv17rocblas_diagonal_iiT6_lPT7_lllS4_lllPT8_llli,"axG",@progbits,_ZL30rocblas_trmm_outofplace_kernelIfLi32ELi2ELb0ELb1ELb0ELb0EfKffEv17rocblas_diagonal_iiT6_lPT7_lllS4_lllPT8_llli,comdat
	.globl	_ZL30rocblas_trmm_outofplace_kernelIfLi32ELi2ELb0ELb1ELb0ELb0EfKffEv17rocblas_diagonal_iiT6_lPT7_lllS4_lllPT8_llli ; -- Begin function _ZL30rocblas_trmm_outofplace_kernelIfLi32ELi2ELb0ELb1ELb0ELb0EfKffEv17rocblas_diagonal_iiT6_lPT7_lllS4_lllPT8_llli
	.p2align	8
	.type	_ZL30rocblas_trmm_outofplace_kernelIfLi32ELi2ELb0ELb1ELb0ELb0EfKffEv17rocblas_diagonal_iiT6_lPT7_lllS4_lllPT8_llli,@function
_ZL30rocblas_trmm_outofplace_kernelIfLi32ELi2ELb0ELb1ELb0ELb0EfKffEv17rocblas_diagonal_iiT6_lPT7_lllS4_lllPT8_llli: ; @_ZL30rocblas_trmm_outofplace_kernelIfLi32ELi2ELb0ELb1ELb0ELb0EfKffEv17rocblas_diagonal_iiT6_lPT7_lllS4_lllPT8_llli
; %bb.0:
	s_load_b32 s33, s[0:1], 0x78
	s_bfe_u32 s2, ttmp6, 0x40014
	s_lshr_b32 s3, ttmp7, 16
	s_add_co_i32 s2, s2, 1
	s_bfe_u32 s5, ttmp6, 0x40008
	s_mul_i32 s4, s3, s2
	s_getreg_b32 s2, hwreg(HW_REG_IB_STS2, 6, 4)
	s_add_co_i32 s5, s5, s4
	s_cmp_eq_u32 s2, 0
	s_cselect_b32 s34, s3, s5
	s_wait_kmcnt 0x0
	s_cmp_ge_u32 s34, s33
	s_cbranch_scc1 .LBB15_54
; %bb.1:
	s_load_b128 s[36:39], s[0:1], 0x0
	s_wait_kmcnt 0x0
	s_cmp_eq_f32 s39, 0
	s_cbranch_scc1 .LBB15_54
; %bb.2:
	s_add_co_i32 s3, s38, -1
	s_bfe_u32 s6, ttmp6, 0x4000c
	s_ashr_i32 s4, s3, 31
	s_load_b512 s[8:23], s[0:1], 0x18
	s_lshr_b32 s4, s4, 27
	s_add_co_i32 s6, s6, 1
	s_add_co_i32 s3, s3, s4
	s_and_b32 s4, ttmp7, 0xffff
	s_ashr_i32 s46, s3, 5
	s_bfe_u32 s3, ttmp6, 0x40010
	s_and_b32 s5, ttmp6, 15
	s_add_co_i32 s3, s3, 1
	s_mul_i32 s6, ttmp9, s6
	s_mul_i32 s3, s4, s3
	s_bfe_u32 s7, ttmp6, 0x40004
	s_add_co_i32 s5, s5, s6
	s_add_co_i32 s7, s7, s3
	v_and_b32_e32 v2, 0x3ff, v0
	s_cmp_eq_u32 s2, 0
	v_bfe_u32 v0, v0, 10, 10
	s_cselect_b32 s2, ttmp9, s5
	s_load_b256 s[24:31], s[0:1], 0x58
	v_lshl_add_u32 v4, s2, 5, v2
	s_delay_alu instid0(VALU_DEP_2) | instskip(SKIP_2) | instid1(VALU_DEP_2)
	v_dual_mov_b32 v3, 0 :: v_dual_lshlrev_b32 v8, 2, v0
	v_lshlrev_b32_e32 v6, 2, v2
	s_cselect_b32 s47, s4, s7
	v_dual_ashrrev_i32 v5, 31, v4 :: v_dual_mov_b32 v1, v3
	v_mov_b32_e32 v9, v3
	s_cmp_le_i32 s47, s46
	s_mov_b32 s2, s37
	s_cselect_b32 s48, -1, 0
	s_wait_kmcnt 0x0
	v_mul_u64_e32 v[14:15], s[20:21], v[0:1]
	v_add_nc_u64_e32 v[8:9], 64, v[8:9]
	s_cmp_eq_u32 s36, 0x84
	v_or_b32_e32 v47, 0x1000, v6
	s_cselect_b32 s49, -1, 0
	s_ashr_i32 s3, s37, 31
	s_lshl_b64 s[4:5], s[18:19], 2
	v_sub_nc_u64_e32 v[10:11], s[2:3], v[4:5]
	v_mul_u64_e32 v[8:9], s[20:21], v[8:9]
	s_add_nc_u64 s[4:5], s[16:17], s[4:5]
	s_lshl_b64 s[2:3], s[26:27], 2
	v_lshl_add_u64 v[16:17], v[4:5], 2, s[4:5]
	s_add_nc_u64 s[26:27], s[0:1], 0x80
	v_sub_nc_u64_e32 v[12:13], 0, v[2:3]
	v_cmp_gt_i64_e64 s0, 1, v[10:11]
	v_cmp_gt_i64_e64 s1, 17, v[10:11]
	v_add_nc_u32_e32 v10, 16, v4
	v_lshlrev_b32_e32 v46, 7, v0
	v_add_nc_u64_e32 v[16:17], 64, v[16:17]
	s_add_nc_u64 s[24:25], s[24:25], s[2:3]
	v_cmp_gt_i32_e64 s2, s37, v4
	v_cmp_gt_i32_e64 s3, s37, v10
	v_ashrrev_i32_e32 v11, 31, v10
	v_dual_mov_b32 v7, v3 :: v_dual_add_nc_u32 v48, v46, v6
	v_dual_add_nc_u32 v49, v47, v46 :: v_dual_mov_b32 v51, 1.0
	v_lshl_add_u32 v50, s47, 5, v0
	v_add_nc_u32_e32 v52, 0x400, v47
	v_add_nc_u32_e32 v53, 0x800, v47
	;; [unrolled: 1-line block ×3, first 2 shown]
	s_ashr_i32 s41, s38, 31
	v_lshlrev_b64_e32 v[14:15], 2, v[14:15]
	s_mov_b32 s40, s38
	s_lshl_b64 s[4:5], s[10:11], 2
	s_mov_b32 s35, 0
	s_lshl_b64 s[20:21], s[20:21], 7
	s_add_nc_u64 s[42:43], s[40:41], -16
	s_lshl_b64 s[16:17], s[22:23], 2
	s_add_nc_u64 s[10:11], s[8:9], s[4:5]
	s_lshl_b64 s[14:15], s[14:15], 2
	s_lshl_b64 s[18:19], s[12:13], 2
	s_branch .LBB15_4
.LBB15_3:                               ;   in Loop: Header=BB15_4 Depth=1
	s_add_co_i32 s34, s34, 0x10000
	s_delay_alu instid0(SALU_CYCLE_1)
	s_cmp_ge_u32 s34, s33
	s_cbranch_scc1 .LBB15_54
.LBB15_4:                               ; =>This Loop Header: Depth=1
                                        ;     Child Loop BB15_7 Depth 2
                                        ;       Child Loop BB15_10 Depth 3
	s_and_not1_b32 vcc_lo, exec_lo, s48
	s_cbranch_vccnz .LBB15_3
; %bb.5:                                ;   in Loop: Header=BB15_4 Depth=1
	s_load_b32 s50, s[26:27], 0x4
	v_mad_nc_u64_u32 v[18:19], s16, s34, v[16:17]
	s_mul_u64 s[6:7], s[30:31], s[34:35]
	v_mov_b32_e32 v20, v50
	s_mul_u64 s[4:5], s[14:15], s[34:35]
	s_lshl_b64 s[6:7], s[6:7], 2
	s_add_nc_u64 s[22:23], s[10:11], s[4:5]
	s_add_nc_u64 s[36:37], s[24:25], s[6:7]
	s_mov_b32 s52, s47
	s_delay_alu instid0(VALU_DEP_2)
	v_mad_u32 v19, s17, s34, v19
	s_wait_kmcnt 0x0
	s_lshl_b32 s51, s50, 5
	s_branch .LBB15_7
.LBB15_6:                               ;   in Loop: Header=BB15_7 Depth=2
	s_wait_xcnt 0x0
	s_or_b32 exec_lo, exec_lo, s4
	v_add_nc_u32_e32 v20, s51, v20
	s_add_co_i32 s52, s50, s52
	s_delay_alu instid0(SALU_CYCLE_1)
	s_cmp_gt_i32 s52, s46
	s_cbranch_scc1 .LBB15_3
.LBB15_7:                               ;   Parent Loop BB15_4 Depth=1
                                        ; =>  This Loop Header: Depth=2
                                        ;       Child Loop BB15_10 Depth 3
	s_lshl_b32 s53, s52, 5
	s_delay_alu instid0(SALU_CYCLE_1) | instskip(SKIP_1) | instid1(VALU_DEP_1)
	v_dual_mov_b32 v41, 0 :: v_dual_add_nc_u32 v22, s53, v0
	s_cmp_lt_i32 s52, 0
	v_dual_mov_b32 v40, v41 :: v_dual_mov_b32 v39, v41
	s_delay_alu instid0(VALU_DEP_2)
	v_dual_mov_b32 v38, v41 :: v_dual_ashrrev_i32 v23, 31, v22
	s_cbranch_scc1 .LBB15_46
; %bb.8:                                ;   in Loop: Header=BB15_7 Depth=2
	v_dual_mov_b32 v38, 0 :: v_dual_ashrrev_i32 v21, 31, v20
	v_mad_nc_u64_u32 v[24:25], s18, v20, s[22:23]
	s_delay_alu instid0(VALU_DEP_3) | instskip(SKIP_1) | instid1(VALU_DEP_4)
	v_add_nc_u64_e32 v[28:29], 16, v[22:23]
	v_mov_b64_e32 v[36:37], v[18:19]
	v_lshl_add_u64 v[32:33], v[20:21], 2, 64
	v_add_nc_u64_e32 v[30:31], v[12:13], v[20:21]
	v_dual_mov_b32 v39, v38 :: v_dual_mov_b32 v40, v38
	v_mov_b32_e32 v41, v38
	s_delay_alu instid0(VALU_DEP_4)
	v_mad_nc_u64_u32 v[26:27], s12, v32, s[22:23]
	v_cmp_le_i64_e64 s4, s[40:41], v[28:29]
	s_mov_b64 s[44:45], 0
	v_mad_u32 v25, s19, v20, v25
	v_add_nc_u64_e32 v[34:35], -16, v[30:31]
	v_cmp_le_i32_e32 vcc_lo, s38, v22
	v_mad_u32 v27, s13, v32, v27
	s_delay_alu instid0(VALU_DEP_4) | instskip(NEXT) | instid1(VALU_DEP_2)
	v_mad_u32 v25, s18, v21, v25
	v_mad_u32 v27, s12, v33, v27
	v_add_nc_u64_e32 v[32:33], 16, v[30:31]
	s_branch .LBB15_10
.LBB15_9:                               ;   in Loop: Header=BB15_10 Depth=3
	s_or_b32 exec_lo, exec_lo, s5
	s_wait_dscnt 0x0
	s_barrier_signal -1
	s_barrier_wait -1
	ds_load_b128 v[42:45], v46
	ds_load_2addr_b32 v[68:69], v47 offset1:16
	ds_load_b128 v[56:59], v46 offset:2048
	ds_load_2addr_b32 v[70:71], v47 offset0:32 offset1:48
	ds_load_2addr_b32 v[72:73], v47 offset0:64 offset1:80
	;; [unrolled: 1-line block ×3, first 2 shown]
	ds_load_b128 v[60:63], v46 offset:16
	ds_load_2addr_b32 v[76:77], v47 offset0:128 offset1:144
	ds_load_b128 v[64:67], v46 offset:2064
	v_add_nc_u64_e32 v[36:37], s[20:21], v[36:37]
	v_add_nc_u64_e32 v[26:27], 0x80, v[26:27]
	;; [unrolled: 1-line block ×3, first 2 shown]
	s_add_nc_u64 s[44:45], s[44:45], 32
	s_delay_alu instid0(SALU_CYCLE_1) | instskip(NEXT) | instid1(SALU_CYCLE_1)
	s_sub_co_i32 s5, s44, 32
	s_cmp_ge_i32 s5, s53
	s_wait_dscnt 0x7
	v_pk_fma_f32 v[40:41], v[68:69], v[42:43], v[40:41] op_sel_hi:[1,0,1]
	s_wait_dscnt 0x6
	v_pk_fma_f32 v[38:39], v[68:69], v[56:57], v[38:39] op_sel_hi:[1,0,1]
	ds_load_2addr_b32 v[68:69], v47 offset0:160 offset1:176
	s_wait_dscnt 0x6
	v_pk_fma_f32 v[40:41], v[70:71], v[42:43], v[40:41] op_sel:[0,1,0]
	v_pk_fma_f32 v[38:39], v[70:71], v[56:57], v[38:39] op_sel:[0,1,0]
	ds_load_2addr_b32 v[56:57], v47 offset0:192 offset1:208
	v_dual_mov_b32 v42, v45 :: v_dual_mov_b32 v70, v59
	s_wait_dscnt 0x6
	v_pk_fma_f32 v[40:41], v[72:73], v[44:45], v[40:41] op_sel_hi:[1,0,1]
	v_pk_fma_f32 v[38:39], v[72:73], v[58:59], v[38:39] op_sel_hi:[1,0,1]
	ds_load_2addr_b32 v[58:59], v47 offset0:224 offset1:240
	s_wait_dscnt 0x6
	v_pk_fma_f32 v[72:73], v[74:75], v[42:43], v[40:41] op_sel_hi:[1,0,1]
	v_pk_fma_f32 v[70:71], v[74:75], v[70:71], v[38:39] op_sel_hi:[1,0,1]
	ds_load_b128 v[38:41], v46 offset:32
	ds_load_2addr_b32 v[74:75], v52 offset1:16
	ds_load_b128 v[42:45], v46 offset:2080
	s_wait_dscnt 0x7
	v_pk_fma_f32 v[72:73], v[76:77], v[60:61], v[72:73] op_sel_hi:[1,0,1]
	s_wait_dscnt 0x6
	v_pk_fma_f32 v[70:71], v[76:77], v[64:65], v[70:71] op_sel_hi:[1,0,1]
	ds_load_2addr_b32 v[76:77], v52 offset0:32 offset1:48
	s_wait_dscnt 0x6
	v_pk_fma_f32 v[60:61], v[68:69], v[60:61], v[72:73] op_sel:[0,1,0]
	v_pk_fma_f32 v[64:65], v[68:69], v[64:65], v[70:71] op_sel:[0,1,0]
	ds_load_2addr_b32 v[68:69], v52 offset0:64 offset1:80
	v_dual_mov_b32 v70, v63 :: v_dual_mov_b32 v72, v67
	s_wait_dscnt 0x6
	v_pk_fma_f32 v[60:61], v[56:57], v[62:63], v[60:61] op_sel_hi:[1,0,1]
	v_pk_fma_f32 v[56:57], v[56:57], v[66:67], v[64:65] op_sel_hi:[1,0,1]
	ds_load_2addr_b32 v[64:65], v52 offset0:96 offset1:112
	s_wait_dscnt 0x6
	v_pk_fma_f32 v[66:67], v[58:59], v[70:71], v[60:61] op_sel_hi:[1,0,1]
	v_pk_fma_f32 v[70:71], v[58:59], v[72:73], v[56:57] op_sel_hi:[1,0,1]
	ds_load_b128 v[56:59], v46 offset:48
	ds_load_2addr_b32 v[72:73], v52 offset0:128 offset1:144
	ds_load_b128 v[60:63], v46 offset:2096
	s_wait_dscnt 0x7
	v_pk_fma_f32 v[66:67], v[74:75], v[38:39], v[66:67] op_sel_hi:[1,0,1]
	s_wait_dscnt 0x6
	v_pk_fma_f32 v[70:71], v[74:75], v[42:43], v[70:71] op_sel_hi:[1,0,1]
	ds_load_2addr_b32 v[74:75], v52 offset0:160 offset1:176
	s_wait_dscnt 0x6
	v_pk_fma_f32 v[38:39], v[76:77], v[38:39], v[66:67] op_sel:[0,1,0]
	v_pk_fma_f32 v[42:43], v[76:77], v[42:43], v[70:71] op_sel:[0,1,0]
	ds_load_2addr_b32 v[66:67], v52 offset0:192 offset1:208
	v_dual_mov_b32 v70, v41 :: v_dual_mov_b32 v76, v45
	s_wait_dscnt 0x6
	v_pk_fma_f32 v[38:39], v[68:69], v[40:41], v[38:39] op_sel_hi:[1,0,1]
	v_pk_fma_f32 v[40:41], v[68:69], v[44:45], v[42:43] op_sel_hi:[1,0,1]
	ds_load_2addr_b32 v[68:69], v52 offset0:224 offset1:240
	s_wait_dscnt 0x6
	v_pk_fma_f32 v[70:71], v[64:65], v[70:71], v[38:39] op_sel_hi:[1,0,1]
	v_pk_fma_f32 v[64:65], v[64:65], v[76:77], v[40:41] op_sel_hi:[1,0,1]
	ds_load_b128 v[38:41], v46 offset:64
	ds_load_2addr_b32 v[76:77], v53 offset1:16
	ds_load_b128 v[42:45], v46 offset:2112
	s_wait_dscnt 0x7
	v_pk_fma_f32 v[70:71], v[72:73], v[56:57], v[70:71] op_sel_hi:[1,0,1]
	s_wait_dscnt 0x6
	v_pk_fma_f32 v[64:65], v[72:73], v[60:61], v[64:65] op_sel_hi:[1,0,1]
	ds_load_2addr_b32 v[72:73], v53 offset0:32 offset1:48
	s_wait_dscnt 0x6
	v_pk_fma_f32 v[56:57], v[74:75], v[56:57], v[70:71] op_sel:[0,1,0]
	v_pk_fma_f32 v[60:61], v[74:75], v[60:61], v[64:65] op_sel:[0,1,0]
	ds_load_2addr_b32 v[64:65], v53 offset0:64 offset1:80
	v_dual_mov_b32 v70, v59 :: v_dual_mov_b32 v74, v63
	s_wait_dscnt 0x6
	v_pk_fma_f32 v[56:57], v[66:67], v[58:59], v[56:57] op_sel_hi:[1,0,1]
	v_pk_fma_f32 v[58:59], v[66:67], v[62:63], v[60:61] op_sel_hi:[1,0,1]
	ds_load_2addr_b32 v[66:67], v53 offset0:96 offset1:112
	s_wait_dscnt 0x6
	v_pk_fma_f32 v[70:71], v[68:69], v[70:71], v[56:57] op_sel_hi:[1,0,1]
	v_pk_fma_f32 v[68:69], v[68:69], v[74:75], v[58:59] op_sel_hi:[1,0,1]
	ds_load_b128 v[56:59], v46 offset:80
	ds_load_2addr_b32 v[74:75], v53 offset0:128 offset1:144
	ds_load_b128 v[60:63], v46 offset:2128
	;; [unrolled: 40-line block ×3, first 2 shown]
	s_wait_dscnt 0x7
	v_pk_fma_f32 v[70:71], v[72:73], v[38:39], v[70:71] op_sel_hi:[1,0,1]
	s_wait_dscnt 0x6
	v_pk_fma_f32 v[64:65], v[72:73], v[42:43], v[64:65] op_sel_hi:[1,0,1]
	ds_load_2addr_b32 v[72:73], v54 offset0:160 offset1:176
	s_wait_dscnt 0x6
	v_pk_fma_f32 v[38:39], v[74:75], v[38:39], v[70:71] op_sel:[0,1,0]
	v_pk_fma_f32 v[42:43], v[74:75], v[42:43], v[64:65] op_sel:[0,1,0]
	ds_load_2addr_b32 v[64:65], v54 offset0:192 offset1:208
	v_dual_mov_b32 v70, v41 :: v_dual_mov_b32 v74, v45
	s_wait_dscnt 0x6
	v_pk_fma_f32 v[38:39], v[66:67], v[40:41], v[38:39] op_sel_hi:[1,0,1]
	v_pk_fma_f32 v[40:41], v[66:67], v[44:45], v[42:43] op_sel_hi:[1,0,1]
	ds_load_2addr_b32 v[42:43], v54 offset0:224 offset1:240
	s_wait_dscnt 0x0
	s_barrier_signal -1
	v_pk_fma_f32 v[38:39], v[68:69], v[70:71], v[38:39] op_sel_hi:[1,0,1]
	v_pk_fma_f32 v[40:41], v[68:69], v[74:75], v[40:41] op_sel_hi:[1,0,1]
	v_mov_b32_e32 v44, v59
	s_barrier_wait -1
	s_delay_alu instid0(VALU_DEP_3) | instskip(NEXT) | instid1(VALU_DEP_3)
	v_pk_fma_f32 v[38:39], v[76:77], v[56:57], v[38:39] op_sel_hi:[1,0,1]
	v_pk_fma_f32 v[40:41], v[76:77], v[60:61], v[40:41] op_sel_hi:[1,0,1]
	s_delay_alu instid0(VALU_DEP_2) | instskip(NEXT) | instid1(VALU_DEP_2)
	v_pk_fma_f32 v[38:39], v[72:73], v[56:57], v[38:39] op_sel:[0,1,0]
	v_pk_fma_f32 v[40:41], v[72:73], v[60:61], v[40:41] op_sel:[0,1,0]
	v_mov_b32_e32 v56, v63
	s_delay_alu instid0(VALU_DEP_3) | instskip(NEXT) | instid1(VALU_DEP_3)
	v_pk_fma_f32 v[38:39], v[64:65], v[58:59], v[38:39] op_sel_hi:[1,0,1]
	v_pk_fma_f32 v[58:59], v[64:65], v[62:63], v[40:41] op_sel_hi:[1,0,1]
	s_delay_alu instid0(VALU_DEP_2) | instskip(NEXT) | instid1(VALU_DEP_2)
	v_pk_fma_f32 v[40:41], v[42:43], v[44:45], v[38:39] op_sel_hi:[1,0,1]
	v_pk_fma_f32 v[38:39], v[42:43], v[56:57], v[58:59] op_sel_hi:[1,0,1]
	s_cbranch_scc1 .LBB15_46
.LBB15_10:                              ;   Parent Loop BB15_4 Depth=1
                                        ;     Parent Loop BB15_7 Depth=2
                                        ; =>    This Inner Loop Header: Depth=3
	v_add_nc_u64_e32 v[42:43], s[44:45], v[2:3]
	v_cmp_eq_u64_e64 s7, s[44:45], v[30:31]
	v_add_nc_u64_e32 v[44:45], v[24:25], v[6:7]
                                        ; implicit-def: $vgpr21
	s_delay_alu instid0(VALU_DEP_3) | instskip(SKIP_3) | instid1(SALU_CYCLE_1)
	v_cmp_gt_i64_e64 s5, v[42:43], v[22:23]
	v_cmp_le_i64_e64 s6, s[40:41], v[42:43]
	s_and_b32 s54, s49, s7
	s_or_b32 s7, vcc_lo, s5
	s_or_b32 s7, s7, s54
	s_delay_alu instid0(SALU_CYCLE_1) | instskip(NEXT) | instid1(SALU_CYCLE_1)
	s_nor_b32 s7, s6, s7
	s_and_saveexec_b32 s8, s7
	s_delay_alu instid0(SALU_CYCLE_1)
	s_xor_b32 s7, exec_lo, s8
	s_cbranch_execz .LBB15_12
; %bb.11:                               ;   in Loop: Header=BB15_10 Depth=3
	global_load_b32 v21, v[44:45], off
.LBB15_12:                              ;   in Loop: Header=BB15_10 Depth=3
	s_wait_xcnt 0x0
	s_and_not1_saveexec_b32 s7, s7
	s_cbranch_execz .LBB15_14
; %bb.13:                               ;   in Loop: Header=BB15_10 Depth=3
	s_wait_loadcnt 0x0
	v_cndmask_b32_e64 v21, 0, 1.0, s54
.LBB15_14:                              ;   in Loop: Header=BB15_10 Depth=3
	s_or_b32 exec_lo, exec_lo, s7
	v_add_nc_u64_e32 v[56:57], 16, v[42:43]
	v_cmp_eq_u64_e64 s8, s[44:45], v[34:35]
	s_wait_loadcnt 0x0
	ds_store_b32 v48, v21
	v_cmp_gt_i64_e64 s9, v[56:57], v[22:23]
	v_cmp_le_i64_e64 s7, s[40:41], v[56:57]
	s_and_b32 s55, s49, s8
	s_or_b32 s8, vcc_lo, s9
	s_delay_alu instid0(SALU_CYCLE_1) | instskip(NEXT) | instid1(SALU_CYCLE_1)
	s_or_b32 s8, s8, s55
	s_nor_b32 s8, s7, s8
	s_delay_alu instid0(SALU_CYCLE_1) | instskip(NEXT) | instid1(SALU_CYCLE_1)
	s_and_saveexec_b32 s9, s8
	s_xor_b32 s8, exec_lo, s9
	s_cbranch_execz .LBB15_16
; %bb.15:                               ;   in Loop: Header=BB15_10 Depth=3
	global_load_b32 v21, v[44:45], off offset:64
	s_wait_loadcnt 0x0
	ds_store_b32 v48, v21 offset:64
.LBB15_16:                              ;   in Loop: Header=BB15_10 Depth=3
	s_wait_xcnt 0x0
	s_and_not1_saveexec_b32 s8, s8
	s_cbranch_execz .LBB15_22
; %bb.17:                               ;   in Loop: Header=BB15_10 Depth=3
	s_xor_b32 s9, s55, -1
	s_delay_alu instid0(SALU_CYCLE_1) | instskip(NEXT) | instid1(SALU_CYCLE_1)
	s_and_saveexec_b32 s55, s9
	s_xor_b32 s9, exec_lo, s55
; %bb.18:                               ;   in Loop: Header=BB15_10 Depth=3
	ds_store_b32 v48, v3 offset:64
; %bb.19:                               ;   in Loop: Header=BB15_10 Depth=3
	s_and_not1_saveexec_b32 s9, s9
; %bb.20:                               ;   in Loop: Header=BB15_10 Depth=3
	ds_store_b32 v48, v51 offset:64
; %bb.21:                               ;   in Loop: Header=BB15_10 Depth=3
	s_or_b32 exec_lo, exec_lo, s9
.LBB15_22:                              ;   in Loop: Header=BB15_10 Depth=3
	s_delay_alu instid0(SALU_CYCLE_1)
	s_or_b32 exec_lo, exec_lo, s8
	v_cmp_eq_u64_e64 s8, s[44:45], v[32:33]
	v_cmp_gt_i64_e64 s9, v[42:43], v[28:29]
	v_add_nc_u64_e32 v[42:43], v[26:27], v[6:7]
                                        ; implicit-def: $vgpr21
	s_and_b32 s8, s49, s8
	s_or_b32 s9, s4, s9
	s_delay_alu instid0(SALU_CYCLE_1) | instskip(NEXT) | instid1(SALU_CYCLE_1)
	s_or_b32 s9, s9, s8
	s_nor_b32 s6, s6, s9
	s_delay_alu instid0(SALU_CYCLE_1) | instskip(NEXT) | instid1(SALU_CYCLE_1)
	s_and_saveexec_b32 s9, s6
	s_xor_b32 s6, exec_lo, s9
	s_cbranch_execz .LBB15_24
; %bb.23:                               ;   in Loop: Header=BB15_10 Depth=3
	global_load_b32 v21, v[42:43], off
.LBB15_24:                              ;   in Loop: Header=BB15_10 Depth=3
	s_wait_xcnt 0x0
	s_and_not1_saveexec_b32 s6, s6
	s_cbranch_execz .LBB15_26
; %bb.25:                               ;   in Loop: Header=BB15_10 Depth=3
	s_wait_loadcnt 0x0
	v_cndmask_b32_e64 v21, 0, 1.0, s8
.LBB15_26:                              ;   in Loop: Header=BB15_10 Depth=3
	s_or_b32 exec_lo, exec_lo, s6
	s_or_b32 s5, s4, s5
	s_wait_loadcnt 0x0
	ds_store_b32 v48, v21 offset:2048
	s_or_b32 s5, s5, s54
	s_delay_alu instid0(SALU_CYCLE_1) | instskip(NEXT) | instid1(SALU_CYCLE_1)
	s_nor_b32 s5, s7, s5
	s_and_saveexec_b32 s6, s5
	s_delay_alu instid0(SALU_CYCLE_1)
	s_xor_b32 s5, exec_lo, s6
	s_cbranch_execz .LBB15_28
; %bb.27:                               ;   in Loop: Header=BB15_10 Depth=3
	global_load_b32 v21, v[42:43], off offset:64
	s_wait_loadcnt 0x0
	ds_store_b32 v48, v21 offset:2112
.LBB15_28:                              ;   in Loop: Header=BB15_10 Depth=3
	s_wait_xcnt 0x0
	s_and_not1_saveexec_b32 s5, s5
	s_cbranch_execz .LBB15_34
; %bb.29:                               ;   in Loop: Header=BB15_10 Depth=3
	s_xor_b32 s6, s54, -1
	s_delay_alu instid0(SALU_CYCLE_1) | instskip(NEXT) | instid1(SALU_CYCLE_1)
	s_and_saveexec_b32 s7, s6
	s_xor_b32 s6, exec_lo, s7
; %bb.30:                               ;   in Loop: Header=BB15_10 Depth=3
	ds_store_b32 v48, v3 offset:2112
; %bb.31:                               ;   in Loop: Header=BB15_10 Depth=3
	s_and_not1_saveexec_b32 s6, s6
; %bb.32:                               ;   in Loop: Header=BB15_10 Depth=3
	ds_store_b32 v48, v51 offset:2112
; %bb.33:                               ;   in Loop: Header=BB15_10 Depth=3
	s_or_b32 exec_lo, exec_lo, s6
.LBB15_34:                              ;   in Loop: Header=BB15_10 Depth=3
	s_delay_alu instid0(SALU_CYCLE_1) | instskip(SKIP_3) | instid1(VALU_DEP_3)
	s_or_b32 exec_lo, exec_lo, s5
	v_add_nc_u64_e32 v[42:43], s[44:45], v[0:1]
	v_add_nc_u64_e32 v[44:45], v[36:37], v[14:15]
	v_mov_b32_e32 v21, 0
	v_cmp_le_i64_e64 s5, s[40:41], v[42:43]
	s_nor_b32 s7, s5, s0
	s_delay_alu instid0(SALU_CYCLE_1)
	s_and_saveexec_b32 s6, s7
	s_cbranch_execz .LBB15_36
; %bb.35:                               ;   in Loop: Header=BB15_10 Depth=3
	global_load_b32 v21, v[44:45], off offset:-64
.LBB15_36:                              ;   in Loop: Header=BB15_10 Depth=3
	s_wait_xcnt 0x0
	s_or_b32 exec_lo, exec_lo, s6
	s_nor_b32 s5, s5, s1
	s_wait_loadcnt 0x0
	ds_store_b32 v49, v21
	s_and_saveexec_b32 s6, s5
	s_delay_alu instid0(SALU_CYCLE_1)
	s_xor_b32 s5, exec_lo, s6
	s_cbranch_execz .LBB15_38
; %bb.37:                               ;   in Loop: Header=BB15_10 Depth=3
	global_load_b32 v21, v[44:45], off
	s_wait_loadcnt 0x0
	ds_store_b32 v49, v21 offset:64
.LBB15_38:                              ;   in Loop: Header=BB15_10 Depth=3
	s_wait_xcnt 0x0
	s_and_not1_saveexec_b32 s5, s5
; %bb.39:                               ;   in Loop: Header=BB15_10 Depth=3
	ds_store_b32 v49, v3 offset:64
; %bb.40:                               ;   in Loop: Header=BB15_10 Depth=3
	s_or_b32 exec_lo, exec_lo, s5
	v_cmp_le_i64_e64 s5, s[42:43], v[42:43]
	v_add_nc_u64_e32 v[42:43], v[36:37], v[8:9]
	v_mov_b32_e32 v21, 0
	s_nor_b32 s7, s5, s0
	s_delay_alu instid0(SALU_CYCLE_1)
	s_and_saveexec_b32 s6, s7
	s_cbranch_execz .LBB15_42
; %bb.41:                               ;   in Loop: Header=BB15_10 Depth=3
	global_load_b32 v21, v[42:43], off offset:-64
.LBB15_42:                              ;   in Loop: Header=BB15_10 Depth=3
	s_wait_xcnt 0x0
	s_or_b32 exec_lo, exec_lo, s6
	s_nor_b32 s5, s5, s1
	s_wait_loadcnt 0x0
	ds_store_b32 v49, v21 offset:2048
	s_and_saveexec_b32 s6, s5
	s_delay_alu instid0(SALU_CYCLE_1)
	s_xor_b32 s5, exec_lo, s6
	s_cbranch_execz .LBB15_44
; %bb.43:                               ;   in Loop: Header=BB15_10 Depth=3
	global_load_b32 v21, v[42:43], off
	s_wait_loadcnt 0x0
	ds_store_b32 v49, v21 offset:2112
.LBB15_44:                              ;   in Loop: Header=BB15_10 Depth=3
	s_wait_xcnt 0x0
	s_and_not1_saveexec_b32 s5, s5
	s_cbranch_execz .LBB15_9
; %bb.45:                               ;   in Loop: Header=BB15_10 Depth=3
	ds_store_b32 v49, v3 offset:2112
	s_branch .LBB15_9
.LBB15_46:                              ;   in Loop: Header=BB15_7 Depth=2
	s_delay_alu instid0(VALU_DEP_1) | instskip(SKIP_2) | instid1(VALU_DEP_2)
	v_mul_u64_e32 v[24:25], s[28:29], v[22:23]
	v_cmp_gt_i32_e32 vcc_lo, s38, v22
	s_and_b32 s5, s2, vcc_lo
	v_lshl_add_u64 v[24:25], v[24:25], 2, s[36:37]
	s_and_saveexec_b32 s4, s5
	s_cbranch_execz .LBB15_48
; %bb.47:                               ;   in Loop: Header=BB15_7 Depth=2
	s_delay_alu instid0(VALU_DEP_1)
	v_lshl_add_u64 v[26:27], v[4:5], 2, v[24:25]
	global_load_b32 v21, v[26:27], off
	s_wait_loadcnt 0x0
	v_fmac_f32_e32 v21, s39, v40
	global_store_b32 v[26:27], v21, off
.LBB15_48:                              ;   in Loop: Header=BB15_7 Depth=2
	s_wait_xcnt 0x0
	s_or_b32 exec_lo, exec_lo, s4
	s_and_b32 s5, s3, vcc_lo
	s_delay_alu instid0(SALU_CYCLE_1)
	s_and_saveexec_b32 s4, s5
	s_cbranch_execz .LBB15_50
; %bb.49:                               ;   in Loop: Header=BB15_7 Depth=2
	v_lshl_add_u64 v[24:25], v[10:11], 2, v[24:25]
	global_load_b32 v21, v[24:25], off
	s_wait_loadcnt 0x0
	v_fmac_f32_e32 v21, s39, v41
	global_store_b32 v[24:25], v21, off
.LBB15_50:                              ;   in Loop: Header=BB15_7 Depth=2
	s_wait_xcnt 0x0
	s_or_b32 exec_lo, exec_lo, s4
	v_add_nc_u32_e32 v22, 16, v22
	s_delay_alu instid0(VALU_DEP_1) | instskip(SKIP_1) | instid1(VALU_DEP_2)
	v_ashrrev_i32_e32 v23, 31, v22
	v_cmp_gt_i32_e32 vcc_lo, s38, v22
	v_mul_u64_e32 v[24:25], s[28:29], v[22:23]
	s_and_b32 s5, s2, vcc_lo
	s_delay_alu instid0(VALU_DEP_1)
	v_lshl_add_u64 v[22:23], v[24:25], 2, s[36:37]
	s_and_saveexec_b32 s4, s5
	s_cbranch_execz .LBB15_52
; %bb.51:                               ;   in Loop: Header=BB15_7 Depth=2
	s_delay_alu instid0(VALU_DEP_1)
	v_lshl_add_u64 v[24:25], v[4:5], 2, v[22:23]
	global_load_b32 v21, v[24:25], off
	s_wait_loadcnt 0x0
	v_fmac_f32_e32 v21, s39, v38
	global_store_b32 v[24:25], v21, off
.LBB15_52:                              ;   in Loop: Header=BB15_7 Depth=2
	s_wait_xcnt 0x0
	s_or_b32 exec_lo, exec_lo, s4
	s_and_b32 s5, s3, vcc_lo
	s_delay_alu instid0(SALU_CYCLE_1)
	s_and_saveexec_b32 s4, s5
	s_cbranch_execz .LBB15_6
; %bb.53:                               ;   in Loop: Header=BB15_7 Depth=2
	v_lshl_add_u64 v[22:23], v[10:11], 2, v[22:23]
	global_load_b32 v21, v[22:23], off
	s_wait_loadcnt 0x0
	v_fmac_f32_e32 v21, s39, v39
	global_store_b32 v[22:23], v21, off
	s_branch .LBB15_6
.LBB15_54:
	s_sendmsg sendmsg(MSG_DEALLOC_VGPRS)
	s_endpgm
	.section	.rodata,"a",@progbits
	.p2align	6, 0x0
	.amdhsa_kernel _ZL30rocblas_trmm_outofplace_kernelIfLi32ELi2ELb0ELb1ELb0ELb0EfKffEv17rocblas_diagonal_iiT6_lPT7_lllS4_lllPT8_llli
		.amdhsa_group_segment_fixed_size 8192
		.amdhsa_private_segment_fixed_size 0
		.amdhsa_kernarg_size 384
		.amdhsa_user_sgpr_count 2
		.amdhsa_user_sgpr_dispatch_ptr 0
		.amdhsa_user_sgpr_queue_ptr 0
		.amdhsa_user_sgpr_kernarg_segment_ptr 1
		.amdhsa_user_sgpr_dispatch_id 0
		.amdhsa_user_sgpr_kernarg_preload_length 0
		.amdhsa_user_sgpr_kernarg_preload_offset 0
		.amdhsa_user_sgpr_private_segment_size 0
		.amdhsa_wavefront_size32 1
		.amdhsa_uses_dynamic_stack 0
		.amdhsa_enable_private_segment 0
		.amdhsa_system_sgpr_workgroup_id_x 1
		.amdhsa_system_sgpr_workgroup_id_y 1
		.amdhsa_system_sgpr_workgroup_id_z 1
		.amdhsa_system_sgpr_workgroup_info 0
		.amdhsa_system_vgpr_workitem_id 1
		.amdhsa_next_free_vgpr 78
		.amdhsa_next_free_sgpr 56
		.amdhsa_named_barrier_count 0
		.amdhsa_reserve_vcc 1
		.amdhsa_float_round_mode_32 0
		.amdhsa_float_round_mode_16_64 0
		.amdhsa_float_denorm_mode_32 3
		.amdhsa_float_denorm_mode_16_64 3
		.amdhsa_fp16_overflow 0
		.amdhsa_memory_ordered 1
		.amdhsa_forward_progress 1
		.amdhsa_inst_pref_size 24
		.amdhsa_round_robin_scheduling 0
		.amdhsa_exception_fp_ieee_invalid_op 0
		.amdhsa_exception_fp_denorm_src 0
		.amdhsa_exception_fp_ieee_div_zero 0
		.amdhsa_exception_fp_ieee_overflow 0
		.amdhsa_exception_fp_ieee_underflow 0
		.amdhsa_exception_fp_ieee_inexact 0
		.amdhsa_exception_int_div_zero 0
	.end_amdhsa_kernel
	.section	.text._ZL30rocblas_trmm_outofplace_kernelIfLi32ELi2ELb0ELb1ELb0ELb0EfKffEv17rocblas_diagonal_iiT6_lPT7_lllS4_lllPT8_llli,"axG",@progbits,_ZL30rocblas_trmm_outofplace_kernelIfLi32ELi2ELb0ELb1ELb0ELb0EfKffEv17rocblas_diagonal_iiT6_lPT7_lllS4_lllPT8_llli,comdat
.Lfunc_end15:
	.size	_ZL30rocblas_trmm_outofplace_kernelIfLi32ELi2ELb0ELb1ELb0ELb0EfKffEv17rocblas_diagonal_iiT6_lPT7_lllS4_lllPT8_llli, .Lfunc_end15-_ZL30rocblas_trmm_outofplace_kernelIfLi32ELi2ELb0ELb1ELb0ELb0EfKffEv17rocblas_diagonal_iiT6_lPT7_lllS4_lllPT8_llli
                                        ; -- End function
	.set _ZL30rocblas_trmm_outofplace_kernelIfLi32ELi2ELb0ELb1ELb0ELb0EfKffEv17rocblas_diagonal_iiT6_lPT7_lllS4_lllPT8_llli.num_vgpr, 78
	.set _ZL30rocblas_trmm_outofplace_kernelIfLi32ELi2ELb0ELb1ELb0ELb0EfKffEv17rocblas_diagonal_iiT6_lPT7_lllS4_lllPT8_llli.num_agpr, 0
	.set _ZL30rocblas_trmm_outofplace_kernelIfLi32ELi2ELb0ELb1ELb0ELb0EfKffEv17rocblas_diagonal_iiT6_lPT7_lllS4_lllPT8_llli.numbered_sgpr, 56
	.set _ZL30rocblas_trmm_outofplace_kernelIfLi32ELi2ELb0ELb1ELb0ELb0EfKffEv17rocblas_diagonal_iiT6_lPT7_lllS4_lllPT8_llli.num_named_barrier, 0
	.set _ZL30rocblas_trmm_outofplace_kernelIfLi32ELi2ELb0ELb1ELb0ELb0EfKffEv17rocblas_diagonal_iiT6_lPT7_lllS4_lllPT8_llli.private_seg_size, 0
	.set _ZL30rocblas_trmm_outofplace_kernelIfLi32ELi2ELb0ELb1ELb0ELb0EfKffEv17rocblas_diagonal_iiT6_lPT7_lllS4_lllPT8_llli.uses_vcc, 1
	.set _ZL30rocblas_trmm_outofplace_kernelIfLi32ELi2ELb0ELb1ELb0ELb0EfKffEv17rocblas_diagonal_iiT6_lPT7_lllS4_lllPT8_llli.uses_flat_scratch, 0
	.set _ZL30rocblas_trmm_outofplace_kernelIfLi32ELi2ELb0ELb1ELb0ELb0EfKffEv17rocblas_diagonal_iiT6_lPT7_lllS4_lllPT8_llli.has_dyn_sized_stack, 0
	.set _ZL30rocblas_trmm_outofplace_kernelIfLi32ELi2ELb0ELb1ELb0ELb0EfKffEv17rocblas_diagonal_iiT6_lPT7_lllS4_lllPT8_llli.has_recursion, 0
	.set _ZL30rocblas_trmm_outofplace_kernelIfLi32ELi2ELb0ELb1ELb0ELb0EfKffEv17rocblas_diagonal_iiT6_lPT7_lllS4_lllPT8_llli.has_indirect_call, 0
	.section	.AMDGPU.csdata,"",@progbits
; Kernel info:
; codeLenInByte = 3064
; TotalNumSgprs: 58
; NumVgprs: 78
; ScratchSize: 0
; MemoryBound: 0
; FloatMode: 240
; IeeeMode: 1
; LDSByteSize: 8192 bytes/workgroup (compile time only)
; SGPRBlocks: 0
; VGPRBlocks: 4
; NumSGPRsForWavesPerEU: 58
; NumVGPRsForWavesPerEU: 78
; NamedBarCnt: 0
; Occupancy: 12
; WaveLimiterHint : 0
; COMPUTE_PGM_RSRC2:SCRATCH_EN: 0
; COMPUTE_PGM_RSRC2:USER_SGPR: 2
; COMPUTE_PGM_RSRC2:TRAP_HANDLER: 0
; COMPUTE_PGM_RSRC2:TGID_X_EN: 1
; COMPUTE_PGM_RSRC2:TGID_Y_EN: 1
; COMPUTE_PGM_RSRC2:TGID_Z_EN: 1
; COMPUTE_PGM_RSRC2:TIDIG_COMP_CNT: 1
	.section	.text._ZL30rocblas_trmm_outofplace_kernelIfLi32ELi2ELb0ELb0ELb1ELb0EPKfS0_fEv17rocblas_diagonal_iiT6_lPT7_lllS5_lllPT8_llli,"axG",@progbits,_ZL30rocblas_trmm_outofplace_kernelIfLi32ELi2ELb0ELb0ELb1ELb0EPKfS0_fEv17rocblas_diagonal_iiT6_lPT7_lllS5_lllPT8_llli,comdat
	.globl	_ZL30rocblas_trmm_outofplace_kernelIfLi32ELi2ELb0ELb0ELb1ELb0EPKfS0_fEv17rocblas_diagonal_iiT6_lPT7_lllS5_lllPT8_llli ; -- Begin function _ZL30rocblas_trmm_outofplace_kernelIfLi32ELi2ELb0ELb0ELb1ELb0EPKfS0_fEv17rocblas_diagonal_iiT6_lPT7_lllS5_lllPT8_llli
	.p2align	8
	.type	_ZL30rocblas_trmm_outofplace_kernelIfLi32ELi2ELb0ELb0ELb1ELb0EPKfS0_fEv17rocblas_diagonal_iiT6_lPT7_lllS5_lllPT8_llli,@function
_ZL30rocblas_trmm_outofplace_kernelIfLi32ELi2ELb0ELb0ELb1ELb0EPKfS0_fEv17rocblas_diagonal_iiT6_lPT7_lllS5_lllPT8_llli: ; @_ZL30rocblas_trmm_outofplace_kernelIfLi32ELi2ELb0ELb0ELb1ELb0EPKfS0_fEv17rocblas_diagonal_iiT6_lPT7_lllS5_lllPT8_llli
; %bb.0:
	s_load_b32 s33, s[0:1], 0x80
	s_bfe_u32 s2, ttmp6, 0x40014
	s_lshr_b32 s3, ttmp7, 16
	s_add_co_i32 s2, s2, 1
	s_bfe_u32 s5, ttmp6, 0x40008
	s_mul_i32 s4, s3, s2
	s_getreg_b32 s2, hwreg(HW_REG_IB_STS2, 6, 4)
	s_add_co_i32 s5, s5, s4
	s_cmp_eq_u32 s2, 0
	s_mov_b32 s35, 0
	s_cselect_b32 s34, s3, s5
	s_wait_kmcnt 0x0
	s_cmp_ge_u32 s34, s33
	s_cbranch_scc1 .LBB16_55
; %bb.1:
	s_clause 0x3
	s_load_b96 s[36:38], s[0:1], 0x0
	s_load_b512 s[12:27], s[0:1], 0x10
	s_load_b128 s[28:31], s[0:1], 0x70
	s_load_b256 s[4:11], s[0:1], 0x50
	s_bfe_u32 s39, ttmp6, 0x4000c
	s_and_b32 s3, ttmp6, 15
	s_add_co_i32 s39, s39, 1
	s_bfe_u32 s41, ttmp6, 0x40010
	s_mul_i32 s39, ttmp9, s39
	s_and_b32 s40, ttmp7, 0xffff
	s_add_co_i32 s41, s41, 1
	s_add_co_i32 s3, s3, s39
	s_bfe_u32 s42, ttmp6, 0x40004
	s_mul_i32 s41, s40, s41
	v_and_b32_e32 v2, 0x3ff, v0
	v_mov_b32_e32 v3, 0
	v_bfe_u32 v0, v0, 10, 10
	s_add_co_i32 s42, s42, s41
	s_delay_alu instid0(VALU_DEP_3)
	v_dual_mov_b32 v54, 1.0 :: v_dual_lshlrev_b32 v8, 2, v2
	s_wait_kmcnt 0x0
	s_add_co_i32 s43, s38, -1
	v_dual_mov_b32 v1, v3 :: v_dual_lshlrev_b32 v6, 2, v0
	s_ashr_i32 s44, s43, 31
	s_lshl_b64 s[10:11], s[10:11], 2
	s_lshr_b32 s39, s44, 27
	s_delay_alu instid0(VALU_DEP_1)
	v_mul_u64_e32 v[12:13], s[4:5], v[0:1]
	s_add_co_i32 s43, s43, s39
	v_mul_u64_e32 v[16:17], s[20:21], v[2:3]
	s_ashr_i32 s39, s43, 5
	s_cmp_eq_u32 s2, 0
	v_add_nc_u32_e32 v11, 64, v8
	s_cselect_b32 s2, ttmp9, s3
	s_cselect_b32 s44, s40, s42
	v_lshl_add_u32 v4, s2, 5, v2
	v_mov_b32_e32 v7, v3
	s_cmp_le_i32 s44, s39
	s_mov_b32 s2, s37
	s_cselect_b32 s45, -1, 0
	v_ashrrev_i32_e32 v5, 31, v4
	v_add_nc_u64_e32 v[6:7], 64, v[6:7]
	v_add_nc_u32_e32 v10, 16, v4
	v_lshlrev_b32_e32 v50, 7, v0
	s_cmp_eq_u32 s36, 0x84
	s_add_nc_u64 s[10:11], s[8:9], s[10:11]
	s_cselect_b32 s46, -1, 0
	s_ashr_i32 s3, s37, 31
	v_mul_u64_e32 v[6:7], s[4:5], v[6:7]
	v_add_nc_u32_e32 v52, v50, v8
	v_sub_nc_u64_e32 v[14:15], s[2:3], v[4:5]
	s_lshl_b64 s[2:3], s[18:19], 2
	v_or_b32_e32 v51, 0x1000, v8
	s_add_nc_u64 s[8:9], s[16:17], s[2:3]
	s_lshl_b64 s[2:3], s[26:27], 2
	v_mad_nc_u64_u32 v[8:9], s20, v11, s[8:9]
	s_lshl_b64 s[18:19], s[4:5], 7
	s_add_nc_u64 s[4:5], s[24:25], s[2:3]
	s_add_nc_u64 s[42:43], s[0:1], 0x88
	v_cmp_gt_i64_e64 s0, 1, v[14:15]
	v_cmp_gt_i64_e64 s1, 17, v[14:15]
	v_lshl_add_u64 v[14:15], v[4:5], 2, s[4:5]
	v_lshlrev_b64_e32 v[12:13], 2, v[12:13]
	v_cmp_gt_i32_e64 s2, s37, v4
	v_cmp_gt_i32_e64 s3, s37, v10
	v_lshl_add_u64 v[16:17], v[16:17], 2, s[8:9]
	v_mad_u32 v9, s21, v11, v9
	v_add_nc_u64_e32 v[14:15], 64, v[14:15]
	v_ashrrev_i32_e32 v11, 31, v10
	v_add_nc_u32_e32 v53, v51, v50
	s_ashr_i32 s41, s38, 31
	s_mov_b32 s40, s38
	s_lshl_b64 s[16:17], s[20:21], 7
	s_add_nc_u64 s[20:21], s[40:41], -16
	s_lshl_b64 s[24:25], s[6:7], 2
	s_lshl_b64 s[22:23], s[22:23], 2
	s_branch .LBB16_4
.LBB16_2:                               ;   in Loop: Header=BB16_4 Depth=1
	s_add_co_i32 s34, s34, 0x10000
	s_delay_alu instid0(SALU_CYCLE_1)
	s_cmp_ge_u32 s34, s33
	s_cselect_b32 s4, -1, 0
.LBB16_3:                               ;   in Loop: Header=BB16_4 Depth=1
	s_delay_alu instid0(SALU_CYCLE_1)
	s_and_b32 vcc_lo, exec_lo, s4
	s_cbranch_vccnz .LBB16_55
.LBB16_4:                               ; =>This Loop Header: Depth=1
                                        ;     Child Loop BB16_8 Depth 2
                                        ;       Child Loop BB16_11 Depth 3
	s_mul_u64 s[4:5], s[14:15], s[34:35]
	s_delay_alu instid0(SALU_CYCLE_1) | instskip(NEXT) | instid1(SALU_CYCLE_1)
	s_lshl_b64 s[4:5], s[4:5], 2
	s_add_nc_u64 s[4:5], s[12:13], s[4:5]
	global_load_b32 v55, v3, s[4:5]
	s_wait_xcnt 0x0
	s_mov_b32 s4, -1
	s_wait_loadcnt 0x0
	v_cmp_eq_f32_e32 vcc_lo, 0, v55
	s_cbranch_vccnz .LBB16_3
; %bb.5:                                ;   in Loop: Header=BB16_4 Depth=1
	s_and_not1_b32 vcc_lo, exec_lo, s45
	s_cbranch_vccnz .LBB16_2
; %bb.6:                                ;   in Loop: Header=BB16_4 Depth=1
	s_load_b32 s47, s[42:43], 0x4
	v_mad_nc_u64_u32 v[18:19], s24, s34, v[14:15]
	v_mad_nc_u64_u32 v[20:21], s22, s34, v[8:9]
	;; [unrolled: 1-line block ×3, first 2 shown]
	s_mul_i32 s6, s23, s34
	s_mul_u64 s[4:5], s[30:31], s[34:35]
	v_lshl_add_u32 v24, s44, 5, v0
	s_lshl_b64 s[4:5], s[4:5], 2
	s_mov_b32 s49, s44
	s_add_nc_u64 s[26:27], s[10:11], s[4:5]
	s_delay_alu instid0(VALU_DEP_4) | instskip(NEXT) | instid1(VALU_DEP_3)
	v_mad_u32 v19, s25, s34, v19
	v_dual_add_nc_u32 v21, s6, v21 :: v_dual_add_nc_u32 v23, s6, v23
	s_wait_kmcnt 0x0
	s_lshl_b32 s48, s47, 5
	s_branch .LBB16_8
.LBB16_7:                               ;   in Loop: Header=BB16_8 Depth=2
	s_wait_xcnt 0x0
	s_or_b32 exec_lo, exec_lo, s4
	v_add_nc_u32_e32 v24, s48, v24
	s_add_co_i32 s49, s47, s49
	s_delay_alu instid0(SALU_CYCLE_1)
	s_cmp_gt_i32 s49, s39
	s_cbranch_scc1 .LBB16_2
.LBB16_8:                               ;   Parent Loop BB16_4 Depth=1
                                        ; =>  This Loop Header: Depth=2
                                        ;       Child Loop BB16_11 Depth 3
	s_lshl_b32 s50, s49, 5
	s_delay_alu instid0(SALU_CYCLE_1) | instskip(SKIP_1) | instid1(VALU_DEP_1)
	v_dual_mov_b32 v43, 0 :: v_dual_add_nc_u32 v26, s50, v0
	s_cmp_lt_i32 s49, 0
	v_dual_mov_b32 v42, v43 :: v_dual_mov_b32 v41, v43
	s_delay_alu instid0(VALU_DEP_2)
	v_dual_mov_b32 v40, v43 :: v_dual_ashrrev_i32 v27, 31, v26
	s_cbranch_scc1 .LBB16_47
; %bb.9:                                ;   in Loop: Header=BB16_8 Depth=2
	v_sub_nc_u64_e32 v[34:35], 0, v[2:3]
	s_delay_alu instid0(VALU_DEP_2) | instskip(SKIP_4) | instid1(VALU_DEP_4)
	v_add_nc_u64_e32 v[28:29], 16, v[26:27]
	v_dual_mov_b32 v40, 0 :: v_dual_ashrrev_i32 v25, 31, v24
	v_mov_b64_e32 v[30:31], v[22:23]
	v_mov_b64_e32 v[32:33], v[20:21]
	;; [unrolled: 1-line block ×3, first 2 shown]
	v_add_nc_u64_e32 v[34:35], v[34:35], v[24:25]
	v_lshlrev_b64_e32 v[38:39], 2, v[24:25]
	v_cmp_le_i64_e64 s4, s[40:41], v[28:29]
	v_dual_mov_b32 v41, v40 :: v_dual_mov_b32 v42, v40
	v_mov_b32_e32 v43, v40
	s_mov_b64 s[36:37], 0
	v_cmp_le_i32_e32 vcc_lo, s38, v26
	s_branch .LBB16_11
.LBB16_10:                              ;   in Loop: Header=BB16_11 Depth=3
	s_or_b32 exec_lo, exec_lo, s5
	s_wait_dscnt 0x0
	s_barrier_signal -1
	s_barrier_wait -1
	ds_load_b128 v[44:47], v50
	ds_load_2addr_b32 v[48:49], v51 offset1:16
	ds_load_b128 v[56:59], v50 offset:2048
	ds_load_2addr_b32 v[68:69], v51 offset0:32 offset1:48
	ds_load_2addr_b32 v[70:71], v51 offset0:64 offset1:80
	;; [unrolled: 1-line block ×3, first 2 shown]
	ds_load_b128 v[60:63], v50 offset:16
	ds_load_2addr_b32 v[74:75], v51 offset0:128 offset1:144
	ds_load_b128 v[64:67], v50 offset:2064
	v_add_nc_u32_e32 v25, 0x400, v51
	v_add_nc_u32_e32 v78, 0x800, v51
	v_add_nc_u64_e32 v[36:37], s[18:19], v[36:37]
	v_add_nc_u64_e32 v[32:33], s[16:17], v[32:33]
	;; [unrolled: 1-line block ×3, first 2 shown]
	s_add_nc_u64 s[36:37], s[36:37], 32
	s_delay_alu instid0(SALU_CYCLE_1) | instskip(NEXT) | instid1(SALU_CYCLE_1)
	s_sub_co_i32 s5, s36, 32
	s_cmp_ge_i32 s5, s50
	s_wait_dscnt 0x7
	v_pk_fma_f32 v[42:43], v[48:49], v[44:45], v[42:43] op_sel_hi:[1,0,1]
	s_wait_dscnt 0x6
	v_pk_fma_f32 v[40:41], v[48:49], v[56:57], v[40:41] op_sel_hi:[1,0,1]
	ds_load_2addr_b32 v[48:49], v51 offset0:160 offset1:176
	s_wait_dscnt 0x6
	v_pk_fma_f32 v[42:43], v[68:69], v[44:45], v[42:43] op_sel:[0,1,0]
	v_pk_fma_f32 v[40:41], v[68:69], v[56:57], v[40:41] op_sel:[0,1,0]
	v_dual_mov_b32 v44, v47 :: v_dual_mov_b32 v68, v59
	ds_load_2addr_b32 v[56:57], v51 offset0:192 offset1:208
	s_wait_dscnt 0x6
	v_pk_fma_f32 v[42:43], v[70:71], v[46:47], v[42:43] op_sel_hi:[1,0,1]
	v_pk_fma_f32 v[40:41], v[70:71], v[58:59], v[40:41] op_sel_hi:[1,0,1]
	ds_load_2addr_b32 v[58:59], v51 offset0:224 offset1:240
	s_wait_dscnt 0x6
	v_pk_fma_f32 v[70:71], v[72:73], v[44:45], v[42:43] op_sel_hi:[1,0,1]
	v_pk_fma_f32 v[68:69], v[72:73], v[68:69], v[40:41] op_sel_hi:[1,0,1]
	s_wait_dscnt 0x4
	s_delay_alu instid0(VALU_DEP_2) | instskip(SKIP_1) | instid1(VALU_DEP_2)
	v_pk_fma_f32 v[70:71], v[74:75], v[60:61], v[70:71] op_sel_hi:[1,0,1]
	s_wait_dscnt 0x3
	v_pk_fma_f32 v[68:69], v[74:75], v[64:65], v[68:69] op_sel_hi:[1,0,1]
	s_wait_dscnt 0x2
	s_delay_alu instid0(VALU_DEP_2) | instskip(NEXT) | instid1(VALU_DEP_2)
	v_pk_fma_f32 v[60:61], v[48:49], v[60:61], v[70:71] op_sel:[0,1,0]
	v_pk_fma_f32 v[48:49], v[48:49], v[64:65], v[68:69] op_sel:[0,1,0]
	v_mov_b32_e32 v68, v63
	ds_load_b128 v[40:43], v50 offset:32
	ds_load_b128 v[44:47], v50 offset:2080
	ds_load_2addr_b32 v[72:73], v25 offset1:16
	ds_load_2addr_b32 v[74:75], v25 offset0:32 offset1:48
	s_wait_dscnt 0x5
	v_pk_fma_f32 v[60:61], v[56:57], v[62:63], v[60:61] op_sel_hi:[1,0,1]
	ds_load_2addr_b32 v[64:65], v25 offset0:64 offset1:80
	v_mov_b32_e32 v70, v67
	v_pk_fma_f32 v[48:49], v[56:57], v[66:67], v[48:49] op_sel_hi:[1,0,1]
	ds_load_2addr_b32 v[66:67], v25 offset0:96 offset1:112
	s_wait_dscnt 0x6
	v_pk_fma_f32 v[68:69], v[58:59], v[68:69], v[60:61] op_sel_hi:[1,0,1]
	s_wait_dscnt 0x3
	s_delay_alu instid0(VALU_DEP_1) | instskip(SKIP_1) | instid1(VALU_DEP_1)
	v_pk_fma_f32 v[68:69], v[72:73], v[40:41], v[68:69] op_sel_hi:[1,0,1]
	s_wait_dscnt 0x2
	v_pk_fma_f32 v[40:41], v[74:75], v[40:41], v[68:69] op_sel:[0,1,0]
	v_mov_b32_e32 v68, v43
	v_pk_fma_f32 v[48:49], v[58:59], v[70:71], v[48:49] op_sel_hi:[1,0,1]
	ds_load_b128 v[56:59], v50 offset:48
	ds_load_b128 v[60:63], v50 offset:2096
	ds_load_2addr_b32 v[70:71], v25 offset0:128 offset1:144
	s_wait_dscnt 0x4
	v_pk_fma_f32 v[40:41], v[64:65], v[42:43], v[40:41] op_sel_hi:[1,0,1]
	v_pk_fma_f32 v[48:49], v[72:73], v[44:45], v[48:49] op_sel_hi:[1,0,1]
	ds_load_2addr_b32 v[72:73], v25 offset0:160 offset1:176
	s_wait_dscnt 0x4
	v_pk_fma_f32 v[68:69], v[66:67], v[68:69], v[40:41] op_sel_hi:[1,0,1]
	v_pk_fma_f32 v[44:45], v[74:75], v[44:45], v[48:49] op_sel:[0,1,0]
	ds_load_2addr_b32 v[48:49], v25 offset0:192 offset1:208
	v_mov_b32_e32 v74, v47
	v_pk_fma_f32 v[42:43], v[64:65], v[46:47], v[44:45] op_sel_hi:[1,0,1]
	ds_load_2addr_b32 v[64:65], v25 offset0:224 offset1:240
	v_add_nc_u32_e32 v25, 0xc00, v51
	s_wait_dscnt 0x3
	v_pk_fma_f32 v[68:69], v[70:71], v[56:57], v[68:69] op_sel_hi:[1,0,1]
	s_wait_dscnt 0x2
	s_delay_alu instid0(VALU_DEP_1)
	v_pk_fma_f32 v[56:57], v[72:73], v[56:57], v[68:69] op_sel:[0,1,0]
	v_mov_b32_e32 v68, v59
	v_pk_fma_f32 v[66:67], v[66:67], v[74:75], v[42:43] op_sel_hi:[1,0,1]
	ds_load_b128 v[40:43], v50 offset:64
	ds_load_b128 v[44:47], v50 offset:2112
	ds_load_2addr_b32 v[74:75], v78 offset1:16
	ds_load_2addr_b32 v[76:77], v78 offset0:96 offset1:112
	s_wait_dscnt 0x5
	v_pk_fma_f32 v[56:57], v[48:49], v[58:59], v[56:57] op_sel_hi:[1,0,1]
	v_pk_fma_f32 v[66:67], v[70:71], v[60:61], v[66:67] op_sel_hi:[1,0,1]
	ds_load_2addr_b32 v[70:71], v78 offset0:32 offset1:48
	s_wait_dscnt 0x5
	v_pk_fma_f32 v[68:69], v[64:65], v[68:69], v[56:57] op_sel_hi:[1,0,1]
	v_pk_fma_f32 v[60:61], v[72:73], v[60:61], v[66:67] op_sel:[0,1,0]
	ds_load_2addr_b32 v[66:67], v78 offset0:64 offset1:80
	v_mov_b32_e32 v72, v63
	v_pk_fma_f32 v[48:49], v[48:49], v[62:63], v[60:61] op_sel_hi:[1,0,1]
	s_wait_dscnt 0x3
	v_pk_fma_f32 v[68:69], v[74:75], v[40:41], v[68:69] op_sel_hi:[1,0,1]
	s_wait_dscnt 0x1
	s_delay_alu instid0(VALU_DEP_1)
	v_pk_fma_f32 v[40:41], v[70:71], v[40:41], v[68:69] op_sel:[0,1,0]
	v_mov_b32_e32 v68, v43
	v_pk_fma_f32 v[48:49], v[64:65], v[72:73], v[48:49] op_sel_hi:[1,0,1]
	ds_load_b128 v[56:59], v50 offset:80
	ds_load_b128 v[60:63], v50 offset:2128
	ds_load_2addr_b32 v[64:65], v78 offset0:128 offset1:144
	ds_load_2addr_b32 v[72:73], v78 offset0:160 offset1:176
	s_wait_dscnt 0x4
	v_pk_fma_f32 v[40:41], v[66:67], v[42:43], v[40:41] op_sel_hi:[1,0,1]
	v_pk_fma_f32 v[48:49], v[74:75], v[44:45], v[48:49] op_sel_hi:[1,0,1]
	s_delay_alu instid0(VALU_DEP_2) | instskip(NEXT) | instid1(VALU_DEP_2)
	v_pk_fma_f32 v[68:69], v[76:77], v[68:69], v[40:41] op_sel_hi:[1,0,1]
	v_pk_fma_f32 v[44:45], v[70:71], v[44:45], v[48:49] op_sel:[0,1,0]
	ds_load_2addr_b32 v[48:49], v78 offset0:192 offset1:208
	v_mov_b32_e32 v70, v47
	v_pk_fma_f32 v[42:43], v[66:67], v[46:47], v[44:45] op_sel_hi:[1,0,1]
	ds_load_2addr_b32 v[66:67], v78 offset0:224 offset1:240
	v_pk_fma_f32 v[70:71], v[76:77], v[70:71], v[42:43] op_sel_hi:[1,0,1]
	ds_load_b128 v[40:43], v50 offset:96
	ds_load_b128 v[44:47], v50 offset:2144
	ds_load_2addr_b32 v[74:75], v25 offset1:16
	s_wait_dscnt 0x6
	v_pk_fma_f32 v[68:69], v[64:65], v[56:57], v[68:69] op_sel_hi:[1,0,1]
	ds_load_2addr_b32 v[76:77], v25 offset0:96 offset1:112
	v_pk_fma_f32 v[64:65], v[64:65], v[60:61], v[70:71] op_sel_hi:[1,0,1]
	ds_load_2addr_b32 v[70:71], v25 offset0:32 offset1:48
	s_wait_dscnt 0x7
	v_pk_fma_f32 v[56:57], v[72:73], v[56:57], v[68:69] op_sel:[0,1,0]
	v_mov_b32_e32 v68, v59
	v_pk_fma_f32 v[60:61], v[72:73], v[60:61], v[64:65] op_sel:[0,1,0]
	ds_load_2addr_b32 v[64:65], v25 offset0:64 offset1:80
	v_mov_b32_e32 v72, v63
	s_wait_dscnt 0x7
	v_pk_fma_f32 v[56:57], v[48:49], v[58:59], v[56:57] op_sel_hi:[1,0,1]
	v_pk_fma_f32 v[48:49], v[48:49], v[62:63], v[60:61] op_sel_hi:[1,0,1]
	s_wait_dscnt 0x6
	s_delay_alu instid0(VALU_DEP_2) | instskip(NEXT) | instid1(VALU_DEP_2)
	v_pk_fma_f32 v[68:69], v[66:67], v[68:69], v[56:57] op_sel_hi:[1,0,1]
	v_pk_fma_f32 v[48:49], v[66:67], v[72:73], v[48:49] op_sel_hi:[1,0,1]
	ds_load_b128 v[56:59], v50 offset:112
	ds_load_b128 v[60:63], v50 offset:2160
	ds_load_2addr_b32 v[66:67], v25 offset0:128 offset1:144
	ds_load_2addr_b32 v[72:73], v25 offset0:160 offset1:176
	s_wait_dscnt 0x7
	v_pk_fma_f32 v[68:69], v[74:75], v[40:41], v[68:69] op_sel_hi:[1,0,1]
	v_pk_fma_f32 v[48:49], v[74:75], v[44:45], v[48:49] op_sel_hi:[1,0,1]
	s_wait_dscnt 0x5
	s_delay_alu instid0(VALU_DEP_2) | instskip(SKIP_1) | instid1(VALU_DEP_3)
	v_pk_fma_f32 v[40:41], v[70:71], v[40:41], v[68:69] op_sel:[0,1,0]
	v_mov_b32_e32 v68, v43
	v_pk_fma_f32 v[44:45], v[70:71], v[44:45], v[48:49] op_sel:[0,1,0]
	ds_load_2addr_b32 v[48:49], v25 offset0:192 offset1:208
	v_mov_b32_e32 v70, v47
	s_wait_dscnt 0x5
	v_pk_fma_f32 v[40:41], v[64:65], v[42:43], v[40:41] op_sel_hi:[1,0,1]
	v_pk_fma_f32 v[42:43], v[64:65], v[46:47], v[44:45] op_sel_hi:[1,0,1]
	ds_load_2addr_b32 v[44:45], v25 offset0:224 offset1:240
	s_wait_dscnt 0x0
	v_pk_fma_f32 v[40:41], v[76:77], v[68:69], v[40:41] op_sel_hi:[1,0,1]
	v_mov_b32_e32 v46, v59
	v_pk_fma_f32 v[42:43], v[76:77], v[70:71], v[42:43] op_sel_hi:[1,0,1]
	s_barrier_signal -1
	s_barrier_wait -1
	v_pk_fma_f32 v[40:41], v[66:67], v[56:57], v[40:41] op_sel_hi:[1,0,1]
	s_delay_alu instid0(VALU_DEP_2) | instskip(NEXT) | instid1(VALU_DEP_2)
	v_pk_fma_f32 v[42:43], v[66:67], v[60:61], v[42:43] op_sel_hi:[1,0,1]
	v_pk_fma_f32 v[40:41], v[72:73], v[56:57], v[40:41] op_sel:[0,1,0]
	v_mov_b32_e32 v56, v63
	s_delay_alu instid0(VALU_DEP_3) | instskip(NEXT) | instid1(VALU_DEP_3)
	v_pk_fma_f32 v[42:43], v[72:73], v[60:61], v[42:43] op_sel:[0,1,0]
	v_pk_fma_f32 v[40:41], v[48:49], v[58:59], v[40:41] op_sel_hi:[1,0,1]
	s_delay_alu instid0(VALU_DEP_2) | instskip(NEXT) | instid1(VALU_DEP_2)
	v_pk_fma_f32 v[48:49], v[48:49], v[62:63], v[42:43] op_sel_hi:[1,0,1]
	v_pk_fma_f32 v[42:43], v[44:45], v[46:47], v[40:41] op_sel_hi:[1,0,1]
	s_delay_alu instid0(VALU_DEP_2)
	v_pk_fma_f32 v[40:41], v[44:45], v[56:57], v[48:49] op_sel_hi:[1,0,1]
	s_cbranch_scc1 .LBB16_47
.LBB16_11:                              ;   Parent Loop BB16_4 Depth=1
                                        ;     Parent Loop BB16_8 Depth=2
                                        ; =>    This Inner Loop Header: Depth=3
	v_add_nc_u64_e32 v[46:47], s[36:37], v[2:3]
	v_cmp_eq_u64_e64 s7, s[36:37], v[34:35]
	v_add_nc_u64_e32 v[44:45], v[30:31], v[38:39]
                                        ; implicit-def: $vgpr25
	s_delay_alu instid0(VALU_DEP_3) | instskip(SKIP_3) | instid1(SALU_CYCLE_1)
	v_cmp_gt_i64_e64 s5, v[46:47], v[26:27]
	v_cmp_le_i64_e64 s6, s[40:41], v[46:47]
	s_and_b32 s51, s46, s7
	s_or_b32 s7, vcc_lo, s5
	s_or_b32 s7, s7, s51
	s_delay_alu instid0(SALU_CYCLE_1) | instskip(NEXT) | instid1(SALU_CYCLE_1)
	s_nor_b32 s7, s6, s7
	s_and_saveexec_b32 s8, s7
	s_delay_alu instid0(SALU_CYCLE_1)
	s_xor_b32 s7, exec_lo, s8
	s_cbranch_execz .LBB16_13
; %bb.12:                               ;   in Loop: Header=BB16_11 Depth=3
	global_load_b32 v25, v[44:45], off
.LBB16_13:                              ;   in Loop: Header=BB16_11 Depth=3
	s_wait_xcnt 0x0
	s_and_not1_saveexec_b32 s7, s7
	s_cbranch_execz .LBB16_15
; %bb.14:                               ;   in Loop: Header=BB16_11 Depth=3
	s_wait_loadcnt 0x0
	v_cndmask_b32_e64 v25, 0, 1.0, s51
.LBB16_15:                              ;   in Loop: Header=BB16_11 Depth=3
	s_or_b32 exec_lo, exec_lo, s7
	v_add_nc_u64_e32 v[48:49], -16, v[34:35]
	v_add_nc_u64_e32 v[56:57], 16, v[46:47]
	s_wait_loadcnt 0x0
	ds_store_b32 v52, v25
	v_cmp_eq_u64_e64 s8, s[36:37], v[48:49]
	v_cmp_gt_i64_e64 s9, v[56:57], v[26:27]
	v_cmp_le_i64_e64 s7, s[40:41], v[56:57]
	v_add_nc_u64_e32 v[48:49], v[32:33], v[38:39]
	s_and_b32 s52, s46, s8
	s_or_b32 s8, vcc_lo, s9
	s_delay_alu instid0(SALU_CYCLE_1) | instskip(NEXT) | instid1(SALU_CYCLE_1)
	s_or_b32 s8, s8, s52
	s_nor_b32 s8, s7, s8
	s_delay_alu instid0(SALU_CYCLE_1) | instskip(NEXT) | instid1(SALU_CYCLE_1)
	s_and_saveexec_b32 s9, s8
	s_xor_b32 s8, exec_lo, s9
	s_cbranch_execz .LBB16_17
; %bb.16:                               ;   in Loop: Header=BB16_11 Depth=3
	global_load_b32 v25, v[48:49], off
	s_wait_loadcnt 0x0
	ds_store_b32 v52, v25 offset:64
.LBB16_17:                              ;   in Loop: Header=BB16_11 Depth=3
	s_wait_xcnt 0x0
	s_and_not1_saveexec_b32 s8, s8
	s_cbranch_execz .LBB16_23
; %bb.18:                               ;   in Loop: Header=BB16_11 Depth=3
	s_xor_b32 s9, s52, -1
	s_delay_alu instid0(SALU_CYCLE_1) | instskip(NEXT) | instid1(SALU_CYCLE_1)
	s_and_saveexec_b32 s52, s9
	s_xor_b32 s9, exec_lo, s52
; %bb.19:                               ;   in Loop: Header=BB16_11 Depth=3
	ds_store_b32 v52, v3 offset:64
; %bb.20:                               ;   in Loop: Header=BB16_11 Depth=3
	s_and_not1_saveexec_b32 s9, s9
; %bb.21:                               ;   in Loop: Header=BB16_11 Depth=3
	ds_store_b32 v52, v54 offset:64
; %bb.22:                               ;   in Loop: Header=BB16_11 Depth=3
	s_or_b32 exec_lo, exec_lo, s9
.LBB16_23:                              ;   in Loop: Header=BB16_11 Depth=3
	s_delay_alu instid0(SALU_CYCLE_1) | instskip(SKIP_2) | instid1(VALU_DEP_2)
	s_or_b32 exec_lo, exec_lo, s8
	v_add_nc_u64_e32 v[56:57], 16, v[34:35]
	v_cmp_gt_i64_e64 s9, v[46:47], v[28:29]
                                        ; implicit-def: $vgpr25
	v_cmp_eq_u64_e64 s8, s[36:37], v[56:57]
	s_or_b32 s9, s4, s9
	s_and_b32 s8, s46, s8
	s_delay_alu instid0(SALU_CYCLE_1) | instskip(NEXT) | instid1(SALU_CYCLE_1)
	s_or_b32 s9, s9, s8
	s_nor_b32 s6, s6, s9
	s_delay_alu instid0(SALU_CYCLE_1) | instskip(NEXT) | instid1(SALU_CYCLE_1)
	s_and_saveexec_b32 s9, s6
	s_xor_b32 s6, exec_lo, s9
	s_cbranch_execz .LBB16_25
; %bb.24:                               ;   in Loop: Header=BB16_11 Depth=3
	global_load_b32 v25, v[44:45], off offset:64
.LBB16_25:                              ;   in Loop: Header=BB16_11 Depth=3
	s_wait_xcnt 0x0
	s_and_not1_saveexec_b32 s6, s6
	s_cbranch_execz .LBB16_27
; %bb.26:                               ;   in Loop: Header=BB16_11 Depth=3
	s_wait_loadcnt 0x0
	v_cndmask_b32_e64 v25, 0, 1.0, s8
.LBB16_27:                              ;   in Loop: Header=BB16_11 Depth=3
	s_or_b32 exec_lo, exec_lo, s6
	s_or_b32 s5, s4, s5
	s_wait_loadcnt 0x0
	ds_store_b32 v52, v25 offset:2048
	s_or_b32 s5, s5, s51
	s_delay_alu instid0(SALU_CYCLE_1) | instskip(NEXT) | instid1(SALU_CYCLE_1)
	s_nor_b32 s5, s7, s5
	s_and_saveexec_b32 s6, s5
	s_delay_alu instid0(SALU_CYCLE_1)
	s_xor_b32 s5, exec_lo, s6
	s_cbranch_execz .LBB16_29
; %bb.28:                               ;   in Loop: Header=BB16_11 Depth=3
	global_load_b32 v25, v[48:49], off offset:64
	s_wait_loadcnt 0x0
	ds_store_b32 v52, v25 offset:2112
.LBB16_29:                              ;   in Loop: Header=BB16_11 Depth=3
	s_wait_xcnt 0x0
	s_and_not1_saveexec_b32 s5, s5
	s_cbranch_execz .LBB16_35
; %bb.30:                               ;   in Loop: Header=BB16_11 Depth=3
	s_xor_b32 s6, s51, -1
	s_delay_alu instid0(SALU_CYCLE_1) | instskip(NEXT) | instid1(SALU_CYCLE_1)
	s_and_saveexec_b32 s7, s6
	s_xor_b32 s6, exec_lo, s7
; %bb.31:                               ;   in Loop: Header=BB16_11 Depth=3
	ds_store_b32 v52, v3 offset:2112
; %bb.32:                               ;   in Loop: Header=BB16_11 Depth=3
	s_and_not1_saveexec_b32 s6, s6
; %bb.33:                               ;   in Loop: Header=BB16_11 Depth=3
	ds_store_b32 v52, v54 offset:2112
; %bb.34:                               ;   in Loop: Header=BB16_11 Depth=3
	s_or_b32 exec_lo, exec_lo, s6
.LBB16_35:                              ;   in Loop: Header=BB16_11 Depth=3
	s_delay_alu instid0(SALU_CYCLE_1) | instskip(SKIP_3) | instid1(VALU_DEP_3)
	s_or_b32 exec_lo, exec_lo, s5
	v_add_nc_u64_e32 v[44:45], s[36:37], v[0:1]
	v_add_nc_u64_e32 v[46:47], v[36:37], v[12:13]
	v_mov_b32_e32 v25, 0
	v_cmp_le_i64_e64 s5, s[40:41], v[44:45]
	s_nor_b32 s7, s5, s0
	s_delay_alu instid0(SALU_CYCLE_1)
	s_and_saveexec_b32 s6, s7
	s_cbranch_execz .LBB16_37
; %bb.36:                               ;   in Loop: Header=BB16_11 Depth=3
	global_load_b32 v25, v[46:47], off offset:-64
.LBB16_37:                              ;   in Loop: Header=BB16_11 Depth=3
	s_wait_xcnt 0x0
	s_or_b32 exec_lo, exec_lo, s6
	s_nor_b32 s5, s5, s1
	s_wait_loadcnt 0x0
	ds_store_b32 v53, v25
	s_and_saveexec_b32 s6, s5
	s_delay_alu instid0(SALU_CYCLE_1)
	s_xor_b32 s5, exec_lo, s6
	s_cbranch_execz .LBB16_39
; %bb.38:                               ;   in Loop: Header=BB16_11 Depth=3
	global_load_b32 v25, v[46:47], off
	s_wait_loadcnt 0x0
	ds_store_b32 v53, v25 offset:64
.LBB16_39:                              ;   in Loop: Header=BB16_11 Depth=3
	s_wait_xcnt 0x0
	s_and_not1_saveexec_b32 s5, s5
; %bb.40:                               ;   in Loop: Header=BB16_11 Depth=3
	ds_store_b32 v53, v3 offset:64
; %bb.41:                               ;   in Loop: Header=BB16_11 Depth=3
	s_or_b32 exec_lo, exec_lo, s5
	v_cmp_le_i64_e64 s5, s[20:21], v[44:45]
	v_add_nc_u64_e32 v[44:45], v[36:37], v[6:7]
	v_mov_b32_e32 v25, 0
	s_nor_b32 s7, s5, s0
	s_delay_alu instid0(SALU_CYCLE_1)
	s_and_saveexec_b32 s6, s7
	s_cbranch_execz .LBB16_43
; %bb.42:                               ;   in Loop: Header=BB16_11 Depth=3
	global_load_b32 v25, v[44:45], off offset:-64
.LBB16_43:                              ;   in Loop: Header=BB16_11 Depth=3
	s_wait_xcnt 0x0
	s_or_b32 exec_lo, exec_lo, s6
	s_nor_b32 s5, s5, s1
	s_wait_loadcnt 0x0
	ds_store_b32 v53, v25 offset:2048
	s_and_saveexec_b32 s6, s5
	s_delay_alu instid0(SALU_CYCLE_1)
	s_xor_b32 s5, exec_lo, s6
	s_cbranch_execz .LBB16_45
; %bb.44:                               ;   in Loop: Header=BB16_11 Depth=3
	global_load_b32 v25, v[44:45], off
	s_wait_loadcnt 0x0
	ds_store_b32 v53, v25 offset:2112
.LBB16_45:                              ;   in Loop: Header=BB16_11 Depth=3
	s_wait_xcnt 0x0
	s_and_not1_saveexec_b32 s5, s5
	s_cbranch_execz .LBB16_10
; %bb.46:                               ;   in Loop: Header=BB16_11 Depth=3
	ds_store_b32 v53, v3 offset:2112
	s_branch .LBB16_10
.LBB16_47:                              ;   in Loop: Header=BB16_8 Depth=2
	s_delay_alu instid0(VALU_DEP_1) | instskip(SKIP_2) | instid1(VALU_DEP_2)
	v_mul_u64_e32 v[28:29], s[28:29], v[26:27]
	v_cmp_gt_i32_e32 vcc_lo, s38, v26
	s_and_b32 s5, s2, vcc_lo
	v_lshl_add_u64 v[28:29], v[28:29], 2, s[26:27]
	s_and_saveexec_b32 s4, s5
	s_cbranch_execz .LBB16_49
; %bb.48:                               ;   in Loop: Header=BB16_8 Depth=2
	s_delay_alu instid0(VALU_DEP_1)
	v_lshl_add_u64 v[30:31], v[4:5], 2, v[28:29]
	global_load_b32 v25, v[30:31], off
	s_wait_loadcnt 0x0
	v_fmac_f32_e32 v25, v55, v42
	global_store_b32 v[30:31], v25, off
.LBB16_49:                              ;   in Loop: Header=BB16_8 Depth=2
	s_wait_xcnt 0x0
	s_or_b32 exec_lo, exec_lo, s4
	s_and_b32 s5, s3, vcc_lo
	s_delay_alu instid0(SALU_CYCLE_1)
	s_and_saveexec_b32 s4, s5
	s_cbranch_execz .LBB16_51
; %bb.50:                               ;   in Loop: Header=BB16_8 Depth=2
	v_lshl_add_u64 v[28:29], v[10:11], 2, v[28:29]
	global_load_b32 v25, v[28:29], off
	s_wait_loadcnt 0x0
	v_fmac_f32_e32 v25, v55, v43
	global_store_b32 v[28:29], v25, off
.LBB16_51:                              ;   in Loop: Header=BB16_8 Depth=2
	s_wait_xcnt 0x0
	s_or_b32 exec_lo, exec_lo, s4
	v_add_nc_u32_e32 v26, 16, v26
	s_delay_alu instid0(VALU_DEP_1) | instskip(SKIP_1) | instid1(VALU_DEP_2)
	v_ashrrev_i32_e32 v27, 31, v26
	v_cmp_gt_i32_e32 vcc_lo, s38, v26
	v_mul_u64_e32 v[28:29], s[28:29], v[26:27]
	s_and_b32 s5, s2, vcc_lo
	s_delay_alu instid0(VALU_DEP_1)
	v_lshl_add_u64 v[26:27], v[28:29], 2, s[26:27]
	s_and_saveexec_b32 s4, s5
	s_cbranch_execz .LBB16_53
; %bb.52:                               ;   in Loop: Header=BB16_8 Depth=2
	s_delay_alu instid0(VALU_DEP_1)
	v_lshl_add_u64 v[28:29], v[4:5], 2, v[26:27]
	global_load_b32 v25, v[28:29], off
	s_wait_loadcnt 0x0
	v_fmac_f32_e32 v25, v55, v40
	global_store_b32 v[28:29], v25, off
.LBB16_53:                              ;   in Loop: Header=BB16_8 Depth=2
	s_wait_xcnt 0x0
	s_or_b32 exec_lo, exec_lo, s4
	s_and_b32 s5, s3, vcc_lo
	s_delay_alu instid0(SALU_CYCLE_1)
	s_and_saveexec_b32 s4, s5
	s_cbranch_execz .LBB16_7
; %bb.54:                               ;   in Loop: Header=BB16_8 Depth=2
	v_lshl_add_u64 v[26:27], v[10:11], 2, v[26:27]
	global_load_b32 v25, v[26:27], off
	s_wait_loadcnt 0x0
	v_fmac_f32_e32 v25, v55, v41
	global_store_b32 v[26:27], v25, off
	s_branch .LBB16_7
.LBB16_55:
	s_sendmsg sendmsg(MSG_DEALLOC_VGPRS)
	s_endpgm
	.section	.rodata,"a",@progbits
	.p2align	6, 0x0
	.amdhsa_kernel _ZL30rocblas_trmm_outofplace_kernelIfLi32ELi2ELb0ELb0ELb1ELb0EPKfS0_fEv17rocblas_diagonal_iiT6_lPT7_lllS5_lllPT8_llli
		.amdhsa_group_segment_fixed_size 8192
		.amdhsa_private_segment_fixed_size 0
		.amdhsa_kernarg_size 392
		.amdhsa_user_sgpr_count 2
		.amdhsa_user_sgpr_dispatch_ptr 0
		.amdhsa_user_sgpr_queue_ptr 0
		.amdhsa_user_sgpr_kernarg_segment_ptr 1
		.amdhsa_user_sgpr_dispatch_id 0
		.amdhsa_user_sgpr_kernarg_preload_length 0
		.amdhsa_user_sgpr_kernarg_preload_offset 0
		.amdhsa_user_sgpr_private_segment_size 0
		.amdhsa_wavefront_size32 1
		.amdhsa_uses_dynamic_stack 0
		.amdhsa_enable_private_segment 0
		.amdhsa_system_sgpr_workgroup_id_x 1
		.amdhsa_system_sgpr_workgroup_id_y 1
		.amdhsa_system_sgpr_workgroup_id_z 1
		.amdhsa_system_sgpr_workgroup_info 0
		.amdhsa_system_vgpr_workitem_id 1
		.amdhsa_next_free_vgpr 79
		.amdhsa_next_free_sgpr 53
		.amdhsa_named_barrier_count 0
		.amdhsa_reserve_vcc 1
		.amdhsa_float_round_mode_32 0
		.amdhsa_float_round_mode_16_64 0
		.amdhsa_float_denorm_mode_32 3
		.amdhsa_float_denorm_mode_16_64 3
		.amdhsa_fp16_overflow 0
		.amdhsa_memory_ordered 1
		.amdhsa_forward_progress 1
		.amdhsa_inst_pref_size 25
		.amdhsa_round_robin_scheduling 0
		.amdhsa_exception_fp_ieee_invalid_op 0
		.amdhsa_exception_fp_denorm_src 0
		.amdhsa_exception_fp_ieee_div_zero 0
		.amdhsa_exception_fp_ieee_overflow 0
		.amdhsa_exception_fp_ieee_underflow 0
		.amdhsa_exception_fp_ieee_inexact 0
		.amdhsa_exception_int_div_zero 0
	.end_amdhsa_kernel
	.section	.text._ZL30rocblas_trmm_outofplace_kernelIfLi32ELi2ELb0ELb0ELb1ELb0EPKfS0_fEv17rocblas_diagonal_iiT6_lPT7_lllS5_lllPT8_llli,"axG",@progbits,_ZL30rocblas_trmm_outofplace_kernelIfLi32ELi2ELb0ELb0ELb1ELb0EPKfS0_fEv17rocblas_diagonal_iiT6_lPT7_lllS5_lllPT8_llli,comdat
.Lfunc_end16:
	.size	_ZL30rocblas_trmm_outofplace_kernelIfLi32ELi2ELb0ELb0ELb1ELb0EPKfS0_fEv17rocblas_diagonal_iiT6_lPT7_lllS5_lllPT8_llli, .Lfunc_end16-_ZL30rocblas_trmm_outofplace_kernelIfLi32ELi2ELb0ELb0ELb1ELb0EPKfS0_fEv17rocblas_diagonal_iiT6_lPT7_lllS5_lllPT8_llli
                                        ; -- End function
	.set _ZL30rocblas_trmm_outofplace_kernelIfLi32ELi2ELb0ELb0ELb1ELb0EPKfS0_fEv17rocblas_diagonal_iiT6_lPT7_lllS5_lllPT8_llli.num_vgpr, 79
	.set _ZL30rocblas_trmm_outofplace_kernelIfLi32ELi2ELb0ELb0ELb1ELb0EPKfS0_fEv17rocblas_diagonal_iiT6_lPT7_lllS5_lllPT8_llli.num_agpr, 0
	.set _ZL30rocblas_trmm_outofplace_kernelIfLi32ELi2ELb0ELb0ELb1ELb0EPKfS0_fEv17rocblas_diagonal_iiT6_lPT7_lllS5_lllPT8_llli.numbered_sgpr, 53
	.set _ZL30rocblas_trmm_outofplace_kernelIfLi32ELi2ELb0ELb0ELb1ELb0EPKfS0_fEv17rocblas_diagonal_iiT6_lPT7_lllS5_lllPT8_llli.num_named_barrier, 0
	.set _ZL30rocblas_trmm_outofplace_kernelIfLi32ELi2ELb0ELb0ELb1ELb0EPKfS0_fEv17rocblas_diagonal_iiT6_lPT7_lllS5_lllPT8_llli.private_seg_size, 0
	.set _ZL30rocblas_trmm_outofplace_kernelIfLi32ELi2ELb0ELb0ELb1ELb0EPKfS0_fEv17rocblas_diagonal_iiT6_lPT7_lllS5_lllPT8_llli.uses_vcc, 1
	.set _ZL30rocblas_trmm_outofplace_kernelIfLi32ELi2ELb0ELb0ELb1ELb0EPKfS0_fEv17rocblas_diagonal_iiT6_lPT7_lllS5_lllPT8_llli.uses_flat_scratch, 0
	.set _ZL30rocblas_trmm_outofplace_kernelIfLi32ELi2ELb0ELb0ELb1ELb0EPKfS0_fEv17rocblas_diagonal_iiT6_lPT7_lllS5_lllPT8_llli.has_dyn_sized_stack, 0
	.set _ZL30rocblas_trmm_outofplace_kernelIfLi32ELi2ELb0ELb0ELb1ELb0EPKfS0_fEv17rocblas_diagonal_iiT6_lPT7_lllS5_lllPT8_llli.has_recursion, 0
	.set _ZL30rocblas_trmm_outofplace_kernelIfLi32ELi2ELb0ELb0ELb1ELb0EPKfS0_fEv17rocblas_diagonal_iiT6_lPT7_lllS5_lllPT8_llli.has_indirect_call, 0
	.section	.AMDGPU.csdata,"",@progbits
; Kernel info:
; codeLenInByte = 3096
; TotalNumSgprs: 55
; NumVgprs: 79
; ScratchSize: 0
; MemoryBound: 0
; FloatMode: 240
; IeeeMode: 1
; LDSByteSize: 8192 bytes/workgroup (compile time only)
; SGPRBlocks: 0
; VGPRBlocks: 4
; NumSGPRsForWavesPerEU: 55
; NumVGPRsForWavesPerEU: 79
; NamedBarCnt: 0
; Occupancy: 12
; WaveLimiterHint : 0
; COMPUTE_PGM_RSRC2:SCRATCH_EN: 0
; COMPUTE_PGM_RSRC2:USER_SGPR: 2
; COMPUTE_PGM_RSRC2:TRAP_HANDLER: 0
; COMPUTE_PGM_RSRC2:TGID_X_EN: 1
; COMPUTE_PGM_RSRC2:TGID_Y_EN: 1
; COMPUTE_PGM_RSRC2:TGID_Z_EN: 1
; COMPUTE_PGM_RSRC2:TIDIG_COMP_CNT: 1
	.section	.text._ZL30rocblas_trmm_outofplace_kernelIfLi32ELi2ELb0ELb0ELb1ELb0EfKffEv17rocblas_diagonal_iiT6_lPT7_lllS4_lllPT8_llli,"axG",@progbits,_ZL30rocblas_trmm_outofplace_kernelIfLi32ELi2ELb0ELb0ELb1ELb0EfKffEv17rocblas_diagonal_iiT6_lPT7_lllS4_lllPT8_llli,comdat
	.globl	_ZL30rocblas_trmm_outofplace_kernelIfLi32ELi2ELb0ELb0ELb1ELb0EfKffEv17rocblas_diagonal_iiT6_lPT7_lllS4_lllPT8_llli ; -- Begin function _ZL30rocblas_trmm_outofplace_kernelIfLi32ELi2ELb0ELb0ELb1ELb0EfKffEv17rocblas_diagonal_iiT6_lPT7_lllS4_lllPT8_llli
	.p2align	8
	.type	_ZL30rocblas_trmm_outofplace_kernelIfLi32ELi2ELb0ELb0ELb1ELb0EfKffEv17rocblas_diagonal_iiT6_lPT7_lllS4_lllPT8_llli,@function
_ZL30rocblas_trmm_outofplace_kernelIfLi32ELi2ELb0ELb0ELb1ELb0EfKffEv17rocblas_diagonal_iiT6_lPT7_lllS4_lllPT8_llli: ; @_ZL30rocblas_trmm_outofplace_kernelIfLi32ELi2ELb0ELb0ELb1ELb0EfKffEv17rocblas_diagonal_iiT6_lPT7_lllS4_lllPT8_llli
; %bb.0:
	s_load_b32 s33, s[0:1], 0x78
	s_bfe_u32 s2, ttmp6, 0x40014
	s_lshr_b32 s3, ttmp7, 16
	s_add_co_i32 s2, s2, 1
	s_bfe_u32 s5, ttmp6, 0x40008
	s_mul_i32 s4, s3, s2
	s_getreg_b32 s2, hwreg(HW_REG_IB_STS2, 6, 4)
	s_add_co_i32 s5, s5, s4
	s_cmp_eq_u32 s2, 0
	s_cselect_b32 s34, s3, s5
	s_wait_kmcnt 0x0
	s_cmp_ge_u32 s34, s33
	s_cbranch_scc1 .LBB17_54
; %bb.1:
	s_load_b128 s[28:31], s[0:1], 0x0
	s_wait_kmcnt 0x0
	s_cmp_eq_f32 s31, 0
	s_cbranch_scc1 .LBB17_54
; %bb.2:
	s_add_co_i32 s3, s30, -1
	s_bfe_u32 s22, ttmp6, 0x4000c
	s_ashr_i32 s20, s3, 31
	s_load_b512 s[4:19], s[0:1], 0x18
	s_lshr_b32 s20, s20, 27
	s_add_co_i32 s22, s22, 1
	s_add_co_i32 s3, s3, s20
	s_and_b32 s20, ttmp7, 0xffff
	s_ashr_i32 s42, s3, 5
	s_bfe_u32 s3, ttmp6, 0x40010
	s_and_b32 s21, ttmp6, 15
	s_add_co_i32 s3, s3, 1
	s_mul_i32 s22, ttmp9, s22
	s_mul_i32 s3, s20, s3
	s_bfe_u32 s23, ttmp6, 0x40004
	s_add_co_i32 s21, s21, s22
	s_add_co_i32 s23, s23, s3
	v_and_b32_e32 v2, 0x3ff, v0
	s_cmp_eq_u32 s2, 0
	v_bfe_u32 v0, v0, 10, 10
	s_cselect_b32 s2, ttmp9, s21
	s_cselect_b32 s43, s20, s23
	v_lshl_add_u32 v4, s2, 5, v2
	v_dual_mov_b32 v3, 0 :: v_dual_lshlrev_b32 v8, 2, v2
	s_load_b256 s[20:27], s[0:1], 0x58
	s_cmp_le_i32 s43, s42
	s_delay_alu instid0(VALU_DEP_1)
	v_dual_ashrrev_i32 v5, 31, v4 :: v_dual_mov_b32 v1, v3
	v_dual_mov_b32 v7, v3 :: v_dual_lshlrev_b32 v6, 2, v0
	s_wait_kmcnt 0x0
	v_mul_u64_e32 v[16:17], s[8:9], v[2:3]
	s_cselect_b32 s44, -1, 0
	v_mul_u64_e32 v[12:13], s[16:17], v[0:1]
	s_cmp_eq_u32 s28, 0x84
	v_add_nc_u64_e32 v[6:7], 64, v[6:7]
	s_cselect_b32 s28, -1, 0
	s_ashr_i32 s3, s29, 31
	s_mov_b32 s2, s29
	v_dual_add_nc_u32 v18, 64, v8 :: v_dual_mov_b32 v54, 1.0
	v_add_nc_u32_e32 v10, 16, v4
	s_delay_alu instid0(VALU_DEP_3)
	v_mul_u64_e32 v[6:7], s[16:17], v[6:7]
	v_lshlrev_b32_e32 v50, 7, v0
	v_sub_nc_u64_e32 v[14:15], s[2:3], v[4:5]
	s_lshl_b64 s[2:3], s[6:7], 2
	v_or_b32_e32 v51, 0x1000, v8
	s_add_nc_u64 s[4:5], s[4:5], s[2:3]
	v_dual_ashrrev_i32 v11, 31, v10 :: v_dual_add_nc_u32 v52, v50, v8
	v_mad_nc_u64_u32 v[8:9], s8, v18, s[4:5]
	s_lshl_b64 s[2:3], s[14:15], 2
	s_add_nc_u64 s[40:41], s[0:1], 0x80
	s_lshl_b64 s[0:1], s[22:23], 2
	s_add_nc_u64 s[6:7], s[12:13], s[2:3]
	s_add_nc_u64 s[20:21], s[20:21], s[0:1]
	v_cmp_gt_i64_e64 s0, 1, v[14:15]
	v_cmp_gt_i64_e64 s1, 17, v[14:15]
	v_lshl_add_u64 v[14:15], v[4:5], 2, s[6:7]
	v_add_nc_u32_e32 v53, v51, v50
	v_cmp_gt_i32_e64 s2, s29, v4
	v_mad_u32 v9, s9, v18, v9
	v_cmp_gt_i32_e64 s3, s29, v10
	v_add_nc_u64_e32 v[14:15], 64, v[14:15]
	v_lshl_add_u64 v[16:17], v[16:17], 2, s[4:5]
	v_lshlrev_b64_e32 v[12:13], 2, v[12:13]
	v_add_nc_u32_e32 v55, 0x400, v51
	s_ashr_i32 s37, s30, 31
	s_mov_b32 s36, s30
	s_mov_b32 s35, 0
	s_lshl_b64 s[38:39], s[8:9], 7
	s_lshl_b64 s[16:17], s[16:17], 7
	s_add_nc_u64 s[12:13], s[36:37], -16
	s_lshl_b64 s[14:15], s[18:19], 2
	s_lshl_b64 s[10:11], s[10:11], 2
	s_branch .LBB17_4
.LBB17_3:                               ;   in Loop: Header=BB17_4 Depth=1
	s_add_co_i32 s34, s34, 0x10000
	s_delay_alu instid0(SALU_CYCLE_1)
	s_cmp_ge_u32 s34, s33
	s_cbranch_scc1 .LBB17_54
.LBB17_4:                               ; =>This Loop Header: Depth=1
                                        ;     Child Loop BB17_7 Depth 2
                                        ;       Child Loop BB17_10 Depth 3
	s_and_not1_b32 vcc_lo, exec_lo, s44
	s_cbranch_vccnz .LBB17_3
; %bb.5:                                ;   in Loop: Header=BB17_4 Depth=1
	s_load_b32 s29, s[40:41], 0x4
	v_mad_nc_u64_u32 v[18:19], s14, s34, v[14:15]
	v_mad_nc_u64_u32 v[20:21], s10, s34, v[8:9]
	;; [unrolled: 1-line block ×3, first 2 shown]
	s_mul_i32 s6, s11, s34
	s_mul_u64 s[4:5], s[26:27], s[34:35]
	v_lshl_add_u32 v24, s43, 5, v0
	s_lshl_b64 s[4:5], s[4:5], 2
	s_mov_b32 s46, s43
	s_add_nc_u64 s[18:19], s[20:21], s[4:5]
	s_delay_alu instid0(VALU_DEP_4) | instskip(NEXT) | instid1(VALU_DEP_3)
	v_mad_u32 v19, s15, s34, v19
	v_dual_add_nc_u32 v21, s6, v21 :: v_dual_add_nc_u32 v23, s6, v23
	s_wait_kmcnt 0x0
	s_lshl_b32 s45, s29, 5
	s_branch .LBB17_7
.LBB17_6:                               ;   in Loop: Header=BB17_7 Depth=2
	s_wait_xcnt 0x0
	s_or_b32 exec_lo, exec_lo, s4
	v_add_nc_u32_e32 v24, s45, v24
	s_add_co_i32 s46, s29, s46
	s_delay_alu instid0(SALU_CYCLE_1)
	s_cmp_gt_i32 s46, s42
	s_cbranch_scc1 .LBB17_3
.LBB17_7:                               ;   Parent Loop BB17_4 Depth=1
                                        ; =>  This Loop Header: Depth=2
                                        ;       Child Loop BB17_10 Depth 3
	s_lshl_b32 s47, s46, 5
	s_delay_alu instid0(SALU_CYCLE_1) | instskip(SKIP_1) | instid1(VALU_DEP_1)
	v_dual_mov_b32 v43, 0 :: v_dual_add_nc_u32 v26, s47, v0
	s_cmp_lt_i32 s46, 0
	v_dual_mov_b32 v42, v43 :: v_dual_mov_b32 v41, v43
	s_delay_alu instid0(VALU_DEP_2)
	v_dual_mov_b32 v40, v43 :: v_dual_ashrrev_i32 v27, 31, v26
	s_cbranch_scc1 .LBB17_46
; %bb.8:                                ;   in Loop: Header=BB17_7 Depth=2
	v_sub_nc_u64_e32 v[34:35], 0, v[2:3]
	s_delay_alu instid0(VALU_DEP_2) | instskip(SKIP_4) | instid1(VALU_DEP_4)
	v_add_nc_u64_e32 v[28:29], 16, v[26:27]
	v_dual_mov_b32 v40, 0 :: v_dual_ashrrev_i32 v25, 31, v24
	v_mov_b64_e32 v[30:31], v[22:23]
	v_mov_b64_e32 v[32:33], v[20:21]
	;; [unrolled: 1-line block ×3, first 2 shown]
	v_add_nc_u64_e32 v[34:35], v[34:35], v[24:25]
	v_lshlrev_b64_e32 v[38:39], 2, v[24:25]
	v_cmp_le_i64_e64 s4, s[36:37], v[28:29]
	v_dual_mov_b32 v41, v40 :: v_dual_mov_b32 v42, v40
	v_mov_b32_e32 v43, v40
	s_mov_b64 s[22:23], 0
	v_cmp_le_i32_e32 vcc_lo, s30, v26
	s_branch .LBB17_10
.LBB17_9:                               ;   in Loop: Header=BB17_10 Depth=3
	s_or_b32 exec_lo, exec_lo, s5
	s_wait_dscnt 0x0
	s_barrier_signal -1
	s_barrier_wait -1
	ds_load_b128 v[44:47], v50
	ds_load_2addr_b32 v[48:49], v51 offset1:16
	ds_load_b128 v[56:59], v50 offset:2048
	ds_load_2addr_b32 v[68:69], v51 offset0:32 offset1:48
	ds_load_2addr_b32 v[70:71], v51 offset0:64 offset1:80
	;; [unrolled: 1-line block ×3, first 2 shown]
	ds_load_b128 v[60:63], v50 offset:16
	ds_load_2addr_b32 v[74:75], v51 offset0:128 offset1:144
	ds_load_b128 v[64:67], v50 offset:2064
	v_add_nc_u32_e32 v78, 0xc00, v51
	v_add_nc_u64_e32 v[36:37], s[16:17], v[36:37]
	v_add_nc_u64_e32 v[32:33], s[38:39], v[32:33]
	;; [unrolled: 1-line block ×3, first 2 shown]
	s_add_nc_u64 s[22:23], s[22:23], 32
	s_delay_alu instid0(SALU_CYCLE_1) | instskip(NEXT) | instid1(SALU_CYCLE_1)
	s_sub_co_i32 s5, s22, 32
	s_cmp_ge_i32 s5, s47
	s_wait_dscnt 0x7
	v_pk_fma_f32 v[42:43], v[48:49], v[44:45], v[42:43] op_sel_hi:[1,0,1]
	s_wait_dscnt 0x6
	v_pk_fma_f32 v[40:41], v[48:49], v[56:57], v[40:41] op_sel_hi:[1,0,1]
	ds_load_2addr_b32 v[48:49], v51 offset0:160 offset1:176
	s_wait_dscnt 0x6
	v_pk_fma_f32 v[42:43], v[68:69], v[44:45], v[42:43] op_sel:[0,1,0]
	v_pk_fma_f32 v[40:41], v[68:69], v[56:57], v[40:41] op_sel:[0,1,0]
	ds_load_2addr_b32 v[56:57], v51 offset0:192 offset1:208
	v_dual_mov_b32 v44, v47 :: v_dual_mov_b32 v68, v59
	s_wait_dscnt 0x6
	v_pk_fma_f32 v[42:43], v[70:71], v[46:47], v[42:43] op_sel_hi:[1,0,1]
	v_pk_fma_f32 v[40:41], v[70:71], v[58:59], v[40:41] op_sel_hi:[1,0,1]
	ds_load_2addr_b32 v[58:59], v51 offset0:224 offset1:240
	s_wait_dscnt 0x6
	v_pk_fma_f32 v[70:71], v[72:73], v[44:45], v[42:43] op_sel_hi:[1,0,1]
	v_pk_fma_f32 v[68:69], v[72:73], v[68:69], v[40:41] op_sel_hi:[1,0,1]
	ds_load_b128 v[40:43], v50 offset:32
	ds_load_2addr_b32 v[72:73], v55 offset1:16
	ds_load_b128 v[44:47], v50 offset:2080
	s_wait_dscnt 0x7
	v_pk_fma_f32 v[70:71], v[74:75], v[60:61], v[70:71] op_sel_hi:[1,0,1]
	s_wait_dscnt 0x6
	v_pk_fma_f32 v[68:69], v[74:75], v[64:65], v[68:69] op_sel_hi:[1,0,1]
	ds_load_2addr_b32 v[74:75], v55 offset0:32 offset1:48
	s_wait_dscnt 0x6
	v_pk_fma_f32 v[60:61], v[48:49], v[60:61], v[70:71] op_sel:[0,1,0]
	v_pk_fma_f32 v[48:49], v[48:49], v[64:65], v[68:69] op_sel:[0,1,0]
	ds_load_2addr_b32 v[64:65], v55 offset0:64 offset1:80
	v_dual_mov_b32 v68, v63 :: v_dual_mov_b32 v70, v67
	s_wait_dscnt 0x6
	v_pk_fma_f32 v[60:61], v[56:57], v[62:63], v[60:61] op_sel_hi:[1,0,1]
	v_pk_fma_f32 v[48:49], v[56:57], v[66:67], v[48:49] op_sel_hi:[1,0,1]
	ds_load_2addr_b32 v[66:67], v55 offset0:96 offset1:112
	s_wait_dscnt 0x6
	v_pk_fma_f32 v[68:69], v[58:59], v[68:69], v[60:61] op_sel_hi:[1,0,1]
	v_pk_fma_f32 v[48:49], v[58:59], v[70:71], v[48:49] op_sel_hi:[1,0,1]
	ds_load_b128 v[56:59], v50 offset:48
	ds_load_2addr_b32 v[70:71], v55 offset0:128 offset1:144
	ds_load_b128 v[60:63], v50 offset:2096
	v_add_nc_u32_e32 v25, 0x800, v51
	s_wait_dscnt 0x7
	v_pk_fma_f32 v[68:69], v[72:73], v[40:41], v[68:69] op_sel_hi:[1,0,1]
	s_wait_dscnt 0x6
	v_pk_fma_f32 v[48:49], v[72:73], v[44:45], v[48:49] op_sel_hi:[1,0,1]
	ds_load_2addr_b32 v[72:73], v55 offset0:160 offset1:176
	s_wait_dscnt 0x6
	v_pk_fma_f32 v[40:41], v[74:75], v[40:41], v[68:69] op_sel:[0,1,0]
	v_mov_b32_e32 v68, v43
	v_pk_fma_f32 v[44:45], v[74:75], v[44:45], v[48:49] op_sel:[0,1,0]
	ds_load_2addr_b32 v[48:49], v55 offset0:192 offset1:208
	v_mov_b32_e32 v74, v47
	s_wait_dscnt 0x6
	v_pk_fma_f32 v[40:41], v[64:65], v[42:43], v[40:41] op_sel_hi:[1,0,1]
	v_pk_fma_f32 v[42:43], v[64:65], v[46:47], v[44:45] op_sel_hi:[1,0,1]
	ds_load_2addr_b32 v[64:65], v55 offset0:224 offset1:240
	s_wait_dscnt 0x6
	v_pk_fma_f32 v[68:69], v[66:67], v[68:69], v[40:41] op_sel_hi:[1,0,1]
	v_pk_fma_f32 v[66:67], v[66:67], v[74:75], v[42:43] op_sel_hi:[1,0,1]
	s_wait_dscnt 0x4
	s_delay_alu instid0(VALU_DEP_2) | instskip(SKIP_1) | instid1(VALU_DEP_2)
	v_pk_fma_f32 v[68:69], v[70:71], v[56:57], v[68:69] op_sel_hi:[1,0,1]
	s_wait_dscnt 0x3
	v_pk_fma_f32 v[66:67], v[70:71], v[60:61], v[66:67] op_sel_hi:[1,0,1]
	s_wait_dscnt 0x2
	s_delay_alu instid0(VALU_DEP_2)
	v_pk_fma_f32 v[56:57], v[72:73], v[56:57], v[68:69] op_sel:[0,1,0]
	v_mov_b32_e32 v68, v59
	ds_load_b128 v[40:43], v50 offset:64
	ds_load_b128 v[44:47], v50 offset:2112
	ds_load_2addr_b32 v[74:75], v25 offset1:16
	ds_load_2addr_b32 v[70:71], v25 offset0:32 offset1:48
	v_pk_fma_f32 v[60:61], v[72:73], v[60:61], v[66:67] op_sel:[0,1,0]
	s_wait_dscnt 0x5
	v_pk_fma_f32 v[56:57], v[48:49], v[58:59], v[56:57] op_sel_hi:[1,0,1]
	ds_load_2addr_b32 v[66:67], v25 offset0:64 offset1:80
	v_mov_b32_e32 v72, v63
	ds_load_2addr_b32 v[76:77], v25 offset0:96 offset1:112
	v_pk_fma_f32 v[48:49], v[48:49], v[62:63], v[60:61] op_sel_hi:[1,0,1]
	s_wait_dscnt 0x6
	v_pk_fma_f32 v[68:69], v[64:65], v[68:69], v[56:57] op_sel_hi:[1,0,1]
	s_wait_dscnt 0x3
	s_delay_alu instid0(VALU_DEP_1) | instskip(SKIP_1) | instid1(VALU_DEP_1)
	v_pk_fma_f32 v[68:69], v[74:75], v[40:41], v[68:69] op_sel_hi:[1,0,1]
	s_wait_dscnt 0x2
	v_pk_fma_f32 v[40:41], v[70:71], v[40:41], v[68:69] op_sel:[0,1,0]
	v_mov_b32_e32 v68, v43
	v_pk_fma_f32 v[48:49], v[64:65], v[72:73], v[48:49] op_sel_hi:[1,0,1]
	ds_load_b128 v[56:59], v50 offset:80
	ds_load_b128 v[60:63], v50 offset:2128
	ds_load_2addr_b32 v[64:65], v25 offset0:128 offset1:144
	ds_load_2addr_b32 v[72:73], v25 offset0:160 offset1:176
	s_wait_dscnt 0x5
	v_pk_fma_f32 v[40:41], v[66:67], v[42:43], v[40:41] op_sel_hi:[1,0,1]
	v_pk_fma_f32 v[48:49], v[74:75], v[44:45], v[48:49] op_sel_hi:[1,0,1]
	s_wait_dscnt 0x4
	s_delay_alu instid0(VALU_DEP_2) | instskip(NEXT) | instid1(VALU_DEP_2)
	v_pk_fma_f32 v[68:69], v[76:77], v[68:69], v[40:41] op_sel_hi:[1,0,1]
	v_pk_fma_f32 v[44:45], v[70:71], v[44:45], v[48:49] op_sel:[0,1,0]
	ds_load_2addr_b32 v[48:49], v25 offset0:192 offset1:208
	v_mov_b32_e32 v70, v47
	v_pk_fma_f32 v[42:43], v[66:67], v[46:47], v[44:45] op_sel_hi:[1,0,1]
	ds_load_2addr_b32 v[66:67], v25 offset0:224 offset1:240
	s_wait_dscnt 0x3
	v_pk_fma_f32 v[68:69], v[64:65], v[56:57], v[68:69] op_sel_hi:[1,0,1]
	s_wait_dscnt 0x2
	s_delay_alu instid0(VALU_DEP_1)
	v_pk_fma_f32 v[56:57], v[72:73], v[56:57], v[68:69] op_sel:[0,1,0]
	v_mov_b32_e32 v68, v59
	v_pk_fma_f32 v[70:71], v[76:77], v[70:71], v[42:43] op_sel_hi:[1,0,1]
	ds_load_b128 v[40:43], v50 offset:96
	ds_load_b128 v[44:47], v50 offset:2144
	ds_load_2addr_b32 v[74:75], v78 offset1:16
	ds_load_2addr_b32 v[76:77], v78 offset0:96 offset1:112
	s_wait_dscnt 0x5
	v_pk_fma_f32 v[56:57], v[48:49], v[58:59], v[56:57] op_sel_hi:[1,0,1]
	v_pk_fma_f32 v[64:65], v[64:65], v[60:61], v[70:71] op_sel_hi:[1,0,1]
	ds_load_2addr_b32 v[70:71], v78 offset0:32 offset1:48
	s_wait_dscnt 0x5
	v_pk_fma_f32 v[68:69], v[66:67], v[68:69], v[56:57] op_sel_hi:[1,0,1]
	v_pk_fma_f32 v[60:61], v[72:73], v[60:61], v[64:65] op_sel:[0,1,0]
	ds_load_2addr_b32 v[64:65], v78 offset0:64 offset1:80
	v_mov_b32_e32 v72, v63
	v_pk_fma_f32 v[48:49], v[48:49], v[62:63], v[60:61] op_sel_hi:[1,0,1]
	s_wait_dscnt 0x3
	v_pk_fma_f32 v[68:69], v[74:75], v[40:41], v[68:69] op_sel_hi:[1,0,1]
	s_wait_dscnt 0x1
	s_delay_alu instid0(VALU_DEP_1)
	v_pk_fma_f32 v[40:41], v[70:71], v[40:41], v[68:69] op_sel:[0,1,0]
	v_mov_b32_e32 v68, v43
	v_pk_fma_f32 v[48:49], v[66:67], v[72:73], v[48:49] op_sel_hi:[1,0,1]
	ds_load_b128 v[56:59], v50 offset:112
	ds_load_b128 v[60:63], v50 offset:2160
	ds_load_2addr_b32 v[66:67], v78 offset0:128 offset1:144
	ds_load_2addr_b32 v[72:73], v78 offset0:160 offset1:176
	s_wait_dscnt 0x4
	v_pk_fma_f32 v[40:41], v[64:65], v[42:43], v[40:41] op_sel_hi:[1,0,1]
	v_pk_fma_f32 v[48:49], v[74:75], v[44:45], v[48:49] op_sel_hi:[1,0,1]
	s_delay_alu instid0(VALU_DEP_2) | instskip(NEXT) | instid1(VALU_DEP_2)
	v_pk_fma_f32 v[40:41], v[76:77], v[68:69], v[40:41] op_sel_hi:[1,0,1]
	v_pk_fma_f32 v[44:45], v[70:71], v[44:45], v[48:49] op_sel:[0,1,0]
	ds_load_2addr_b32 v[48:49], v78 offset0:192 offset1:208
	v_mov_b32_e32 v70, v47
	v_pk_fma_f32 v[42:43], v[64:65], v[46:47], v[44:45] op_sel_hi:[1,0,1]
	ds_load_2addr_b32 v[44:45], v78 offset0:224 offset1:240
	s_wait_dscnt 0x0
	s_barrier_signal -1
	v_mov_b32_e32 v46, v59
	v_pk_fma_f32 v[42:43], v[76:77], v[70:71], v[42:43] op_sel_hi:[1,0,1]
	v_pk_fma_f32 v[40:41], v[66:67], v[56:57], v[40:41] op_sel_hi:[1,0,1]
	s_barrier_wait -1
	s_delay_alu instid0(VALU_DEP_2) | instskip(NEXT) | instid1(VALU_DEP_2)
	v_pk_fma_f32 v[42:43], v[66:67], v[60:61], v[42:43] op_sel_hi:[1,0,1]
	v_pk_fma_f32 v[40:41], v[72:73], v[56:57], v[40:41] op_sel:[0,1,0]
	v_mov_b32_e32 v56, v63
	s_delay_alu instid0(VALU_DEP_3) | instskip(NEXT) | instid1(VALU_DEP_3)
	v_pk_fma_f32 v[42:43], v[72:73], v[60:61], v[42:43] op_sel:[0,1,0]
	v_pk_fma_f32 v[40:41], v[48:49], v[58:59], v[40:41] op_sel_hi:[1,0,1]
	s_delay_alu instid0(VALU_DEP_2) | instskip(NEXT) | instid1(VALU_DEP_2)
	v_pk_fma_f32 v[48:49], v[48:49], v[62:63], v[42:43] op_sel_hi:[1,0,1]
	v_pk_fma_f32 v[42:43], v[44:45], v[46:47], v[40:41] op_sel_hi:[1,0,1]
	s_delay_alu instid0(VALU_DEP_2)
	v_pk_fma_f32 v[40:41], v[44:45], v[56:57], v[48:49] op_sel_hi:[1,0,1]
	s_cbranch_scc1 .LBB17_46
.LBB17_10:                              ;   Parent Loop BB17_4 Depth=1
                                        ;     Parent Loop BB17_7 Depth=2
                                        ; =>    This Inner Loop Header: Depth=3
	v_add_nc_u64_e32 v[46:47], s[22:23], v[2:3]
	v_cmp_eq_u64_e64 s7, s[22:23], v[34:35]
	v_add_nc_u64_e32 v[44:45], v[30:31], v[38:39]
                                        ; implicit-def: $vgpr25
	s_delay_alu instid0(VALU_DEP_3) | instskip(SKIP_3) | instid1(SALU_CYCLE_1)
	v_cmp_gt_i64_e64 s5, v[46:47], v[26:27]
	v_cmp_le_i64_e64 s6, s[36:37], v[46:47]
	s_and_b32 s48, s28, s7
	s_or_b32 s7, vcc_lo, s5
	s_or_b32 s7, s7, s48
	s_delay_alu instid0(SALU_CYCLE_1) | instskip(NEXT) | instid1(SALU_CYCLE_1)
	s_nor_b32 s7, s6, s7
	s_and_saveexec_b32 s8, s7
	s_delay_alu instid0(SALU_CYCLE_1)
	s_xor_b32 s7, exec_lo, s8
	s_cbranch_execz .LBB17_12
; %bb.11:                               ;   in Loop: Header=BB17_10 Depth=3
	global_load_b32 v25, v[44:45], off
.LBB17_12:                              ;   in Loop: Header=BB17_10 Depth=3
	s_wait_xcnt 0x0
	s_and_not1_saveexec_b32 s7, s7
	s_cbranch_execz .LBB17_14
; %bb.13:                               ;   in Loop: Header=BB17_10 Depth=3
	s_wait_loadcnt 0x0
	v_cndmask_b32_e64 v25, 0, 1.0, s48
.LBB17_14:                              ;   in Loop: Header=BB17_10 Depth=3
	s_or_b32 exec_lo, exec_lo, s7
	v_add_nc_u64_e32 v[48:49], -16, v[34:35]
	v_add_nc_u64_e32 v[56:57], 16, v[46:47]
	s_wait_loadcnt 0x0
	ds_store_b32 v52, v25
	v_cmp_eq_u64_e64 s8, s[22:23], v[48:49]
	v_cmp_gt_i64_e64 s9, v[56:57], v[26:27]
	v_cmp_le_i64_e64 s7, s[36:37], v[56:57]
	v_add_nc_u64_e32 v[48:49], v[32:33], v[38:39]
	s_and_b32 s49, s28, s8
	s_or_b32 s8, vcc_lo, s9
	s_delay_alu instid0(SALU_CYCLE_1) | instskip(NEXT) | instid1(SALU_CYCLE_1)
	s_or_b32 s8, s8, s49
	s_nor_b32 s8, s7, s8
	s_delay_alu instid0(SALU_CYCLE_1) | instskip(NEXT) | instid1(SALU_CYCLE_1)
	s_and_saveexec_b32 s9, s8
	s_xor_b32 s8, exec_lo, s9
	s_cbranch_execz .LBB17_16
; %bb.15:                               ;   in Loop: Header=BB17_10 Depth=3
	global_load_b32 v25, v[48:49], off
	s_wait_loadcnt 0x0
	ds_store_b32 v52, v25 offset:64
.LBB17_16:                              ;   in Loop: Header=BB17_10 Depth=3
	s_wait_xcnt 0x0
	s_and_not1_saveexec_b32 s8, s8
	s_cbranch_execz .LBB17_22
; %bb.17:                               ;   in Loop: Header=BB17_10 Depth=3
	s_xor_b32 s9, s49, -1
	s_delay_alu instid0(SALU_CYCLE_1) | instskip(NEXT) | instid1(SALU_CYCLE_1)
	s_and_saveexec_b32 s49, s9
	s_xor_b32 s9, exec_lo, s49
; %bb.18:                               ;   in Loop: Header=BB17_10 Depth=3
	ds_store_b32 v52, v3 offset:64
; %bb.19:                               ;   in Loop: Header=BB17_10 Depth=3
	s_and_not1_saveexec_b32 s9, s9
; %bb.20:                               ;   in Loop: Header=BB17_10 Depth=3
	ds_store_b32 v52, v54 offset:64
; %bb.21:                               ;   in Loop: Header=BB17_10 Depth=3
	s_or_b32 exec_lo, exec_lo, s9
.LBB17_22:                              ;   in Loop: Header=BB17_10 Depth=3
	s_delay_alu instid0(SALU_CYCLE_1) | instskip(SKIP_2) | instid1(VALU_DEP_2)
	s_or_b32 exec_lo, exec_lo, s8
	v_add_nc_u64_e32 v[56:57], 16, v[34:35]
	v_cmp_gt_i64_e64 s9, v[46:47], v[28:29]
                                        ; implicit-def: $vgpr25
	v_cmp_eq_u64_e64 s8, s[22:23], v[56:57]
	s_or_b32 s9, s4, s9
	s_and_b32 s8, s28, s8
	s_delay_alu instid0(SALU_CYCLE_1) | instskip(NEXT) | instid1(SALU_CYCLE_1)
	s_or_b32 s9, s9, s8
	s_nor_b32 s6, s6, s9
	s_delay_alu instid0(SALU_CYCLE_1) | instskip(NEXT) | instid1(SALU_CYCLE_1)
	s_and_saveexec_b32 s9, s6
	s_xor_b32 s6, exec_lo, s9
	s_cbranch_execz .LBB17_24
; %bb.23:                               ;   in Loop: Header=BB17_10 Depth=3
	global_load_b32 v25, v[44:45], off offset:64
.LBB17_24:                              ;   in Loop: Header=BB17_10 Depth=3
	s_wait_xcnt 0x0
	s_and_not1_saveexec_b32 s6, s6
	s_cbranch_execz .LBB17_26
; %bb.25:                               ;   in Loop: Header=BB17_10 Depth=3
	s_wait_loadcnt 0x0
	v_cndmask_b32_e64 v25, 0, 1.0, s8
.LBB17_26:                              ;   in Loop: Header=BB17_10 Depth=3
	s_or_b32 exec_lo, exec_lo, s6
	s_or_b32 s5, s4, s5
	s_wait_loadcnt 0x0
	ds_store_b32 v52, v25 offset:2048
	s_or_b32 s5, s5, s48
	s_delay_alu instid0(SALU_CYCLE_1) | instskip(NEXT) | instid1(SALU_CYCLE_1)
	s_nor_b32 s5, s7, s5
	s_and_saveexec_b32 s6, s5
	s_delay_alu instid0(SALU_CYCLE_1)
	s_xor_b32 s5, exec_lo, s6
	s_cbranch_execz .LBB17_28
; %bb.27:                               ;   in Loop: Header=BB17_10 Depth=3
	global_load_b32 v25, v[48:49], off offset:64
	s_wait_loadcnt 0x0
	ds_store_b32 v52, v25 offset:2112
.LBB17_28:                              ;   in Loop: Header=BB17_10 Depth=3
	s_wait_xcnt 0x0
	s_and_not1_saveexec_b32 s5, s5
	s_cbranch_execz .LBB17_34
; %bb.29:                               ;   in Loop: Header=BB17_10 Depth=3
	s_xor_b32 s6, s48, -1
	s_delay_alu instid0(SALU_CYCLE_1) | instskip(NEXT) | instid1(SALU_CYCLE_1)
	s_and_saveexec_b32 s7, s6
	s_xor_b32 s6, exec_lo, s7
; %bb.30:                               ;   in Loop: Header=BB17_10 Depth=3
	ds_store_b32 v52, v3 offset:2112
; %bb.31:                               ;   in Loop: Header=BB17_10 Depth=3
	s_and_not1_saveexec_b32 s6, s6
; %bb.32:                               ;   in Loop: Header=BB17_10 Depth=3
	ds_store_b32 v52, v54 offset:2112
; %bb.33:                               ;   in Loop: Header=BB17_10 Depth=3
	s_or_b32 exec_lo, exec_lo, s6
.LBB17_34:                              ;   in Loop: Header=BB17_10 Depth=3
	s_delay_alu instid0(SALU_CYCLE_1) | instskip(SKIP_3) | instid1(VALU_DEP_3)
	s_or_b32 exec_lo, exec_lo, s5
	v_add_nc_u64_e32 v[44:45], s[22:23], v[0:1]
	v_add_nc_u64_e32 v[46:47], v[36:37], v[12:13]
	v_mov_b32_e32 v25, 0
	v_cmp_le_i64_e64 s5, s[36:37], v[44:45]
	s_nor_b32 s7, s5, s0
	s_delay_alu instid0(SALU_CYCLE_1)
	s_and_saveexec_b32 s6, s7
	s_cbranch_execz .LBB17_36
; %bb.35:                               ;   in Loop: Header=BB17_10 Depth=3
	global_load_b32 v25, v[46:47], off offset:-64
.LBB17_36:                              ;   in Loop: Header=BB17_10 Depth=3
	s_wait_xcnt 0x0
	s_or_b32 exec_lo, exec_lo, s6
	s_nor_b32 s5, s5, s1
	s_wait_loadcnt 0x0
	ds_store_b32 v53, v25
	s_and_saveexec_b32 s6, s5
	s_delay_alu instid0(SALU_CYCLE_1)
	s_xor_b32 s5, exec_lo, s6
	s_cbranch_execz .LBB17_38
; %bb.37:                               ;   in Loop: Header=BB17_10 Depth=3
	global_load_b32 v25, v[46:47], off
	s_wait_loadcnt 0x0
	ds_store_b32 v53, v25 offset:64
.LBB17_38:                              ;   in Loop: Header=BB17_10 Depth=3
	s_wait_xcnt 0x0
	s_and_not1_saveexec_b32 s5, s5
; %bb.39:                               ;   in Loop: Header=BB17_10 Depth=3
	ds_store_b32 v53, v3 offset:64
; %bb.40:                               ;   in Loop: Header=BB17_10 Depth=3
	s_or_b32 exec_lo, exec_lo, s5
	v_cmp_le_i64_e64 s5, s[12:13], v[44:45]
	v_add_nc_u64_e32 v[44:45], v[36:37], v[6:7]
	v_mov_b32_e32 v25, 0
	s_nor_b32 s7, s5, s0
	s_delay_alu instid0(SALU_CYCLE_1)
	s_and_saveexec_b32 s6, s7
	s_cbranch_execz .LBB17_42
; %bb.41:                               ;   in Loop: Header=BB17_10 Depth=3
	global_load_b32 v25, v[44:45], off offset:-64
.LBB17_42:                              ;   in Loop: Header=BB17_10 Depth=3
	s_wait_xcnt 0x0
	s_or_b32 exec_lo, exec_lo, s6
	s_nor_b32 s5, s5, s1
	s_wait_loadcnt 0x0
	ds_store_b32 v53, v25 offset:2048
	s_and_saveexec_b32 s6, s5
	s_delay_alu instid0(SALU_CYCLE_1)
	s_xor_b32 s5, exec_lo, s6
	s_cbranch_execz .LBB17_44
; %bb.43:                               ;   in Loop: Header=BB17_10 Depth=3
	global_load_b32 v25, v[44:45], off
	s_wait_loadcnt 0x0
	ds_store_b32 v53, v25 offset:2112
.LBB17_44:                              ;   in Loop: Header=BB17_10 Depth=3
	s_wait_xcnt 0x0
	s_and_not1_saveexec_b32 s5, s5
	s_cbranch_execz .LBB17_9
; %bb.45:                               ;   in Loop: Header=BB17_10 Depth=3
	ds_store_b32 v53, v3 offset:2112
	s_branch .LBB17_9
.LBB17_46:                              ;   in Loop: Header=BB17_7 Depth=2
	s_delay_alu instid0(VALU_DEP_1) | instskip(SKIP_2) | instid1(VALU_DEP_2)
	v_mul_u64_e32 v[28:29], s[24:25], v[26:27]
	v_cmp_gt_i32_e32 vcc_lo, s30, v26
	s_and_b32 s5, s2, vcc_lo
	v_lshl_add_u64 v[28:29], v[28:29], 2, s[18:19]
	s_and_saveexec_b32 s4, s5
	s_cbranch_execz .LBB17_48
; %bb.47:                               ;   in Loop: Header=BB17_7 Depth=2
	s_delay_alu instid0(VALU_DEP_1)
	v_lshl_add_u64 v[30:31], v[4:5], 2, v[28:29]
	global_load_b32 v25, v[30:31], off
	s_wait_loadcnt 0x0
	v_fmac_f32_e32 v25, s31, v42
	global_store_b32 v[30:31], v25, off
.LBB17_48:                              ;   in Loop: Header=BB17_7 Depth=2
	s_wait_xcnt 0x0
	s_or_b32 exec_lo, exec_lo, s4
	s_and_b32 s5, s3, vcc_lo
	s_delay_alu instid0(SALU_CYCLE_1)
	s_and_saveexec_b32 s4, s5
	s_cbranch_execz .LBB17_50
; %bb.49:                               ;   in Loop: Header=BB17_7 Depth=2
	v_lshl_add_u64 v[28:29], v[10:11], 2, v[28:29]
	global_load_b32 v25, v[28:29], off
	s_wait_loadcnt 0x0
	v_fmac_f32_e32 v25, s31, v43
	global_store_b32 v[28:29], v25, off
.LBB17_50:                              ;   in Loop: Header=BB17_7 Depth=2
	s_wait_xcnt 0x0
	s_or_b32 exec_lo, exec_lo, s4
	v_add_nc_u32_e32 v26, 16, v26
	s_delay_alu instid0(VALU_DEP_1) | instskip(SKIP_1) | instid1(VALU_DEP_2)
	v_ashrrev_i32_e32 v27, 31, v26
	v_cmp_gt_i32_e32 vcc_lo, s30, v26
	v_mul_u64_e32 v[28:29], s[24:25], v[26:27]
	s_and_b32 s5, s2, vcc_lo
	s_delay_alu instid0(VALU_DEP_1)
	v_lshl_add_u64 v[26:27], v[28:29], 2, s[18:19]
	s_and_saveexec_b32 s4, s5
	s_cbranch_execz .LBB17_52
; %bb.51:                               ;   in Loop: Header=BB17_7 Depth=2
	s_delay_alu instid0(VALU_DEP_1)
	v_lshl_add_u64 v[28:29], v[4:5], 2, v[26:27]
	global_load_b32 v25, v[28:29], off
	s_wait_loadcnt 0x0
	v_fmac_f32_e32 v25, s31, v40
	global_store_b32 v[28:29], v25, off
.LBB17_52:                              ;   in Loop: Header=BB17_7 Depth=2
	s_wait_xcnt 0x0
	s_or_b32 exec_lo, exec_lo, s4
	s_and_b32 s5, s3, vcc_lo
	s_delay_alu instid0(SALU_CYCLE_1)
	s_and_saveexec_b32 s4, s5
	s_cbranch_execz .LBB17_6
; %bb.53:                               ;   in Loop: Header=BB17_7 Depth=2
	v_lshl_add_u64 v[26:27], v[10:11], 2, v[26:27]
	global_load_b32 v25, v[26:27], off
	s_wait_loadcnt 0x0
	v_fmac_f32_e32 v25, s31, v41
	global_store_b32 v[26:27], v25, off
	s_branch .LBB17_6
.LBB17_54:
	s_sendmsg sendmsg(MSG_DEALLOC_VGPRS)
	s_endpgm
	.section	.rodata,"a",@progbits
	.p2align	6, 0x0
	.amdhsa_kernel _ZL30rocblas_trmm_outofplace_kernelIfLi32ELi2ELb0ELb0ELb1ELb0EfKffEv17rocblas_diagonal_iiT6_lPT7_lllS4_lllPT8_llli
		.amdhsa_group_segment_fixed_size 8192
		.amdhsa_private_segment_fixed_size 0
		.amdhsa_kernarg_size 384
		.amdhsa_user_sgpr_count 2
		.amdhsa_user_sgpr_dispatch_ptr 0
		.amdhsa_user_sgpr_queue_ptr 0
		.amdhsa_user_sgpr_kernarg_segment_ptr 1
		.amdhsa_user_sgpr_dispatch_id 0
		.amdhsa_user_sgpr_kernarg_preload_length 0
		.amdhsa_user_sgpr_kernarg_preload_offset 0
		.amdhsa_user_sgpr_private_segment_size 0
		.amdhsa_wavefront_size32 1
		.amdhsa_uses_dynamic_stack 0
		.amdhsa_enable_private_segment 0
		.amdhsa_system_sgpr_workgroup_id_x 1
		.amdhsa_system_sgpr_workgroup_id_y 1
		.amdhsa_system_sgpr_workgroup_id_z 1
		.amdhsa_system_sgpr_workgroup_info 0
		.amdhsa_system_vgpr_workitem_id 1
		.amdhsa_next_free_vgpr 79
		.amdhsa_next_free_sgpr 50
		.amdhsa_named_barrier_count 0
		.amdhsa_reserve_vcc 1
		.amdhsa_float_round_mode_32 0
		.amdhsa_float_round_mode_16_64 0
		.amdhsa_float_denorm_mode_32 3
		.amdhsa_float_denorm_mode_16_64 3
		.amdhsa_fp16_overflow 0
		.amdhsa_memory_ordered 1
		.amdhsa_forward_progress 1
		.amdhsa_inst_pref_size 24
		.amdhsa_round_robin_scheduling 0
		.amdhsa_exception_fp_ieee_invalid_op 0
		.amdhsa_exception_fp_denorm_src 0
		.amdhsa_exception_fp_ieee_div_zero 0
		.amdhsa_exception_fp_ieee_overflow 0
		.amdhsa_exception_fp_ieee_underflow 0
		.amdhsa_exception_fp_ieee_inexact 0
		.amdhsa_exception_int_div_zero 0
	.end_amdhsa_kernel
	.section	.text._ZL30rocblas_trmm_outofplace_kernelIfLi32ELi2ELb0ELb0ELb1ELb0EfKffEv17rocblas_diagonal_iiT6_lPT7_lllS4_lllPT8_llli,"axG",@progbits,_ZL30rocblas_trmm_outofplace_kernelIfLi32ELi2ELb0ELb0ELb1ELb0EfKffEv17rocblas_diagonal_iiT6_lPT7_lllS4_lllPT8_llli,comdat
.Lfunc_end17:
	.size	_ZL30rocblas_trmm_outofplace_kernelIfLi32ELi2ELb0ELb0ELb1ELb0EfKffEv17rocblas_diagonal_iiT6_lPT7_lllS4_lllPT8_llli, .Lfunc_end17-_ZL30rocblas_trmm_outofplace_kernelIfLi32ELi2ELb0ELb0ELb1ELb0EfKffEv17rocblas_diagonal_iiT6_lPT7_lllS4_lllPT8_llli
                                        ; -- End function
	.set _ZL30rocblas_trmm_outofplace_kernelIfLi32ELi2ELb0ELb0ELb1ELb0EfKffEv17rocblas_diagonal_iiT6_lPT7_lllS4_lllPT8_llli.num_vgpr, 79
	.set _ZL30rocblas_trmm_outofplace_kernelIfLi32ELi2ELb0ELb0ELb1ELb0EfKffEv17rocblas_diagonal_iiT6_lPT7_lllS4_lllPT8_llli.num_agpr, 0
	.set _ZL30rocblas_trmm_outofplace_kernelIfLi32ELi2ELb0ELb0ELb1ELb0EfKffEv17rocblas_diagonal_iiT6_lPT7_lllS4_lllPT8_llli.numbered_sgpr, 50
	.set _ZL30rocblas_trmm_outofplace_kernelIfLi32ELi2ELb0ELb0ELb1ELb0EfKffEv17rocblas_diagonal_iiT6_lPT7_lllS4_lllPT8_llli.num_named_barrier, 0
	.set _ZL30rocblas_trmm_outofplace_kernelIfLi32ELi2ELb0ELb0ELb1ELb0EfKffEv17rocblas_diagonal_iiT6_lPT7_lllS4_lllPT8_llli.private_seg_size, 0
	.set _ZL30rocblas_trmm_outofplace_kernelIfLi32ELi2ELb0ELb0ELb1ELb0EfKffEv17rocblas_diagonal_iiT6_lPT7_lllS4_lllPT8_llli.uses_vcc, 1
	.set _ZL30rocblas_trmm_outofplace_kernelIfLi32ELi2ELb0ELb0ELb1ELb0EfKffEv17rocblas_diagonal_iiT6_lPT7_lllS4_lllPT8_llli.uses_flat_scratch, 0
	.set _ZL30rocblas_trmm_outofplace_kernelIfLi32ELi2ELb0ELb0ELb1ELb0EfKffEv17rocblas_diagonal_iiT6_lPT7_lllS4_lllPT8_llli.has_dyn_sized_stack, 0
	.set _ZL30rocblas_trmm_outofplace_kernelIfLi32ELi2ELb0ELb0ELb1ELb0EfKffEv17rocblas_diagonal_iiT6_lPT7_lllS4_lllPT8_llli.has_recursion, 0
	.set _ZL30rocblas_trmm_outofplace_kernelIfLi32ELi2ELb0ELb0ELb1ELb0EfKffEv17rocblas_diagonal_iiT6_lPT7_lllS4_lllPT8_llli.has_indirect_call, 0
	.section	.AMDGPU.csdata,"",@progbits
; Kernel info:
; codeLenInByte = 3056
; TotalNumSgprs: 52
; NumVgprs: 79
; ScratchSize: 0
; MemoryBound: 0
; FloatMode: 240
; IeeeMode: 1
; LDSByteSize: 8192 bytes/workgroup (compile time only)
; SGPRBlocks: 0
; VGPRBlocks: 4
; NumSGPRsForWavesPerEU: 52
; NumVGPRsForWavesPerEU: 79
; NamedBarCnt: 0
; Occupancy: 12
; WaveLimiterHint : 0
; COMPUTE_PGM_RSRC2:SCRATCH_EN: 0
; COMPUTE_PGM_RSRC2:USER_SGPR: 2
; COMPUTE_PGM_RSRC2:TRAP_HANDLER: 0
; COMPUTE_PGM_RSRC2:TGID_X_EN: 1
; COMPUTE_PGM_RSRC2:TGID_Y_EN: 1
; COMPUTE_PGM_RSRC2:TGID_Z_EN: 1
; COMPUTE_PGM_RSRC2:TIDIG_COMP_CNT: 1
	.section	.text._ZL30rocblas_trmm_outofplace_kernelIfLi32ELi2ELb0ELb1ELb1ELb0EPKfS0_fEv17rocblas_diagonal_iiT6_lPT7_lllS5_lllPT8_llli,"axG",@progbits,_ZL30rocblas_trmm_outofplace_kernelIfLi32ELi2ELb0ELb1ELb1ELb0EPKfS0_fEv17rocblas_diagonal_iiT6_lPT7_lllS5_lllPT8_llli,comdat
	.globl	_ZL30rocblas_trmm_outofplace_kernelIfLi32ELi2ELb0ELb1ELb1ELb0EPKfS0_fEv17rocblas_diagonal_iiT6_lPT7_lllS5_lllPT8_llli ; -- Begin function _ZL30rocblas_trmm_outofplace_kernelIfLi32ELi2ELb0ELb1ELb1ELb0EPKfS0_fEv17rocblas_diagonal_iiT6_lPT7_lllS5_lllPT8_llli
	.p2align	8
	.type	_ZL30rocblas_trmm_outofplace_kernelIfLi32ELi2ELb0ELb1ELb1ELb0EPKfS0_fEv17rocblas_diagonal_iiT6_lPT7_lllS5_lllPT8_llli,@function
_ZL30rocblas_trmm_outofplace_kernelIfLi32ELi2ELb0ELb1ELb1ELb0EPKfS0_fEv17rocblas_diagonal_iiT6_lPT7_lllS5_lllPT8_llli: ; @_ZL30rocblas_trmm_outofplace_kernelIfLi32ELi2ELb0ELb1ELb1ELb0EPKfS0_fEv17rocblas_diagonal_iiT6_lPT7_lllS5_lllPT8_llli
; %bb.0:
	s_load_b32 s11, s[0:1], 0x80
	s_bfe_u32 s2, ttmp6, 0x40014
	s_lshr_b32 s3, ttmp7, 16
	s_add_co_i32 s2, s2, 1
	s_bfe_u32 s5, ttmp6, 0x40008
	s_mul_i32 s4, s3, s2
	s_getreg_b32 s2, hwreg(HW_REG_IB_STS2, 6, 4)
	s_add_co_i32 s5, s5, s4
	s_cmp_eq_u32 s2, 0
	s_mov_b32 s35, 0
	s_cselect_b32 s34, s3, s5
	s_wait_kmcnt 0x0
	s_cmp_ge_u32 s34, s11
	s_cbranch_scc1 .LBB18_56
; %bb.1:
	s_clause 0x3
	s_load_b96 s[8:10], s[0:1], 0x0
	s_load_b512 s[12:27], s[0:1], 0x10
	s_load_b128 s[28:31], s[0:1], 0x70
	s_load_b256 s[36:43], s[0:1], 0x50
	s_bfe_u32 s4, ttmp6, 0x4000c
	s_bfe_u32 s6, ttmp6, 0x40010
	s_add_co_i32 s4, s4, 1
	s_and_b32 s3, ttmp6, 15
	s_and_b32 s5, ttmp7, 0xffff
	s_add_nc_u64 s[44:45], s[0:1], 0x88
	s_add_co_i32 s6, s6, 1
	s_wait_xcnt 0x0
	s_mul_i32 s0, ttmp9, s4
	s_bfe_u32 s7, ttmp6, 0x40004
	s_mul_i32 s1, s5, s6
	s_add_co_i32 s3, s3, s0
	s_add_co_i32 s7, s7, s1
	v_bfe_u32 v44, v0, 10, 10
	v_and_b32_e32 v6, 0x3ff, v0
	v_dual_mov_b32 v52, 1.0 :: v_dual_mov_b32 v51, 0
	s_wait_kmcnt 0x0
	s_add_co_i32 s0, s10, -1
	s_delay_alu instid0(VALU_DEP_2) | instskip(SKIP_1) | instid1(SALU_CYCLE_1)
	v_dual_lshlrev_b32 v45, 7, v44 :: v_dual_lshlrev_b32 v0, 2, v6
	s_ashr_i32 s1, s0, 31
	s_lshr_b32 s1, s1, 27
	s_delay_alu instid0(SALU_CYCLE_1)
	s_add_co_i32 s4, s0, s1
	s_lshl_b64 s[0:1], s[42:43], 2
	s_ashr_i32 s33, s4, 5
	s_cmp_eq_u32 s2, 0
	v_or_b32_e32 v47, 0x1000, v0
	s_cselect_b32 s2, ttmp9, s3
	v_add_nc_u32_e32 v46, v45, v0
	v_lshl_add_u32 v0, s2, 5, v6
	s_cselect_b32 s56, s5, s7
	s_mov_b32 s2, s9
	s_cmp_le_i32 s56, s33
	s_add_nc_u64 s[40:41], s[40:41], s[0:1]
	v_dual_ashrrev_i32 v1, 31, v0 :: v_dual_add_nc_u32 v2, 16, v0
	s_cselect_b32 s57, -1, 0
	s_cmp_eq_u32 s8, 0x84
	v_add_nc_u32_e32 v48, v47, v45
	s_cselect_b32 s58, -1, 0
	s_ashr_i32 s3, s9, 31
	s_lshl_b64 s[4:5], s[26:27], 2
	v_sub_nc_u64_e32 v[4:5], s[2:3], v[0:1]
	s_lshl_b32 s6, s56, 5
	s_add_nc_u64 s[4:5], s[24:25], s[4:5]
	v_cmp_gt_i32_e64 s0, s9, v0
	v_cmp_gt_i32_e64 s3, s9, v2
	v_dual_ashrrev_i32 v3, 31, v2 :: v_dual_add_nc_u32 v50, s6, v44
	s_delay_alu instid0(VALU_DEP_4)
	v_cmp_gt_i64_e64 s1, 1, v[4:5]
	v_cmp_gt_i64_e64 s2, 17, v[4:5]
	v_add_nc_u32_e32 v49, s6, v6
	v_lshl_add_u64 v[4:5], v[0:1], 2, s[4:5]
	s_mov_b32 s42, s10
	s_ashr_i32 s43, s10, 31
	s_lshl_b64 s[4:5], s[18:19], 2
	s_lshl_b64 s[46:47], s[20:21], 7
	;; [unrolled: 1-line block ×3, first 2 shown]
	s_add_nc_u64 s[50:51], s[42:43], -16
	s_lshl_b64 s[24:25], s[36:37], 2
	s_lshl_b64 s[26:27], s[38:39], 2
	s_add_nc_u64 s[16:17], s[16:17], s[4:5]
	s_lshl_b64 s[18:19], s[22:23], 2
	s_lshl_b64 s[22:23], s[20:21], 2
	s_branch .LBB18_4
.LBB18_2:                               ;   in Loop: Header=BB18_4 Depth=1
	s_add_co_i32 s34, s34, 0x10000
	s_delay_alu instid0(SALU_CYCLE_1)
	s_cmp_ge_u32 s34, s11
	s_cselect_b32 s4, -1, 0
.LBB18_3:                               ;   in Loop: Header=BB18_4 Depth=1
	s_delay_alu instid0(SALU_CYCLE_1)
	s_and_b32 vcc_lo, exec_lo, s4
	s_cbranch_vccnz .LBB18_56
.LBB18_4:                               ; =>This Loop Header: Depth=1
                                        ;     Child Loop BB18_8 Depth 2
                                        ;       Child Loop BB18_11 Depth 3
	s_mul_u64 s[4:5], s[14:15], s[34:35]
	s_delay_alu instid0(SALU_CYCLE_1) | instskip(NEXT) | instid1(SALU_CYCLE_1)
	s_lshl_b64 s[4:5], s[4:5], 2
	s_add_nc_u64 s[4:5], s[12:13], s[4:5]
	global_load_b32 v53, v51, s[4:5]
	s_wait_xcnt 0x0
	s_mov_b32 s4, -1
	s_wait_loadcnt 0x0
	v_cmp_eq_f32_e32 vcc_lo, 0, v53
	s_cbranch_vccnz .LBB18_3
; %bb.5:                                ;   in Loop: Header=BB18_4 Depth=1
	s_and_not1_b32 vcc_lo, exec_lo, s57
	s_cbranch_vccnz .LBB18_2
; %bb.6:                                ;   in Loop: Header=BB18_4 Depth=1
	s_load_b32 s59, s[44:45], 0x4
	v_mad_nc_u64_u32 v[6:7], s26, s34, v[4:5]
	s_mul_u64 s[6:7], s[30:31], s[34:35]
	v_dual_mov_b32 v8, v50 :: v_dual_mov_b32 v10, v49
	s_mul_u64 s[4:5], s[18:19], s[34:35]
	s_lshl_b64 s[6:7], s[6:7], 2
	s_add_nc_u64 s[38:39], s[16:17], s[4:5]
	s_add_nc_u64 s[52:53], s[40:41], s[6:7]
	s_mov_b32 s61, s56
	s_delay_alu instid0(VALU_DEP_2)
	v_mad_u32 v7, s27, s34, v7
	s_wait_kmcnt 0x0
	s_lshl_b32 s60, s59, 5
	s_branch .LBB18_8
.LBB18_7:                               ;   in Loop: Header=BB18_8 Depth=2
	s_wait_xcnt 0x0
	s_or_b32 exec_lo, exec_lo, s4
	v_dual_add_nc_u32 v10, s60, v10 :: v_dual_add_nc_u32 v8, s60, v8
	s_add_co_i32 s61, s59, s61
	s_delay_alu instid0(SALU_CYCLE_1)
	s_cmp_gt_i32 s61, s33
	s_cbranch_scc1 .LBB18_2
.LBB18_8:                               ;   Parent Loop BB18_4 Depth=1
                                        ; =>  This Loop Header: Depth=2
                                        ;       Child Loop BB18_11 Depth 3
	s_lshl_b32 s4, s61, 5
	v_ashrrev_i32_e32 v9, 31, v8
	v_dual_add_nc_u32 v12, s4, v44 :: v_dual_ashrrev_i32 v11, 31, v10
	s_sub_co_i32 s62, s10, s4
	s_delay_alu instid0(SALU_CYCLE_1) | instskip(NEXT) | instid1(VALU_DEP_1)
	s_cmp_lt_i32 s62, 1
	v_ashrrev_i32_e32 v13, 31, v12
	s_cbranch_scc1 .LBB18_47
; %bb.9:                                ;   in Loop: Header=BB18_8 Depth=2
	v_lshlrev_b64_e32 v[14:15], 2, v[8:9]
	v_lshl_add_u64 v[30:31], v[10:11], 2, 64
	v_mad_nc_u64_u32 v[16:17], s24, v8, 64
	v_mad_nc_u64_u32 v[18:19], s22, v10, s[38:39]
	v_sub_nc_u64_e32 v[24:25], v[8:9], v[10:11]
	v_add_nc_u64_e32 v[26:27], 16, v[12:13]
	v_mad_nc_u64_u32 v[20:21], s20, v30, s[38:39]
	v_add_nc_u64_e32 v[28:29], 64, v[14:15]
	v_mov_b32_e32 v34, 0
	v_mov_b64_e32 v[32:33], v[6:7]
	s_mov_b64 s[54:55], 0
	v_cmp_le_i32_e32 vcc_lo, s10, v12
	v_cmp_le_i64_e64 s4, s[42:43], v[26:27]
	v_mad_u32 v17, s25, v8, v17
	v_mad_nc_u64_u32 v[22:23], s36, v28, 64
	v_mad_u32 v19, s23, v10, v19
	v_dual_mov_b32 v35, v34 :: v_dual_mov_b32 v36, v34
	v_mad_u32 v21, s21, v30, v21
	v_mov_b32_e32 v37, v34
	v_mad_u32 v17, s24, v9, v17
	v_mad_u32 v23, s37, v28, v23
	;; [unrolled: 1-line block ×4, first 2 shown]
	v_add_nc_u64_e32 v[30:31], -16, v[24:25]
	s_delay_alu instid0(VALU_DEP_4)
	v_mad_u32 v23, s36, v29, v23
	v_add_nc_u64_e32 v[28:29], 16, v[24:25]
	s_branch .LBB18_11
.LBB18_10:                              ;   in Loop: Header=BB18_11 Depth=3
	s_or_b32 exec_lo, exec_lo, s5
	s_wait_dscnt 0x0
	s_barrier_signal -1
	s_barrier_wait -1
	ds_load_b128 v[38:41], v45
	ds_load_2addr_b32 v[42:43], v47 offset1:16
	ds_load_b128 v[54:57], v45 offset:2048
	ds_load_2addr_b32 v[66:67], v47 offset0:32 offset1:48
	ds_load_2addr_b32 v[68:69], v47 offset0:64 offset1:80
	;; [unrolled: 1-line block ×3, first 2 shown]
	ds_load_b128 v[58:61], v45 offset:16
	ds_load_2addr_b32 v[72:73], v47 offset0:128 offset1:144
	ds_load_b128 v[62:65], v45 offset:2064
	v_add_nc_u32_e32 v74, 0x400, v47
	v_add_nc_u32_e32 v76, 0x800, v47
	v_add_nc_u64_e32 v[32:33], s[48:49], v[32:33]
	v_add_nc_u64_e32 v[20:21], s[46:47], v[20:21]
	;; [unrolled: 1-line block ×3, first 2 shown]
	s_add_nc_u64 s[54:55], s[54:55], 32
	s_delay_alu instid0(SALU_CYCLE_1)
	s_cmp_ge_i32 s54, s62
	s_wait_dscnt 0x7
	v_pk_fma_f32 v[36:37], v[42:43], v[38:39], v[36:37] op_sel_hi:[1,0,1]
	s_wait_dscnt 0x6
	v_pk_fma_f32 v[34:35], v[42:43], v[54:55], v[34:35] op_sel_hi:[1,0,1]
	ds_load_2addr_b32 v[42:43], v47 offset0:160 offset1:176
	s_wait_dscnt 0x6
	v_pk_fma_f32 v[36:37], v[66:67], v[38:39], v[36:37] op_sel:[0,1,0]
	v_pk_fma_f32 v[34:35], v[66:67], v[54:55], v[34:35] op_sel:[0,1,0]
	ds_load_2addr_b32 v[54:55], v47 offset0:192 offset1:208
	v_dual_mov_b32 v38, v41 :: v_dual_mov_b32 v66, v57
	s_wait_dscnt 0x6
	v_pk_fma_f32 v[36:37], v[68:69], v[40:41], v[36:37] op_sel_hi:[1,0,1]
	v_pk_fma_f32 v[34:35], v[68:69], v[56:57], v[34:35] op_sel_hi:[1,0,1]
	ds_load_2addr_b32 v[56:57], v47 offset0:224 offset1:240
	s_wait_dscnt 0x6
	v_pk_fma_f32 v[68:69], v[70:71], v[38:39], v[36:37] op_sel_hi:[1,0,1]
	v_pk_fma_f32 v[66:67], v[70:71], v[66:67], v[34:35] op_sel_hi:[1,0,1]
	ds_load_b128 v[34:37], v45 offset:32
	ds_load_b128 v[38:41], v45 offset:2080
	ds_load_2addr_b32 v[70:71], v74 offset1:16
	s_wait_dscnt 0x7
	v_pk_fma_f32 v[68:69], v[72:73], v[58:59], v[68:69] op_sel_hi:[1,0,1]
	s_wait_dscnt 0x6
	v_pk_fma_f32 v[66:67], v[72:73], v[62:63], v[66:67] op_sel_hi:[1,0,1]
	ds_load_2addr_b32 v[72:73], v74 offset0:32 offset1:48
	s_wait_dscnt 0x6
	v_pk_fma_f32 v[58:59], v[42:43], v[58:59], v[68:69] op_sel:[0,1,0]
	v_pk_fma_f32 v[42:43], v[42:43], v[62:63], v[66:67] op_sel:[0,1,0]
	ds_load_2addr_b32 v[62:63], v74 offset0:64 offset1:80
	v_dual_mov_b32 v66, v61 :: v_dual_mov_b32 v68, v65
	s_wait_dscnt 0x6
	v_pk_fma_f32 v[58:59], v[54:55], v[60:61], v[58:59] op_sel_hi:[1,0,1]
	v_pk_fma_f32 v[42:43], v[54:55], v[64:65], v[42:43] op_sel_hi:[1,0,1]
	ds_load_2addr_b32 v[64:65], v74 offset0:96 offset1:112
	s_wait_dscnt 0x6
	v_pk_fma_f32 v[66:67], v[56:57], v[66:67], v[58:59] op_sel_hi:[1,0,1]
	v_pk_fma_f32 v[42:43], v[56:57], v[68:69], v[42:43] op_sel_hi:[1,0,1]
	ds_load_b128 v[54:57], v45 offset:48
	ds_load_b128 v[58:61], v45 offset:2096
	ds_load_2addr_b32 v[68:69], v74 offset0:128 offset1:144
	s_wait_dscnt 0x6
	v_pk_fma_f32 v[66:67], v[70:71], v[34:35], v[66:67] op_sel_hi:[1,0,1]
	v_pk_fma_f32 v[42:43], v[70:71], v[38:39], v[42:43] op_sel_hi:[1,0,1]
	ds_load_2addr_b32 v[70:71], v74 offset0:160 offset1:176
	s_wait_dscnt 0x6
	v_pk_fma_f32 v[34:35], v[72:73], v[34:35], v[66:67] op_sel:[0,1,0]
	v_pk_fma_f32 v[38:39], v[72:73], v[38:39], v[42:43] op_sel:[0,1,0]
	ds_load_2addr_b32 v[42:43], v74 offset0:192 offset1:208
	v_dual_mov_b32 v66, v37 :: v_dual_mov_b32 v72, v41
	s_wait_dscnt 0x6
	v_pk_fma_f32 v[34:35], v[62:63], v[36:37], v[34:35] op_sel_hi:[1,0,1]
	v_pk_fma_f32 v[36:37], v[62:63], v[40:41], v[38:39] op_sel_hi:[1,0,1]
	ds_load_2addr_b32 v[62:63], v74 offset0:224 offset1:240
	s_wait_dscnt 0x6
	v_pk_fma_f32 v[66:67], v[64:65], v[66:67], v[34:35] op_sel_hi:[1,0,1]
	v_pk_fma_f32 v[64:65], v[64:65], v[72:73], v[36:37] op_sel_hi:[1,0,1]
	ds_load_b128 v[34:37], v45 offset:64
	ds_load_b128 v[38:41], v45 offset:2112
	ds_load_2addr_b32 v[72:73], v76 offset1:16
	ds_load_2addr_b32 v[74:75], v76 offset0:96 offset1:112
	s_wait_dscnt 0x7
	v_pk_fma_f32 v[66:67], v[68:69], v[54:55], v[66:67] op_sel_hi:[1,0,1]
	v_pk_fma_f32 v[64:65], v[68:69], v[58:59], v[64:65] op_sel_hi:[1,0,1]
	ds_load_2addr_b32 v[68:69], v76 offset0:32 offset1:48
	s_wait_dscnt 0x7
	v_pk_fma_f32 v[54:55], v[70:71], v[54:55], v[66:67] op_sel:[0,1,0]
	v_pk_fma_f32 v[58:59], v[70:71], v[58:59], v[64:65] op_sel:[0,1,0]
	ds_load_2addr_b32 v[64:65], v76 offset0:64 offset1:80
	v_dual_mov_b32 v66, v57 :: v_dual_mov_b32 v70, v61
	s_wait_dscnt 0x7
	v_pk_fma_f32 v[54:55], v[42:43], v[56:57], v[54:55] op_sel_hi:[1,0,1]
	v_pk_fma_f32 v[42:43], v[42:43], v[60:61], v[58:59] op_sel_hi:[1,0,1]
	s_wait_dscnt 0x6
	s_delay_alu instid0(VALU_DEP_2) | instskip(NEXT) | instid1(VALU_DEP_2)
	v_pk_fma_f32 v[66:67], v[62:63], v[66:67], v[54:55] op_sel_hi:[1,0,1]
	v_pk_fma_f32 v[42:43], v[62:63], v[70:71], v[42:43] op_sel_hi:[1,0,1]
	ds_load_b128 v[54:57], v45 offset:80
	ds_load_b128 v[58:61], v45 offset:2128
	ds_load_2addr_b32 v[62:63], v76 offset0:128 offset1:144
	ds_load_2addr_b32 v[70:71], v76 offset0:160 offset1:176
	v_add_nc_u32_e32 v77, 0xc00, v47
	s_wait_dscnt 0x7
	v_pk_fma_f32 v[66:67], v[72:73], v[34:35], v[66:67] op_sel_hi:[1,0,1]
	v_pk_fma_f32 v[42:43], v[72:73], v[38:39], v[42:43] op_sel_hi:[1,0,1]
	s_wait_dscnt 0x5
	s_delay_alu instid0(VALU_DEP_2) | instskip(SKIP_1) | instid1(VALU_DEP_3)
	v_pk_fma_f32 v[34:35], v[68:69], v[34:35], v[66:67] op_sel:[0,1,0]
	v_mov_b32_e32 v66, v37
	v_pk_fma_f32 v[38:39], v[68:69], v[38:39], v[42:43] op_sel:[0,1,0]
	ds_load_2addr_b32 v[42:43], v76 offset0:192 offset1:208
	v_mov_b32_e32 v68, v41
	s_wait_dscnt 0x5
	v_pk_fma_f32 v[34:35], v[64:65], v[36:37], v[34:35] op_sel_hi:[1,0,1]
	v_pk_fma_f32 v[36:37], v[64:65], v[40:41], v[38:39] op_sel_hi:[1,0,1]
	ds_load_2addr_b32 v[64:65], v76 offset0:224 offset1:240
	v_pk_fma_f32 v[66:67], v[74:75], v[66:67], v[34:35] op_sel_hi:[1,0,1]
	v_pk_fma_f32 v[68:69], v[74:75], v[68:69], v[36:37] op_sel_hi:[1,0,1]
	s_wait_dscnt 0x3
	s_delay_alu instid0(VALU_DEP_2) | instskip(NEXT) | instid1(VALU_DEP_2)
	v_pk_fma_f32 v[66:67], v[62:63], v[54:55], v[66:67] op_sel_hi:[1,0,1]
	v_pk_fma_f32 v[62:63], v[62:63], v[58:59], v[68:69] op_sel_hi:[1,0,1]
	s_wait_dscnt 0x2
	s_delay_alu instid0(VALU_DEP_2)
	v_pk_fma_f32 v[54:55], v[70:71], v[54:55], v[66:67] op_sel:[0,1,0]
	v_mov_b32_e32 v66, v57
	ds_load_b128 v[34:37], v45 offset:96
	ds_load_b128 v[38:41], v45 offset:2144
	ds_load_2addr_b32 v[72:73], v77 offset1:16
	ds_load_2addr_b32 v[68:69], v77 offset0:32 offset1:48
	v_pk_fma_f32 v[58:59], v[70:71], v[58:59], v[62:63] op_sel:[0,1,0]
	s_wait_dscnt 0x5
	v_pk_fma_f32 v[54:55], v[42:43], v[56:57], v[54:55] op_sel_hi:[1,0,1]
	ds_load_2addr_b32 v[62:63], v77 offset0:64 offset1:80
	v_mov_b32_e32 v70, v61
	ds_load_2addr_b32 v[74:75], v77 offset0:96 offset1:112
	v_pk_fma_f32 v[42:43], v[42:43], v[60:61], v[58:59] op_sel_hi:[1,0,1]
	s_wait_dscnt 0x6
	v_pk_fma_f32 v[66:67], v[64:65], v[66:67], v[54:55] op_sel_hi:[1,0,1]
	s_wait_dscnt 0x3
	s_delay_alu instid0(VALU_DEP_1) | instskip(SKIP_1) | instid1(VALU_DEP_1)
	v_pk_fma_f32 v[66:67], v[72:73], v[34:35], v[66:67] op_sel_hi:[1,0,1]
	s_wait_dscnt 0x2
	v_pk_fma_f32 v[34:35], v[68:69], v[34:35], v[66:67] op_sel:[0,1,0]
	v_mov_b32_e32 v66, v37
	v_pk_fma_f32 v[42:43], v[64:65], v[70:71], v[42:43] op_sel_hi:[1,0,1]
	ds_load_b128 v[54:57], v45 offset:112
	ds_load_b128 v[58:61], v45 offset:2160
	ds_load_2addr_b32 v[64:65], v77 offset0:128 offset1:144
	ds_load_2addr_b32 v[70:71], v77 offset0:160 offset1:176
	s_wait_dscnt 0x5
	v_pk_fma_f32 v[34:35], v[62:63], v[36:37], v[34:35] op_sel_hi:[1,0,1]
	v_pk_fma_f32 v[42:43], v[72:73], v[38:39], v[42:43] op_sel_hi:[1,0,1]
	s_wait_dscnt 0x4
	s_delay_alu instid0(VALU_DEP_2) | instskip(NEXT) | instid1(VALU_DEP_2)
	v_pk_fma_f32 v[34:35], v[74:75], v[66:67], v[34:35] op_sel_hi:[1,0,1]
	v_pk_fma_f32 v[38:39], v[68:69], v[38:39], v[42:43] op_sel:[0,1,0]
	ds_load_2addr_b32 v[42:43], v77 offset0:192 offset1:208
	v_mov_b32_e32 v68, v41
	v_pk_fma_f32 v[36:37], v[62:63], v[40:41], v[38:39] op_sel_hi:[1,0,1]
	ds_load_2addr_b32 v[38:39], v77 offset0:224 offset1:240
	s_wait_dscnt 0x0
	s_barrier_signal -1
	v_mov_b32_e32 v40, v57
	v_pk_fma_f32 v[36:37], v[74:75], v[68:69], v[36:37] op_sel_hi:[1,0,1]
	v_pk_fma_f32 v[34:35], v[64:65], v[54:55], v[34:35] op_sel_hi:[1,0,1]
	s_barrier_wait -1
	s_delay_alu instid0(VALU_DEP_2) | instskip(NEXT) | instid1(VALU_DEP_2)
	v_pk_fma_f32 v[36:37], v[64:65], v[58:59], v[36:37] op_sel_hi:[1,0,1]
	v_pk_fma_f32 v[34:35], v[70:71], v[54:55], v[34:35] op_sel:[0,1,0]
	v_mov_b32_e32 v54, v61
	s_delay_alu instid0(VALU_DEP_3) | instskip(NEXT) | instid1(VALU_DEP_3)
	v_pk_fma_f32 v[36:37], v[70:71], v[58:59], v[36:37] op_sel:[0,1,0]
	v_pk_fma_f32 v[34:35], v[42:43], v[56:57], v[34:35] op_sel_hi:[1,0,1]
	s_delay_alu instid0(VALU_DEP_2) | instskip(NEXT) | instid1(VALU_DEP_2)
	v_pk_fma_f32 v[42:43], v[42:43], v[60:61], v[36:37] op_sel_hi:[1,0,1]
	v_pk_fma_f32 v[36:37], v[38:39], v[40:41], v[34:35] op_sel_hi:[1,0,1]
	s_delay_alu instid0(VALU_DEP_2)
	v_pk_fma_f32 v[34:35], v[38:39], v[54:55], v[42:43] op_sel_hi:[1,0,1]
	s_cbranch_scc1 .LBB18_48
.LBB18_11:                              ;   Parent Loop BB18_4 Depth=1
                                        ;     Parent Loop BB18_8 Depth=2
                                        ; =>    This Inner Loop Header: Depth=3
	v_add_nc_u64_e32 v[40:41], s[54:55], v[10:11]
	v_cmp_eq_u64_e64 s7, s[54:55], v[24:25]
	v_add_nc_u64_e32 v[38:39], v[18:19], v[14:15]
                                        ; implicit-def: $vgpr54
	s_delay_alu instid0(VALU_DEP_3) | instskip(SKIP_3) | instid1(SALU_CYCLE_1)
	v_cmp_lt_i64_e64 s5, v[40:41], v[12:13]
	v_cmp_le_i64_e64 s6, s[42:43], v[40:41]
	s_and_b32 s63, s58, s7
	s_or_b32 s8, vcc_lo, s5
	s_or_b32 s7, s6, s8
	s_delay_alu instid0(SALU_CYCLE_1) | instskip(NEXT) | instid1(SALU_CYCLE_1)
	s_nor_b32 s7, s7, s63
	s_and_saveexec_b32 s8, s7
	s_delay_alu instid0(SALU_CYCLE_1)
	s_xor_b32 s7, exec_lo, s8
	s_cbranch_execz .LBB18_13
; %bb.12:                               ;   in Loop: Header=BB18_11 Depth=3
	global_load_b32 v54, v[38:39], off
.LBB18_13:                              ;   in Loop: Header=BB18_11 Depth=3
	s_wait_xcnt 0x0
	s_and_not1_saveexec_b32 s7, s7
	s_cbranch_execz .LBB18_15
; %bb.14:                               ;   in Loop: Header=BB18_11 Depth=3
	s_wait_loadcnt 0x0
	v_cndmask_b32_e64 v54, 0, 1.0, s63
.LBB18_15:                              ;   in Loop: Header=BB18_11 Depth=3
	s_or_b32 exec_lo, exec_lo, s7
	v_add_nc_u64_e32 v[42:43], 16, v[40:41]
	v_cmp_eq_u64_e64 s9, s[54:55], v[30:31]
	s_wait_loadcnt 0x0
	ds_store_b32 v46, v54
	v_cmp_lt_i64_e64 s8, v[42:43], v[12:13]
	v_cmp_le_i64_e64 s7, s[42:43], v[42:43]
	v_add_nc_u64_e32 v[42:43], v[20:21], v[14:15]
	s_and_b32 s9, s58, s9
	s_or_b32 s8, vcc_lo, s8
	s_delay_alu instid0(SALU_CYCLE_1) | instskip(NEXT) | instid1(SALU_CYCLE_1)
	s_or_b32 s8, s7, s8
	s_nor_b32 s8, s8, s9
	s_delay_alu instid0(SALU_CYCLE_1) | instskip(NEXT) | instid1(SALU_CYCLE_1)
	s_and_saveexec_b32 s64, s8
	s_xor_b32 s8, exec_lo, s64
	s_cbranch_execz .LBB18_17
; %bb.16:                               ;   in Loop: Header=BB18_11 Depth=3
	global_load_b32 v54, v[42:43], off
	s_wait_loadcnt 0x0
	ds_store_b32 v46, v54 offset:64
.LBB18_17:                              ;   in Loop: Header=BB18_11 Depth=3
	s_wait_xcnt 0x0
	s_and_not1_saveexec_b32 s8, s8
	s_cbranch_execz .LBB18_23
; %bb.18:                               ;   in Loop: Header=BB18_11 Depth=3
	s_xor_b32 s9, s9, -1
	s_delay_alu instid0(SALU_CYCLE_1) | instskip(NEXT) | instid1(SALU_CYCLE_1)
	s_and_saveexec_b32 s64, s9
	s_xor_b32 s9, exec_lo, s64
; %bb.19:                               ;   in Loop: Header=BB18_11 Depth=3
	ds_store_b32 v46, v51 offset:64
; %bb.20:                               ;   in Loop: Header=BB18_11 Depth=3
	s_and_not1_saveexec_b32 s9, s9
; %bb.21:                               ;   in Loop: Header=BB18_11 Depth=3
	ds_store_b32 v46, v52 offset:64
; %bb.22:                               ;   in Loop: Header=BB18_11 Depth=3
	s_or_b32 exec_lo, exec_lo, s9
.LBB18_23:                              ;   in Loop: Header=BB18_11 Depth=3
	s_delay_alu instid0(SALU_CYCLE_1) | instskip(SKIP_4) | instid1(SALU_CYCLE_1)
	s_or_b32 exec_lo, exec_lo, s8
	v_cmp_eq_u64_e64 s8, s[54:55], v[28:29]
	v_cmp_lt_i64_e64 s9, v[40:41], v[26:27]
                                        ; implicit-def: $vgpr40
	s_and_b32 s8, s58, s8
	s_or_b32 s9, s4, s9
	s_or_b32 s9, s9, s8
	s_delay_alu instid0(SALU_CYCLE_1) | instskip(NEXT) | instid1(SALU_CYCLE_1)
	s_nor_b32 s6, s6, s9
	s_and_saveexec_b32 s9, s6
	s_delay_alu instid0(SALU_CYCLE_1)
	s_xor_b32 s6, exec_lo, s9
	s_cbranch_execz .LBB18_25
; %bb.24:                               ;   in Loop: Header=BB18_11 Depth=3
	global_load_b32 v40, v[38:39], off offset:64
.LBB18_25:                              ;   in Loop: Header=BB18_11 Depth=3
	s_wait_xcnt 0x0
	s_and_not1_saveexec_b32 s6, s6
	s_cbranch_execz .LBB18_27
; %bb.26:                               ;   in Loop: Header=BB18_11 Depth=3
	s_wait_loadcnt 0x0
	v_cndmask_b32_e64 v40, 0, 1.0, s8
.LBB18_27:                              ;   in Loop: Header=BB18_11 Depth=3
	s_or_b32 exec_lo, exec_lo, s6
	s_or_b32 s5, s4, s5
	s_wait_loadcnt 0x0
	ds_store_b32 v46, v40 offset:2048
	s_or_b32 s5, s7, s5
	s_delay_alu instid0(SALU_CYCLE_1) | instskip(NEXT) | instid1(SALU_CYCLE_1)
	s_nor_b32 s5, s5, s63
	s_and_saveexec_b32 s6, s5
	s_delay_alu instid0(SALU_CYCLE_1)
	s_xor_b32 s5, exec_lo, s6
	s_cbranch_execz .LBB18_29
; %bb.28:                               ;   in Loop: Header=BB18_11 Depth=3
	global_load_b32 v38, v[42:43], off offset:64
	s_wait_loadcnt 0x0
	ds_store_b32 v46, v38 offset:2112
.LBB18_29:                              ;   in Loop: Header=BB18_11 Depth=3
	s_wait_xcnt 0x0
	s_and_not1_saveexec_b32 s5, s5
	s_cbranch_execz .LBB18_35
; %bb.30:                               ;   in Loop: Header=BB18_11 Depth=3
	s_xor_b32 s6, s63, -1
	s_delay_alu instid0(SALU_CYCLE_1) | instskip(NEXT) | instid1(SALU_CYCLE_1)
	s_and_saveexec_b32 s7, s6
	s_xor_b32 s6, exec_lo, s7
; %bb.31:                               ;   in Loop: Header=BB18_11 Depth=3
	ds_store_b32 v46, v51 offset:2112
; %bb.32:                               ;   in Loop: Header=BB18_11 Depth=3
	s_and_not1_saveexec_b32 s6, s6
; %bb.33:                               ;   in Loop: Header=BB18_11 Depth=3
	ds_store_b32 v46, v52 offset:2112
; %bb.34:                               ;   in Loop: Header=BB18_11 Depth=3
	s_or_b32 exec_lo, exec_lo, s6
.LBB18_35:                              ;   in Loop: Header=BB18_11 Depth=3
	s_delay_alu instid0(SALU_CYCLE_1) | instskip(SKIP_3) | instid1(VALU_DEP_3)
	s_or_b32 exec_lo, exec_lo, s5
	v_add_nc_u64_e32 v[38:39], s[54:55], v[8:9]
	v_add_nc_u64_e32 v[40:41], v[32:33], v[16:17]
	v_mov_b32_e32 v42, 0
	v_cmp_le_i64_e64 s5, s[42:43], v[38:39]
	s_nor_b32 s7, s5, s1
	s_delay_alu instid0(SALU_CYCLE_1)
	s_and_saveexec_b32 s6, s7
	s_cbranch_execz .LBB18_37
; %bb.36:                               ;   in Loop: Header=BB18_11 Depth=3
	global_load_b32 v42, v[40:41], off offset:-64
.LBB18_37:                              ;   in Loop: Header=BB18_11 Depth=3
	s_wait_xcnt 0x0
	s_or_b32 exec_lo, exec_lo, s6
	s_nor_b32 s5, s5, s2
	s_wait_loadcnt 0x0
	ds_store_b32 v48, v42
	s_and_saveexec_b32 s6, s5
	s_delay_alu instid0(SALU_CYCLE_1)
	s_xor_b32 s5, exec_lo, s6
	s_cbranch_execz .LBB18_39
; %bb.38:                               ;   in Loop: Header=BB18_11 Depth=3
	global_load_b32 v40, v[40:41], off
	s_wait_loadcnt 0x0
	ds_store_b32 v48, v40 offset:64
.LBB18_39:                              ;   in Loop: Header=BB18_11 Depth=3
	s_wait_xcnt 0x0
	s_and_not1_saveexec_b32 s5, s5
; %bb.40:                               ;   in Loop: Header=BB18_11 Depth=3
	ds_store_b32 v48, v51 offset:64
; %bb.41:                               ;   in Loop: Header=BB18_11 Depth=3
	s_or_b32 exec_lo, exec_lo, s5
	v_cmp_le_i64_e64 s5, s[50:51], v[38:39]
	v_add_nc_u64_e32 v[38:39], v[32:33], v[22:23]
	v_mov_b32_e32 v40, 0
	s_nor_b32 s7, s5, s1
	s_delay_alu instid0(SALU_CYCLE_1)
	s_and_saveexec_b32 s6, s7
	s_cbranch_execz .LBB18_43
; %bb.42:                               ;   in Loop: Header=BB18_11 Depth=3
	global_load_b32 v40, v[38:39], off offset:-64
.LBB18_43:                              ;   in Loop: Header=BB18_11 Depth=3
	s_wait_xcnt 0x0
	s_or_b32 exec_lo, exec_lo, s6
	s_nor_b32 s5, s5, s2
	s_wait_loadcnt 0x0
	ds_store_b32 v48, v40 offset:2048
	s_and_saveexec_b32 s6, s5
	s_delay_alu instid0(SALU_CYCLE_1)
	s_xor_b32 s5, exec_lo, s6
	s_cbranch_execz .LBB18_45
; %bb.44:                               ;   in Loop: Header=BB18_11 Depth=3
	global_load_b32 v38, v[38:39], off
	s_wait_loadcnt 0x0
	ds_store_b32 v48, v38 offset:2112
.LBB18_45:                              ;   in Loop: Header=BB18_11 Depth=3
	s_wait_xcnt 0x0
	s_and_not1_saveexec_b32 s5, s5
	s_cbranch_execz .LBB18_10
; %bb.46:                               ;   in Loop: Header=BB18_11 Depth=3
	ds_store_b32 v48, v51 offset:2112
	s_branch .LBB18_10
.LBB18_47:                              ;   in Loop: Header=BB18_8 Depth=2
	v_mov_b32_e32 v37, 0
	s_delay_alu instid0(VALU_DEP_1)
	v_dual_mov_b32 v36, v37 :: v_dual_mov_b32 v35, v37
	v_mov_b32_e32 v34, v37
.LBB18_48:                              ;   in Loop: Header=BB18_8 Depth=2
	v_mul_u64_e32 v[14:15], s[28:29], v[12:13]
	v_cmp_gt_i32_e32 vcc_lo, s10, v12
	s_and_b32 s5, s0, vcc_lo
	s_delay_alu instid0(VALU_DEP_2)
	v_lshl_add_u64 v[14:15], v[14:15], 2, s[52:53]
	s_and_saveexec_b32 s4, s5
	s_cbranch_execz .LBB18_50
; %bb.49:                               ;   in Loop: Header=BB18_8 Depth=2
	s_delay_alu instid0(VALU_DEP_1)
	v_lshl_add_u64 v[16:17], v[0:1], 2, v[14:15]
	global_load_b32 v9, v[16:17], off
	s_wait_loadcnt 0x0
	v_fmac_f32_e32 v9, v53, v36
	global_store_b32 v[16:17], v9, off
.LBB18_50:                              ;   in Loop: Header=BB18_8 Depth=2
	s_wait_xcnt 0x0
	s_or_b32 exec_lo, exec_lo, s4
	s_and_b32 s5, s3, vcc_lo
	s_delay_alu instid0(SALU_CYCLE_1)
	s_and_saveexec_b32 s4, s5
	s_cbranch_execz .LBB18_52
; %bb.51:                               ;   in Loop: Header=BB18_8 Depth=2
	v_lshl_add_u64 v[14:15], v[2:3], 2, v[14:15]
	global_load_b32 v9, v[14:15], off
	s_wait_loadcnt 0x0
	v_fmac_f32_e32 v9, v53, v37
	global_store_b32 v[14:15], v9, off
.LBB18_52:                              ;   in Loop: Header=BB18_8 Depth=2
	s_wait_xcnt 0x0
	s_or_b32 exec_lo, exec_lo, s4
	v_add_nc_u32_e32 v12, 16, v12
	s_delay_alu instid0(VALU_DEP_1) | instskip(SKIP_1) | instid1(VALU_DEP_2)
	v_ashrrev_i32_e32 v13, 31, v12
	v_cmp_gt_i32_e32 vcc_lo, s10, v12
	v_mul_u64_e32 v[14:15], s[28:29], v[12:13]
	s_and_b32 s5, s0, vcc_lo
	s_delay_alu instid0(VALU_DEP_1)
	v_lshl_add_u64 v[12:13], v[14:15], 2, s[52:53]
	s_and_saveexec_b32 s4, s5
	s_cbranch_execz .LBB18_54
; %bb.53:                               ;   in Loop: Header=BB18_8 Depth=2
	s_delay_alu instid0(VALU_DEP_1)
	v_lshl_add_u64 v[14:15], v[0:1], 2, v[12:13]
	global_load_b32 v9, v[14:15], off
	s_wait_loadcnt 0x0
	v_fmac_f32_e32 v9, v53, v34
	global_store_b32 v[14:15], v9, off
.LBB18_54:                              ;   in Loop: Header=BB18_8 Depth=2
	s_wait_xcnt 0x0
	s_or_b32 exec_lo, exec_lo, s4
	s_and_b32 s5, s3, vcc_lo
	s_delay_alu instid0(SALU_CYCLE_1)
	s_and_saveexec_b32 s4, s5
	s_cbranch_execz .LBB18_7
; %bb.55:                               ;   in Loop: Header=BB18_8 Depth=2
	v_lshl_add_u64 v[12:13], v[2:3], 2, v[12:13]
	global_load_b32 v9, v[12:13], off
	s_wait_loadcnt 0x0
	v_fmac_f32_e32 v9, v53, v35
	global_store_b32 v[12:13], v9, off
	s_branch .LBB18_7
.LBB18_56:
	s_sendmsg sendmsg(MSG_DEALLOC_VGPRS)
	s_endpgm
	.section	.rodata,"a",@progbits
	.p2align	6, 0x0
	.amdhsa_kernel _ZL30rocblas_trmm_outofplace_kernelIfLi32ELi2ELb0ELb1ELb1ELb0EPKfS0_fEv17rocblas_diagonal_iiT6_lPT7_lllS5_lllPT8_llli
		.amdhsa_group_segment_fixed_size 8192
		.amdhsa_private_segment_fixed_size 0
		.amdhsa_kernarg_size 392
		.amdhsa_user_sgpr_count 2
		.amdhsa_user_sgpr_dispatch_ptr 0
		.amdhsa_user_sgpr_queue_ptr 0
		.amdhsa_user_sgpr_kernarg_segment_ptr 1
		.amdhsa_user_sgpr_dispatch_id 0
		.amdhsa_user_sgpr_kernarg_preload_length 0
		.amdhsa_user_sgpr_kernarg_preload_offset 0
		.amdhsa_user_sgpr_private_segment_size 0
		.amdhsa_wavefront_size32 1
		.amdhsa_uses_dynamic_stack 0
		.amdhsa_enable_private_segment 0
		.amdhsa_system_sgpr_workgroup_id_x 1
		.amdhsa_system_sgpr_workgroup_id_y 1
		.amdhsa_system_sgpr_workgroup_id_z 1
		.amdhsa_system_sgpr_workgroup_info 0
		.amdhsa_system_vgpr_workitem_id 1
		.amdhsa_next_free_vgpr 78
		.amdhsa_next_free_sgpr 65
		.amdhsa_named_barrier_count 0
		.amdhsa_reserve_vcc 1
		.amdhsa_float_round_mode_32 0
		.amdhsa_float_round_mode_16_64 0
		.amdhsa_float_denorm_mode_32 3
		.amdhsa_float_denorm_mode_16_64 3
		.amdhsa_fp16_overflow 0
		.amdhsa_memory_ordered 1
		.amdhsa_forward_progress 1
		.amdhsa_inst_pref_size 25
		.amdhsa_round_robin_scheduling 0
		.amdhsa_exception_fp_ieee_invalid_op 0
		.amdhsa_exception_fp_denorm_src 0
		.amdhsa_exception_fp_ieee_div_zero 0
		.amdhsa_exception_fp_ieee_overflow 0
		.amdhsa_exception_fp_ieee_underflow 0
		.amdhsa_exception_fp_ieee_inexact 0
		.amdhsa_exception_int_div_zero 0
	.end_amdhsa_kernel
	.section	.text._ZL30rocblas_trmm_outofplace_kernelIfLi32ELi2ELb0ELb1ELb1ELb0EPKfS0_fEv17rocblas_diagonal_iiT6_lPT7_lllS5_lllPT8_llli,"axG",@progbits,_ZL30rocblas_trmm_outofplace_kernelIfLi32ELi2ELb0ELb1ELb1ELb0EPKfS0_fEv17rocblas_diagonal_iiT6_lPT7_lllS5_lllPT8_llli,comdat
.Lfunc_end18:
	.size	_ZL30rocblas_trmm_outofplace_kernelIfLi32ELi2ELb0ELb1ELb1ELb0EPKfS0_fEv17rocblas_diagonal_iiT6_lPT7_lllS5_lllPT8_llli, .Lfunc_end18-_ZL30rocblas_trmm_outofplace_kernelIfLi32ELi2ELb0ELb1ELb1ELb0EPKfS0_fEv17rocblas_diagonal_iiT6_lPT7_lllS5_lllPT8_llli
                                        ; -- End function
	.set _ZL30rocblas_trmm_outofplace_kernelIfLi32ELi2ELb0ELb1ELb1ELb0EPKfS0_fEv17rocblas_diagonal_iiT6_lPT7_lllS5_lllPT8_llli.num_vgpr, 78
	.set _ZL30rocblas_trmm_outofplace_kernelIfLi32ELi2ELb0ELb1ELb1ELb0EPKfS0_fEv17rocblas_diagonal_iiT6_lPT7_lllS5_lllPT8_llli.num_agpr, 0
	.set _ZL30rocblas_trmm_outofplace_kernelIfLi32ELi2ELb0ELb1ELb1ELb0EPKfS0_fEv17rocblas_diagonal_iiT6_lPT7_lllS5_lllPT8_llli.numbered_sgpr, 65
	.set _ZL30rocblas_trmm_outofplace_kernelIfLi32ELi2ELb0ELb1ELb1ELb0EPKfS0_fEv17rocblas_diagonal_iiT6_lPT7_lllS5_lllPT8_llli.num_named_barrier, 0
	.set _ZL30rocblas_trmm_outofplace_kernelIfLi32ELi2ELb0ELb1ELb1ELb0EPKfS0_fEv17rocblas_diagonal_iiT6_lPT7_lllS5_lllPT8_llli.private_seg_size, 0
	.set _ZL30rocblas_trmm_outofplace_kernelIfLi32ELi2ELb0ELb1ELb1ELb0EPKfS0_fEv17rocblas_diagonal_iiT6_lPT7_lllS5_lllPT8_llli.uses_vcc, 1
	.set _ZL30rocblas_trmm_outofplace_kernelIfLi32ELi2ELb0ELb1ELb1ELb0EPKfS0_fEv17rocblas_diagonal_iiT6_lPT7_lllS5_lllPT8_llli.uses_flat_scratch, 0
	.set _ZL30rocblas_trmm_outofplace_kernelIfLi32ELi2ELb0ELb1ELb1ELb0EPKfS0_fEv17rocblas_diagonal_iiT6_lPT7_lllS5_lllPT8_llli.has_dyn_sized_stack, 0
	.set _ZL30rocblas_trmm_outofplace_kernelIfLi32ELi2ELb0ELb1ELb1ELb0EPKfS0_fEv17rocblas_diagonal_iiT6_lPT7_lllS5_lllPT8_llli.has_recursion, 0
	.set _ZL30rocblas_trmm_outofplace_kernelIfLi32ELi2ELb0ELb1ELb1ELb0EPKfS0_fEv17rocblas_diagonal_iiT6_lPT7_lllS5_lllPT8_llli.has_indirect_call, 0
	.section	.AMDGPU.csdata,"",@progbits
; Kernel info:
; codeLenInByte = 3168
; TotalNumSgprs: 67
; NumVgprs: 78
; ScratchSize: 0
; MemoryBound: 0
; FloatMode: 240
; IeeeMode: 1
; LDSByteSize: 8192 bytes/workgroup (compile time only)
; SGPRBlocks: 0
; VGPRBlocks: 4
; NumSGPRsForWavesPerEU: 67
; NumVGPRsForWavesPerEU: 78
; NamedBarCnt: 0
; Occupancy: 12
; WaveLimiterHint : 0
; COMPUTE_PGM_RSRC2:SCRATCH_EN: 0
; COMPUTE_PGM_RSRC2:USER_SGPR: 2
; COMPUTE_PGM_RSRC2:TRAP_HANDLER: 0
; COMPUTE_PGM_RSRC2:TGID_X_EN: 1
; COMPUTE_PGM_RSRC2:TGID_Y_EN: 1
; COMPUTE_PGM_RSRC2:TGID_Z_EN: 1
; COMPUTE_PGM_RSRC2:TIDIG_COMP_CNT: 1
	.section	.text._ZL30rocblas_trmm_outofplace_kernelIfLi32ELi2ELb0ELb1ELb1ELb0EfKffEv17rocblas_diagonal_iiT6_lPT7_lllS4_lllPT8_llli,"axG",@progbits,_ZL30rocblas_trmm_outofplace_kernelIfLi32ELi2ELb0ELb1ELb1ELb0EfKffEv17rocblas_diagonal_iiT6_lPT7_lllS4_lllPT8_llli,comdat
	.globl	_ZL30rocblas_trmm_outofplace_kernelIfLi32ELi2ELb0ELb1ELb1ELb0EfKffEv17rocblas_diagonal_iiT6_lPT7_lllS4_lllPT8_llli ; -- Begin function _ZL30rocblas_trmm_outofplace_kernelIfLi32ELi2ELb0ELb1ELb1ELb0EfKffEv17rocblas_diagonal_iiT6_lPT7_lllS4_lllPT8_llli
	.p2align	8
	.type	_ZL30rocblas_trmm_outofplace_kernelIfLi32ELi2ELb0ELb1ELb1ELb0EfKffEv17rocblas_diagonal_iiT6_lPT7_lllS4_lllPT8_llli,@function
_ZL30rocblas_trmm_outofplace_kernelIfLi32ELi2ELb0ELb1ELb1ELb0EfKffEv17rocblas_diagonal_iiT6_lPT7_lllS4_lllPT8_llli: ; @_ZL30rocblas_trmm_outofplace_kernelIfLi32ELi2ELb0ELb1ELb1ELb0EfKffEv17rocblas_diagonal_iiT6_lPT7_lllS4_lllPT8_llli
; %bb.0:
	s_load_b32 s33, s[0:1], 0x78
	s_bfe_u32 s2, ttmp6, 0x40014
	s_lshr_b32 s3, ttmp7, 16
	s_add_co_i32 s2, s2, 1
	s_bfe_u32 s5, ttmp6, 0x40008
	s_mul_i32 s4, s3, s2
	s_getreg_b32 s2, hwreg(HW_REG_IB_STS2, 6, 4)
	s_add_co_i32 s5, s5, s4
	s_cmp_eq_u32 s2, 0
	s_cselect_b32 s34, s3, s5
	s_wait_kmcnt 0x0
	s_cmp_ge_u32 s34, s33
	s_cbranch_scc1 .LBB19_55
; %bb.1:
	s_load_b128 s[36:39], s[0:1], 0x0
	s_wait_kmcnt 0x0
	s_cmp_eq_f32 s39, 0
	s_cbranch_scc1 .LBB19_55
; %bb.2:
	s_add_co_i32 s3, s38, -1
	s_bfe_u32 s6, ttmp6, 0x4000c
	s_ashr_i32 s5, s3, 31
	s_bfe_u32 s7, ttmp6, 0x40010
	s_lshr_b32 s5, s5, 27
	s_add_co_i32 s6, s6, 1
	s_add_co_i32 s3, s3, s5
	;; [unrolled: 1-line block ×3, first 2 shown]
	s_ashr_i32 s52, s3, 5
	s_and_b32 s3, ttmp7, 0xffff
	s_and_b32 s4, ttmp6, 15
	s_mul_i32 s5, ttmp9, s6
	s_mul_i32 s6, s3, s7
	s_bfe_u32 s7, ttmp6, 0x40004
	s_add_co_i32 s4, s4, s5
	s_add_co_i32 s7, s7, s6
	v_and_b32_e32 v6, 0x3ff, v0
	s_cmp_eq_u32 s2, 0
	s_load_b512 s[8:23], s[0:1], 0x18
	s_cselect_b32 s2, ttmp9, s4
	s_load_b256 s[24:31], s[0:1], 0x58
	v_lshl_add_u32 v2, s2, 5, v6
	v_bfe_u32 v44, v0, 10, 10
	s_cselect_b32 s53, s3, s7
	s_mov_b32 s2, s37
	s_cmp_le_i32 s53, s52
	s_delay_alu instid0(VALU_DEP_1)
	v_dual_ashrrev_i32 v3, 31, v2 :: v_dual_lshlrev_b32 v45, 7, v44
	v_lshlrev_b32_e32 v0, 2, v6
	s_cselect_b32 s54, -1, 0
	s_cmp_eq_u32 s36, 0x84
	v_mov_b32_e32 v51, 0
	s_cselect_b32 s55, -1, 0
	s_ashr_i32 s3, s37, 31
	v_or_b32_e32 v46, 0x1000, v0
	v_sub_nc_u64_e32 v[4:5], s[2:3], v[2:3]
	s_lshl_b32 s6, s53, 5
	v_mov_b32_e32 v52, 1.0
	s_wait_kmcnt 0x0
	s_lshl_b64 s[4:5], s[18:19], 2
	v_dual_add_nc_u32 v48, v46, v45 :: v_dual_add_nc_u32 v47, v45, v0
	v_add_nc_u32_e32 v0, 16, v2
	s_lshl_b64 s[2:3], s[26:27], 2
	s_add_nc_u64 s[26:27], s[0:1], 0x80
	v_cmp_gt_i64_e64 s0, 1, v[4:5]
	v_cmp_gt_i64_e64 s1, 17, v[4:5]
	s_add_nc_u64 s[4:5], s[16:17], s[4:5]
	s_add_nc_u64 s[24:25], s[24:25], s[2:3]
	v_cmp_gt_i32_e64 s2, s37, v2
	v_cmp_gt_i32_e64 s3, s37, v0
	v_dual_ashrrev_i32 v1, 31, v0 :: v_dual_add_nc_u32 v49, s6, v6
	v_add_nc_u32_e32 v50, s6, v44
	v_lshl_add_u64 v[4:5], v[2:3], 2, s[4:5]
	s_ashr_i32 s41, s38, 31
	s_mov_b32 s40, s38
	s_lshl_b64 s[4:5], s[10:11], 2
	s_mov_b32 s35, 0
	s_lshl_b64 s[42:43], s[12:13], 7
	s_lshl_b64 s[44:45], s[20:21], 7
	s_add_nc_u64 s[46:47], s[40:41], -16
	s_lshl_b64 s[16:17], s[20:21], 2
	s_lshl_b64 s[18:19], s[22:23], 2
	s_add_nc_u64 s[10:11], s[8:9], s[4:5]
	s_lshl_b64 s[14:15], s[14:15], 2
	s_lshl_b64 s[22:23], s[12:13], 2
	s_branch .LBB19_4
.LBB19_3:                               ;   in Loop: Header=BB19_4 Depth=1
	s_add_co_i32 s34, s34, 0x10000
	s_delay_alu instid0(SALU_CYCLE_1)
	s_cmp_ge_u32 s34, s33
	s_cbranch_scc1 .LBB19_55
.LBB19_4:                               ; =>This Loop Header: Depth=1
                                        ;     Child Loop BB19_7 Depth 2
                                        ;       Child Loop BB19_10 Depth 3
	s_and_not1_b32 vcc_lo, exec_lo, s54
	s_cbranch_vccnz .LBB19_3
; %bb.5:                                ;   in Loop: Header=BB19_4 Depth=1
	s_load_b32 s56, s[26:27], 0x4
	v_mad_nc_u64_u32 v[6:7], s18, s34, v[4:5]
	s_mul_u64 s[6:7], s[30:31], s[34:35]
	v_dual_mov_b32 v8, v50 :: v_dual_mov_b32 v10, v49
	s_mul_u64 s[4:5], s[14:15], s[34:35]
	s_lshl_b64 s[6:7], s[6:7], 2
	s_add_nc_u64 s[36:37], s[10:11], s[4:5]
	s_add_nc_u64 s[48:49], s[24:25], s[6:7]
	s_mov_b32 s58, s53
	s_delay_alu instid0(VALU_DEP_2)
	v_mad_u32 v7, s19, s34, v7
	s_wait_kmcnt 0x0
	s_lshl_b32 s57, s56, 5
	s_branch .LBB19_7
.LBB19_6:                               ;   in Loop: Header=BB19_7 Depth=2
	s_wait_xcnt 0x0
	s_or_b32 exec_lo, exec_lo, s4
	v_dual_add_nc_u32 v10, s57, v10 :: v_dual_add_nc_u32 v8, s57, v8
	s_add_co_i32 s58, s56, s58
	s_delay_alu instid0(SALU_CYCLE_1)
	s_cmp_gt_i32 s58, s52
	s_cbranch_scc1 .LBB19_3
.LBB19_7:                               ;   Parent Loop BB19_4 Depth=1
                                        ; =>  This Loop Header: Depth=2
                                        ;       Child Loop BB19_10 Depth 3
	s_lshl_b32 s4, s58, 5
	v_ashrrev_i32_e32 v9, 31, v8
	v_dual_add_nc_u32 v12, s4, v44 :: v_dual_ashrrev_i32 v11, 31, v10
	s_sub_co_i32 s59, s38, s4
	s_delay_alu instid0(SALU_CYCLE_1) | instskip(NEXT) | instid1(VALU_DEP_1)
	s_cmp_lt_i32 s59, 1
	v_ashrrev_i32_e32 v13, 31, v12
	s_cbranch_scc1 .LBB19_46
; %bb.8:                                ;   in Loop: Header=BB19_7 Depth=2
	v_lshlrev_b64_e32 v[14:15], 2, v[8:9]
	v_lshl_add_u64 v[30:31], v[10:11], 2, 64
	v_mad_nc_u64_u32 v[16:17], s16, v8, 64
	v_mad_nc_u64_u32 v[18:19], s22, v10, s[36:37]
	v_sub_nc_u64_e32 v[24:25], v[8:9], v[10:11]
	v_add_nc_u64_e32 v[26:27], 16, v[12:13]
	v_mad_nc_u64_u32 v[20:21], s12, v30, s[36:37]
	v_add_nc_u64_e32 v[28:29], 64, v[14:15]
	v_mov_b32_e32 v34, 0
	v_mov_b64_e32 v[32:33], v[6:7]
	s_mov_b64 s[50:51], 0
	v_cmp_le_i32_e32 vcc_lo, s38, v12
	v_cmp_le_i64_e64 s4, s[40:41], v[26:27]
	v_mad_u32 v17, s17, v8, v17
	v_mad_nc_u64_u32 v[22:23], s20, v28, 64
	v_mad_u32 v19, s23, v10, v19
	v_dual_mov_b32 v35, v34 :: v_dual_mov_b32 v36, v34
	v_mad_u32 v21, s13, v30, v21
	v_mov_b32_e32 v37, v34
	v_mad_u32 v17, s16, v9, v17
	v_mad_u32 v23, s21, v28, v23
	;; [unrolled: 1-line block ×4, first 2 shown]
	v_add_nc_u64_e32 v[30:31], -16, v[24:25]
	s_delay_alu instid0(VALU_DEP_4)
	v_mad_u32 v23, s20, v29, v23
	v_add_nc_u64_e32 v[28:29], 16, v[24:25]
	s_branch .LBB19_10
.LBB19_9:                               ;   in Loop: Header=BB19_10 Depth=3
	s_or_b32 exec_lo, exec_lo, s5
	s_wait_dscnt 0x0
	s_barrier_signal -1
	s_barrier_wait -1
	ds_load_b128 v[38:41], v45
	ds_load_2addr_b32 v[42:43], v46 offset1:16
	ds_load_b128 v[54:57], v45 offset:2048
	ds_load_2addr_b32 v[66:67], v46 offset0:32 offset1:48
	ds_load_2addr_b32 v[68:69], v46 offset0:64 offset1:80
	ds_load_2addr_b32 v[70:71], v46 offset0:96 offset1:112
	ds_load_b128 v[58:61], v45 offset:16
	ds_load_2addr_b32 v[72:73], v46 offset0:128 offset1:144
	ds_load_b128 v[62:65], v45 offset:2064
	v_add_nc_u32_e32 v53, 0x400, v46
	v_add_nc_u32_e32 v76, 0x800, v46
	v_add_nc_u64_e32 v[32:33], s[44:45], v[32:33]
	v_add_nc_u64_e32 v[20:21], s[42:43], v[20:21]
	;; [unrolled: 1-line block ×3, first 2 shown]
	s_add_nc_u64 s[50:51], s[50:51], 32
	s_delay_alu instid0(SALU_CYCLE_1)
	s_cmp_ge_i32 s50, s59
	s_wait_dscnt 0x7
	v_pk_fma_f32 v[36:37], v[42:43], v[38:39], v[36:37] op_sel_hi:[1,0,1]
	s_wait_dscnt 0x6
	v_pk_fma_f32 v[34:35], v[42:43], v[54:55], v[34:35] op_sel_hi:[1,0,1]
	ds_load_2addr_b32 v[42:43], v46 offset0:160 offset1:176
	s_wait_dscnt 0x6
	v_pk_fma_f32 v[36:37], v[66:67], v[38:39], v[36:37] op_sel:[0,1,0]
	v_pk_fma_f32 v[34:35], v[66:67], v[54:55], v[34:35] op_sel:[0,1,0]
	v_dual_mov_b32 v38, v41 :: v_dual_mov_b32 v66, v57
	ds_load_2addr_b32 v[54:55], v46 offset0:192 offset1:208
	s_wait_dscnt 0x6
	v_pk_fma_f32 v[36:37], v[68:69], v[40:41], v[36:37] op_sel_hi:[1,0,1]
	v_pk_fma_f32 v[34:35], v[68:69], v[56:57], v[34:35] op_sel_hi:[1,0,1]
	ds_load_2addr_b32 v[56:57], v46 offset0:224 offset1:240
	s_wait_dscnt 0x6
	v_pk_fma_f32 v[68:69], v[70:71], v[38:39], v[36:37] op_sel_hi:[1,0,1]
	v_pk_fma_f32 v[66:67], v[70:71], v[66:67], v[34:35] op_sel_hi:[1,0,1]
	s_wait_dscnt 0x4
	s_delay_alu instid0(VALU_DEP_2) | instskip(SKIP_1) | instid1(VALU_DEP_2)
	v_pk_fma_f32 v[68:69], v[72:73], v[58:59], v[68:69] op_sel_hi:[1,0,1]
	s_wait_dscnt 0x3
	v_pk_fma_f32 v[66:67], v[72:73], v[62:63], v[66:67] op_sel_hi:[1,0,1]
	s_wait_dscnt 0x2
	s_delay_alu instid0(VALU_DEP_2) | instskip(NEXT) | instid1(VALU_DEP_2)
	v_pk_fma_f32 v[58:59], v[42:43], v[58:59], v[68:69] op_sel:[0,1,0]
	v_pk_fma_f32 v[42:43], v[42:43], v[62:63], v[66:67] op_sel:[0,1,0]
	v_mov_b32_e32 v66, v61
	ds_load_b128 v[34:37], v45 offset:32
	ds_load_b128 v[38:41], v45 offset:2080
	ds_load_2addr_b32 v[70:71], v53 offset1:16
	ds_load_2addr_b32 v[72:73], v53 offset0:32 offset1:48
	s_wait_dscnt 0x5
	v_pk_fma_f32 v[58:59], v[54:55], v[60:61], v[58:59] op_sel_hi:[1,0,1]
	ds_load_2addr_b32 v[62:63], v53 offset0:64 offset1:80
	v_mov_b32_e32 v68, v65
	v_pk_fma_f32 v[42:43], v[54:55], v[64:65], v[42:43] op_sel_hi:[1,0,1]
	ds_load_2addr_b32 v[64:65], v53 offset0:96 offset1:112
	s_wait_dscnt 0x6
	v_pk_fma_f32 v[66:67], v[56:57], v[66:67], v[58:59] op_sel_hi:[1,0,1]
	s_wait_dscnt 0x3
	s_delay_alu instid0(VALU_DEP_1) | instskip(SKIP_1) | instid1(VALU_DEP_1)
	v_pk_fma_f32 v[66:67], v[70:71], v[34:35], v[66:67] op_sel_hi:[1,0,1]
	s_wait_dscnt 0x2
	v_pk_fma_f32 v[34:35], v[72:73], v[34:35], v[66:67] op_sel:[0,1,0]
	v_mov_b32_e32 v66, v37
	v_pk_fma_f32 v[42:43], v[56:57], v[68:69], v[42:43] op_sel_hi:[1,0,1]
	ds_load_b128 v[54:57], v45 offset:48
	ds_load_b128 v[58:61], v45 offset:2096
	ds_load_2addr_b32 v[68:69], v53 offset0:128 offset1:144
	s_wait_dscnt 0x4
	v_pk_fma_f32 v[34:35], v[62:63], v[36:37], v[34:35] op_sel_hi:[1,0,1]
	v_pk_fma_f32 v[42:43], v[70:71], v[38:39], v[42:43] op_sel_hi:[1,0,1]
	ds_load_2addr_b32 v[70:71], v53 offset0:160 offset1:176
	s_wait_dscnt 0x4
	v_pk_fma_f32 v[66:67], v[64:65], v[66:67], v[34:35] op_sel_hi:[1,0,1]
	v_pk_fma_f32 v[38:39], v[72:73], v[38:39], v[42:43] op_sel:[0,1,0]
	ds_load_2addr_b32 v[42:43], v53 offset0:192 offset1:208
	v_mov_b32_e32 v72, v41
	v_pk_fma_f32 v[36:37], v[62:63], v[40:41], v[38:39] op_sel_hi:[1,0,1]
	ds_load_2addr_b32 v[62:63], v53 offset0:224 offset1:240
	v_add_nc_u32_e32 v53, 0xc00, v46
	s_wait_dscnt 0x3
	v_pk_fma_f32 v[66:67], v[68:69], v[54:55], v[66:67] op_sel_hi:[1,0,1]
	s_wait_dscnt 0x2
	s_delay_alu instid0(VALU_DEP_1)
	v_pk_fma_f32 v[54:55], v[70:71], v[54:55], v[66:67] op_sel:[0,1,0]
	v_mov_b32_e32 v66, v57
	v_pk_fma_f32 v[64:65], v[64:65], v[72:73], v[36:37] op_sel_hi:[1,0,1]
	ds_load_b128 v[34:37], v45 offset:64
	ds_load_b128 v[38:41], v45 offset:2112
	ds_load_2addr_b32 v[72:73], v76 offset1:16
	ds_load_2addr_b32 v[74:75], v76 offset0:96 offset1:112
	s_wait_dscnt 0x5
	v_pk_fma_f32 v[54:55], v[42:43], v[56:57], v[54:55] op_sel_hi:[1,0,1]
	v_pk_fma_f32 v[64:65], v[68:69], v[58:59], v[64:65] op_sel_hi:[1,0,1]
	ds_load_2addr_b32 v[68:69], v76 offset0:32 offset1:48
	s_wait_dscnt 0x5
	v_pk_fma_f32 v[66:67], v[62:63], v[66:67], v[54:55] op_sel_hi:[1,0,1]
	v_pk_fma_f32 v[58:59], v[70:71], v[58:59], v[64:65] op_sel:[0,1,0]
	ds_load_2addr_b32 v[64:65], v76 offset0:64 offset1:80
	v_mov_b32_e32 v70, v61
	v_pk_fma_f32 v[42:43], v[42:43], v[60:61], v[58:59] op_sel_hi:[1,0,1]
	s_wait_dscnt 0x3
	v_pk_fma_f32 v[66:67], v[72:73], v[34:35], v[66:67] op_sel_hi:[1,0,1]
	s_wait_dscnt 0x1
	s_delay_alu instid0(VALU_DEP_1)
	v_pk_fma_f32 v[34:35], v[68:69], v[34:35], v[66:67] op_sel:[0,1,0]
	v_mov_b32_e32 v66, v37
	v_pk_fma_f32 v[42:43], v[62:63], v[70:71], v[42:43] op_sel_hi:[1,0,1]
	ds_load_b128 v[54:57], v45 offset:80
	ds_load_b128 v[58:61], v45 offset:2128
	ds_load_2addr_b32 v[62:63], v76 offset0:128 offset1:144
	ds_load_2addr_b32 v[70:71], v76 offset0:160 offset1:176
	s_wait_dscnt 0x4
	v_pk_fma_f32 v[34:35], v[64:65], v[36:37], v[34:35] op_sel_hi:[1,0,1]
	v_pk_fma_f32 v[42:43], v[72:73], v[38:39], v[42:43] op_sel_hi:[1,0,1]
	s_delay_alu instid0(VALU_DEP_2) | instskip(NEXT) | instid1(VALU_DEP_2)
	v_pk_fma_f32 v[66:67], v[74:75], v[66:67], v[34:35] op_sel_hi:[1,0,1]
	v_pk_fma_f32 v[38:39], v[68:69], v[38:39], v[42:43] op_sel:[0,1,0]
	ds_load_2addr_b32 v[42:43], v76 offset0:192 offset1:208
	v_mov_b32_e32 v68, v41
	v_pk_fma_f32 v[36:37], v[64:65], v[40:41], v[38:39] op_sel_hi:[1,0,1]
	ds_load_2addr_b32 v[64:65], v76 offset0:224 offset1:240
	v_pk_fma_f32 v[68:69], v[74:75], v[68:69], v[36:37] op_sel_hi:[1,0,1]
	ds_load_b128 v[34:37], v45 offset:96
	ds_load_b128 v[38:41], v45 offset:2144
	ds_load_2addr_b32 v[72:73], v53 offset1:16
	s_wait_dscnt 0x6
	v_pk_fma_f32 v[66:67], v[62:63], v[54:55], v[66:67] op_sel_hi:[1,0,1]
	ds_load_2addr_b32 v[74:75], v53 offset0:96 offset1:112
	v_pk_fma_f32 v[62:63], v[62:63], v[58:59], v[68:69] op_sel_hi:[1,0,1]
	ds_load_2addr_b32 v[68:69], v53 offset0:32 offset1:48
	s_wait_dscnt 0x7
	v_pk_fma_f32 v[54:55], v[70:71], v[54:55], v[66:67] op_sel:[0,1,0]
	v_mov_b32_e32 v66, v57
	v_pk_fma_f32 v[58:59], v[70:71], v[58:59], v[62:63] op_sel:[0,1,0]
	ds_load_2addr_b32 v[62:63], v53 offset0:64 offset1:80
	v_mov_b32_e32 v70, v61
	s_wait_dscnt 0x7
	v_pk_fma_f32 v[54:55], v[42:43], v[56:57], v[54:55] op_sel_hi:[1,0,1]
	v_pk_fma_f32 v[42:43], v[42:43], v[60:61], v[58:59] op_sel_hi:[1,0,1]
	s_wait_dscnt 0x6
	s_delay_alu instid0(VALU_DEP_2) | instskip(NEXT) | instid1(VALU_DEP_2)
	v_pk_fma_f32 v[66:67], v[64:65], v[66:67], v[54:55] op_sel_hi:[1,0,1]
	v_pk_fma_f32 v[42:43], v[64:65], v[70:71], v[42:43] op_sel_hi:[1,0,1]
	ds_load_b128 v[54:57], v45 offset:112
	ds_load_b128 v[58:61], v45 offset:2160
	ds_load_2addr_b32 v[64:65], v53 offset0:128 offset1:144
	ds_load_2addr_b32 v[70:71], v53 offset0:160 offset1:176
	s_wait_dscnt 0x7
	v_pk_fma_f32 v[66:67], v[72:73], v[34:35], v[66:67] op_sel_hi:[1,0,1]
	v_pk_fma_f32 v[42:43], v[72:73], v[38:39], v[42:43] op_sel_hi:[1,0,1]
	s_wait_dscnt 0x5
	s_delay_alu instid0(VALU_DEP_2) | instskip(SKIP_1) | instid1(VALU_DEP_3)
	v_pk_fma_f32 v[34:35], v[68:69], v[34:35], v[66:67] op_sel:[0,1,0]
	v_mov_b32_e32 v66, v37
	v_pk_fma_f32 v[38:39], v[68:69], v[38:39], v[42:43] op_sel:[0,1,0]
	ds_load_2addr_b32 v[42:43], v53 offset0:192 offset1:208
	v_mov_b32_e32 v68, v41
	s_wait_dscnt 0x5
	v_pk_fma_f32 v[34:35], v[62:63], v[36:37], v[34:35] op_sel_hi:[1,0,1]
	v_pk_fma_f32 v[36:37], v[62:63], v[40:41], v[38:39] op_sel_hi:[1,0,1]
	ds_load_2addr_b32 v[38:39], v53 offset0:224 offset1:240
	s_wait_dscnt 0x0
	v_pk_fma_f32 v[34:35], v[74:75], v[66:67], v[34:35] op_sel_hi:[1,0,1]
	v_mov_b32_e32 v40, v57
	v_pk_fma_f32 v[36:37], v[74:75], v[68:69], v[36:37] op_sel_hi:[1,0,1]
	s_barrier_signal -1
	s_barrier_wait -1
	v_pk_fma_f32 v[34:35], v[64:65], v[54:55], v[34:35] op_sel_hi:[1,0,1]
	s_delay_alu instid0(VALU_DEP_2) | instskip(NEXT) | instid1(VALU_DEP_2)
	v_pk_fma_f32 v[36:37], v[64:65], v[58:59], v[36:37] op_sel_hi:[1,0,1]
	v_pk_fma_f32 v[34:35], v[70:71], v[54:55], v[34:35] op_sel:[0,1,0]
	v_mov_b32_e32 v54, v61
	s_delay_alu instid0(VALU_DEP_3) | instskip(NEXT) | instid1(VALU_DEP_3)
	v_pk_fma_f32 v[36:37], v[70:71], v[58:59], v[36:37] op_sel:[0,1,0]
	v_pk_fma_f32 v[34:35], v[42:43], v[56:57], v[34:35] op_sel_hi:[1,0,1]
	s_delay_alu instid0(VALU_DEP_2) | instskip(NEXT) | instid1(VALU_DEP_2)
	v_pk_fma_f32 v[42:43], v[42:43], v[60:61], v[36:37] op_sel_hi:[1,0,1]
	v_pk_fma_f32 v[36:37], v[38:39], v[40:41], v[34:35] op_sel_hi:[1,0,1]
	s_delay_alu instid0(VALU_DEP_2)
	v_pk_fma_f32 v[34:35], v[38:39], v[54:55], v[42:43] op_sel_hi:[1,0,1]
	s_cbranch_scc1 .LBB19_47
.LBB19_10:                              ;   Parent Loop BB19_4 Depth=1
                                        ;     Parent Loop BB19_7 Depth=2
                                        ; =>    This Inner Loop Header: Depth=3
	v_add_nc_u64_e32 v[40:41], s[50:51], v[10:11]
	v_cmp_eq_u64_e64 s7, s[50:51], v[24:25]
	v_add_nc_u64_e32 v[38:39], v[18:19], v[14:15]
                                        ; implicit-def: $vgpr53
	s_delay_alu instid0(VALU_DEP_3) | instskip(SKIP_3) | instid1(SALU_CYCLE_1)
	v_cmp_lt_i64_e64 s5, v[40:41], v[12:13]
	v_cmp_le_i64_e64 s6, s[40:41], v[40:41]
	s_and_b32 s60, s55, s7
	s_or_b32 s8, vcc_lo, s5
	s_or_b32 s7, s6, s8
	s_delay_alu instid0(SALU_CYCLE_1) | instskip(NEXT) | instid1(SALU_CYCLE_1)
	s_nor_b32 s7, s7, s60
	s_and_saveexec_b32 s8, s7
	s_delay_alu instid0(SALU_CYCLE_1)
	s_xor_b32 s7, exec_lo, s8
	s_cbranch_execz .LBB19_12
; %bb.11:                               ;   in Loop: Header=BB19_10 Depth=3
	global_load_b32 v53, v[38:39], off
.LBB19_12:                              ;   in Loop: Header=BB19_10 Depth=3
	s_wait_xcnt 0x0
	s_and_not1_saveexec_b32 s7, s7
	s_cbranch_execz .LBB19_14
; %bb.13:                               ;   in Loop: Header=BB19_10 Depth=3
	s_wait_loadcnt 0x0
	v_cndmask_b32_e64 v53, 0, 1.0, s60
.LBB19_14:                              ;   in Loop: Header=BB19_10 Depth=3
	s_or_b32 exec_lo, exec_lo, s7
	v_add_nc_u64_e32 v[42:43], 16, v[40:41]
	v_cmp_eq_u64_e64 s9, s[50:51], v[30:31]
	s_wait_loadcnt 0x0
	ds_store_b32 v47, v53
	v_cmp_lt_i64_e64 s8, v[42:43], v[12:13]
	v_cmp_le_i64_e64 s7, s[40:41], v[42:43]
	v_add_nc_u64_e32 v[42:43], v[20:21], v[14:15]
	s_and_b32 s9, s55, s9
	s_or_b32 s8, vcc_lo, s8
	s_delay_alu instid0(SALU_CYCLE_1) | instskip(NEXT) | instid1(SALU_CYCLE_1)
	s_or_b32 s8, s7, s8
	s_nor_b32 s8, s8, s9
	s_delay_alu instid0(SALU_CYCLE_1) | instskip(NEXT) | instid1(SALU_CYCLE_1)
	s_and_saveexec_b32 s61, s8
	s_xor_b32 s8, exec_lo, s61
	s_cbranch_execz .LBB19_16
; %bb.15:                               ;   in Loop: Header=BB19_10 Depth=3
	global_load_b32 v53, v[42:43], off
	s_wait_loadcnt 0x0
	ds_store_b32 v47, v53 offset:64
.LBB19_16:                              ;   in Loop: Header=BB19_10 Depth=3
	s_wait_xcnt 0x0
	s_and_not1_saveexec_b32 s8, s8
	s_cbranch_execz .LBB19_22
; %bb.17:                               ;   in Loop: Header=BB19_10 Depth=3
	s_xor_b32 s9, s9, -1
	s_delay_alu instid0(SALU_CYCLE_1) | instskip(NEXT) | instid1(SALU_CYCLE_1)
	s_and_saveexec_b32 s61, s9
	s_xor_b32 s9, exec_lo, s61
; %bb.18:                               ;   in Loop: Header=BB19_10 Depth=3
	ds_store_b32 v47, v51 offset:64
; %bb.19:                               ;   in Loop: Header=BB19_10 Depth=3
	s_and_not1_saveexec_b32 s9, s9
; %bb.20:                               ;   in Loop: Header=BB19_10 Depth=3
	ds_store_b32 v47, v52 offset:64
; %bb.21:                               ;   in Loop: Header=BB19_10 Depth=3
	s_or_b32 exec_lo, exec_lo, s9
.LBB19_22:                              ;   in Loop: Header=BB19_10 Depth=3
	s_delay_alu instid0(SALU_CYCLE_1) | instskip(SKIP_4) | instid1(SALU_CYCLE_1)
	s_or_b32 exec_lo, exec_lo, s8
	v_cmp_eq_u64_e64 s8, s[50:51], v[28:29]
	v_cmp_lt_i64_e64 s9, v[40:41], v[26:27]
                                        ; implicit-def: $vgpr40
	s_and_b32 s8, s55, s8
	s_or_b32 s9, s4, s9
	s_or_b32 s9, s9, s8
	s_delay_alu instid0(SALU_CYCLE_1) | instskip(NEXT) | instid1(SALU_CYCLE_1)
	s_nor_b32 s6, s6, s9
	s_and_saveexec_b32 s9, s6
	s_delay_alu instid0(SALU_CYCLE_1)
	s_xor_b32 s6, exec_lo, s9
	s_cbranch_execz .LBB19_24
; %bb.23:                               ;   in Loop: Header=BB19_10 Depth=3
	global_load_b32 v40, v[38:39], off offset:64
.LBB19_24:                              ;   in Loop: Header=BB19_10 Depth=3
	s_wait_xcnt 0x0
	s_and_not1_saveexec_b32 s6, s6
	s_cbranch_execz .LBB19_26
; %bb.25:                               ;   in Loop: Header=BB19_10 Depth=3
	s_wait_loadcnt 0x0
	v_cndmask_b32_e64 v40, 0, 1.0, s8
.LBB19_26:                              ;   in Loop: Header=BB19_10 Depth=3
	s_or_b32 exec_lo, exec_lo, s6
	s_or_b32 s5, s4, s5
	s_wait_loadcnt 0x0
	ds_store_b32 v47, v40 offset:2048
	s_or_b32 s5, s7, s5
	s_delay_alu instid0(SALU_CYCLE_1) | instskip(NEXT) | instid1(SALU_CYCLE_1)
	s_nor_b32 s5, s5, s60
	s_and_saveexec_b32 s6, s5
	s_delay_alu instid0(SALU_CYCLE_1)
	s_xor_b32 s5, exec_lo, s6
	s_cbranch_execz .LBB19_28
; %bb.27:                               ;   in Loop: Header=BB19_10 Depth=3
	global_load_b32 v38, v[42:43], off offset:64
	s_wait_loadcnt 0x0
	ds_store_b32 v47, v38 offset:2112
.LBB19_28:                              ;   in Loop: Header=BB19_10 Depth=3
	s_wait_xcnt 0x0
	s_and_not1_saveexec_b32 s5, s5
	s_cbranch_execz .LBB19_34
; %bb.29:                               ;   in Loop: Header=BB19_10 Depth=3
	s_xor_b32 s6, s60, -1
	s_delay_alu instid0(SALU_CYCLE_1) | instskip(NEXT) | instid1(SALU_CYCLE_1)
	s_and_saveexec_b32 s7, s6
	s_xor_b32 s6, exec_lo, s7
; %bb.30:                               ;   in Loop: Header=BB19_10 Depth=3
	ds_store_b32 v47, v51 offset:2112
; %bb.31:                               ;   in Loop: Header=BB19_10 Depth=3
	s_and_not1_saveexec_b32 s6, s6
; %bb.32:                               ;   in Loop: Header=BB19_10 Depth=3
	ds_store_b32 v47, v52 offset:2112
; %bb.33:                               ;   in Loop: Header=BB19_10 Depth=3
	s_or_b32 exec_lo, exec_lo, s6
.LBB19_34:                              ;   in Loop: Header=BB19_10 Depth=3
	s_delay_alu instid0(SALU_CYCLE_1) | instskip(SKIP_3) | instid1(VALU_DEP_3)
	s_or_b32 exec_lo, exec_lo, s5
	v_add_nc_u64_e32 v[38:39], s[50:51], v[8:9]
	v_add_nc_u64_e32 v[40:41], v[32:33], v[16:17]
	v_mov_b32_e32 v42, 0
	v_cmp_le_i64_e64 s5, s[40:41], v[38:39]
	s_nor_b32 s7, s5, s0
	s_delay_alu instid0(SALU_CYCLE_1)
	s_and_saveexec_b32 s6, s7
	s_cbranch_execz .LBB19_36
; %bb.35:                               ;   in Loop: Header=BB19_10 Depth=3
	global_load_b32 v42, v[40:41], off offset:-64
.LBB19_36:                              ;   in Loop: Header=BB19_10 Depth=3
	s_wait_xcnt 0x0
	s_or_b32 exec_lo, exec_lo, s6
	s_nor_b32 s5, s5, s1
	s_wait_loadcnt 0x0
	ds_store_b32 v48, v42
	s_and_saveexec_b32 s6, s5
	s_delay_alu instid0(SALU_CYCLE_1)
	s_xor_b32 s5, exec_lo, s6
	s_cbranch_execz .LBB19_38
; %bb.37:                               ;   in Loop: Header=BB19_10 Depth=3
	global_load_b32 v40, v[40:41], off
	s_wait_loadcnt 0x0
	ds_store_b32 v48, v40 offset:64
.LBB19_38:                              ;   in Loop: Header=BB19_10 Depth=3
	s_wait_xcnt 0x0
	s_and_not1_saveexec_b32 s5, s5
; %bb.39:                               ;   in Loop: Header=BB19_10 Depth=3
	ds_store_b32 v48, v51 offset:64
; %bb.40:                               ;   in Loop: Header=BB19_10 Depth=3
	s_or_b32 exec_lo, exec_lo, s5
	v_cmp_le_i64_e64 s5, s[46:47], v[38:39]
	v_add_nc_u64_e32 v[38:39], v[32:33], v[22:23]
	v_mov_b32_e32 v40, 0
	s_nor_b32 s7, s5, s0
	s_delay_alu instid0(SALU_CYCLE_1)
	s_and_saveexec_b32 s6, s7
	s_cbranch_execz .LBB19_42
; %bb.41:                               ;   in Loop: Header=BB19_10 Depth=3
	global_load_b32 v40, v[38:39], off offset:-64
.LBB19_42:                              ;   in Loop: Header=BB19_10 Depth=3
	s_wait_xcnt 0x0
	s_or_b32 exec_lo, exec_lo, s6
	s_nor_b32 s5, s5, s1
	s_wait_loadcnt 0x0
	ds_store_b32 v48, v40 offset:2048
	s_and_saveexec_b32 s6, s5
	s_delay_alu instid0(SALU_CYCLE_1)
	s_xor_b32 s5, exec_lo, s6
	s_cbranch_execz .LBB19_44
; %bb.43:                               ;   in Loop: Header=BB19_10 Depth=3
	global_load_b32 v38, v[38:39], off
	s_wait_loadcnt 0x0
	ds_store_b32 v48, v38 offset:2112
.LBB19_44:                              ;   in Loop: Header=BB19_10 Depth=3
	s_wait_xcnt 0x0
	s_and_not1_saveexec_b32 s5, s5
	s_cbranch_execz .LBB19_9
; %bb.45:                               ;   in Loop: Header=BB19_10 Depth=3
	ds_store_b32 v48, v51 offset:2112
	s_branch .LBB19_9
.LBB19_46:                              ;   in Loop: Header=BB19_7 Depth=2
	v_mov_b32_e32 v37, 0
	s_delay_alu instid0(VALU_DEP_1)
	v_dual_mov_b32 v36, v37 :: v_dual_mov_b32 v35, v37
	v_mov_b32_e32 v34, v37
.LBB19_47:                              ;   in Loop: Header=BB19_7 Depth=2
	v_mul_u64_e32 v[14:15], s[28:29], v[12:13]
	v_cmp_gt_i32_e32 vcc_lo, s38, v12
	s_and_b32 s5, s2, vcc_lo
	s_delay_alu instid0(VALU_DEP_2)
	v_lshl_add_u64 v[14:15], v[14:15], 2, s[48:49]
	s_and_saveexec_b32 s4, s5
	s_cbranch_execz .LBB19_49
; %bb.48:                               ;   in Loop: Header=BB19_7 Depth=2
	s_delay_alu instid0(VALU_DEP_1)
	v_lshl_add_u64 v[16:17], v[2:3], 2, v[14:15]
	global_load_b32 v9, v[16:17], off
	s_wait_loadcnt 0x0
	v_fmac_f32_e32 v9, s39, v36
	global_store_b32 v[16:17], v9, off
.LBB19_49:                              ;   in Loop: Header=BB19_7 Depth=2
	s_wait_xcnt 0x0
	s_or_b32 exec_lo, exec_lo, s4
	s_and_b32 s5, s3, vcc_lo
	s_delay_alu instid0(SALU_CYCLE_1)
	s_and_saveexec_b32 s4, s5
	s_cbranch_execz .LBB19_51
; %bb.50:                               ;   in Loop: Header=BB19_7 Depth=2
	v_lshl_add_u64 v[14:15], v[0:1], 2, v[14:15]
	global_load_b32 v9, v[14:15], off
	s_wait_loadcnt 0x0
	v_fmac_f32_e32 v9, s39, v37
	global_store_b32 v[14:15], v9, off
.LBB19_51:                              ;   in Loop: Header=BB19_7 Depth=2
	s_wait_xcnt 0x0
	s_or_b32 exec_lo, exec_lo, s4
	v_add_nc_u32_e32 v12, 16, v12
	s_delay_alu instid0(VALU_DEP_1) | instskip(SKIP_1) | instid1(VALU_DEP_2)
	v_ashrrev_i32_e32 v13, 31, v12
	v_cmp_gt_i32_e32 vcc_lo, s38, v12
	v_mul_u64_e32 v[14:15], s[28:29], v[12:13]
	s_and_b32 s5, s2, vcc_lo
	s_delay_alu instid0(VALU_DEP_1)
	v_lshl_add_u64 v[12:13], v[14:15], 2, s[48:49]
	s_and_saveexec_b32 s4, s5
	s_cbranch_execz .LBB19_53
; %bb.52:                               ;   in Loop: Header=BB19_7 Depth=2
	s_delay_alu instid0(VALU_DEP_1)
	v_lshl_add_u64 v[14:15], v[2:3], 2, v[12:13]
	global_load_b32 v9, v[14:15], off
	s_wait_loadcnt 0x0
	v_fmac_f32_e32 v9, s39, v34
	global_store_b32 v[14:15], v9, off
.LBB19_53:                              ;   in Loop: Header=BB19_7 Depth=2
	s_wait_xcnt 0x0
	s_or_b32 exec_lo, exec_lo, s4
	s_and_b32 s5, s3, vcc_lo
	s_delay_alu instid0(SALU_CYCLE_1)
	s_and_saveexec_b32 s4, s5
	s_cbranch_execz .LBB19_6
; %bb.54:                               ;   in Loop: Header=BB19_7 Depth=2
	v_lshl_add_u64 v[12:13], v[0:1], 2, v[12:13]
	global_load_b32 v9, v[12:13], off
	s_wait_loadcnt 0x0
	v_fmac_f32_e32 v9, s39, v35
	global_store_b32 v[12:13], v9, off
	s_branch .LBB19_6
.LBB19_55:
	s_sendmsg sendmsg(MSG_DEALLOC_VGPRS)
	s_endpgm
	.section	.rodata,"a",@progbits
	.p2align	6, 0x0
	.amdhsa_kernel _ZL30rocblas_trmm_outofplace_kernelIfLi32ELi2ELb0ELb1ELb1ELb0EfKffEv17rocblas_diagonal_iiT6_lPT7_lllS4_lllPT8_llli
		.amdhsa_group_segment_fixed_size 8192
		.amdhsa_private_segment_fixed_size 0
		.amdhsa_kernarg_size 384
		.amdhsa_user_sgpr_count 2
		.amdhsa_user_sgpr_dispatch_ptr 0
		.amdhsa_user_sgpr_queue_ptr 0
		.amdhsa_user_sgpr_kernarg_segment_ptr 1
		.amdhsa_user_sgpr_dispatch_id 0
		.amdhsa_user_sgpr_kernarg_preload_length 0
		.amdhsa_user_sgpr_kernarg_preload_offset 0
		.amdhsa_user_sgpr_private_segment_size 0
		.amdhsa_wavefront_size32 1
		.amdhsa_uses_dynamic_stack 0
		.amdhsa_enable_private_segment 0
		.amdhsa_system_sgpr_workgroup_id_x 1
		.amdhsa_system_sgpr_workgroup_id_y 1
		.amdhsa_system_sgpr_workgroup_id_z 1
		.amdhsa_system_sgpr_workgroup_info 0
		.amdhsa_system_vgpr_workitem_id 1
		.amdhsa_next_free_vgpr 77
		.amdhsa_next_free_sgpr 62
		.amdhsa_named_barrier_count 0
		.amdhsa_reserve_vcc 1
		.amdhsa_float_round_mode_32 0
		.amdhsa_float_round_mode_16_64 0
		.amdhsa_float_denorm_mode_32 3
		.amdhsa_float_denorm_mode_16_64 3
		.amdhsa_fp16_overflow 0
		.amdhsa_memory_ordered 1
		.amdhsa_forward_progress 1
		.amdhsa_inst_pref_size 25
		.amdhsa_round_robin_scheduling 0
		.amdhsa_exception_fp_ieee_invalid_op 0
		.amdhsa_exception_fp_denorm_src 0
		.amdhsa_exception_fp_ieee_div_zero 0
		.amdhsa_exception_fp_ieee_overflow 0
		.amdhsa_exception_fp_ieee_underflow 0
		.amdhsa_exception_fp_ieee_inexact 0
		.amdhsa_exception_int_div_zero 0
	.end_amdhsa_kernel
	.section	.text._ZL30rocblas_trmm_outofplace_kernelIfLi32ELi2ELb0ELb1ELb1ELb0EfKffEv17rocblas_diagonal_iiT6_lPT7_lllS4_lllPT8_llli,"axG",@progbits,_ZL30rocblas_trmm_outofplace_kernelIfLi32ELi2ELb0ELb1ELb1ELb0EfKffEv17rocblas_diagonal_iiT6_lPT7_lllS4_lllPT8_llli,comdat
.Lfunc_end19:
	.size	_ZL30rocblas_trmm_outofplace_kernelIfLi32ELi2ELb0ELb1ELb1ELb0EfKffEv17rocblas_diagonal_iiT6_lPT7_lllS4_lllPT8_llli, .Lfunc_end19-_ZL30rocblas_trmm_outofplace_kernelIfLi32ELi2ELb0ELb1ELb1ELb0EfKffEv17rocblas_diagonal_iiT6_lPT7_lllS4_lllPT8_llli
                                        ; -- End function
	.set _ZL30rocblas_trmm_outofplace_kernelIfLi32ELi2ELb0ELb1ELb1ELb0EfKffEv17rocblas_diagonal_iiT6_lPT7_lllS4_lllPT8_llli.num_vgpr, 77
	.set _ZL30rocblas_trmm_outofplace_kernelIfLi32ELi2ELb0ELb1ELb1ELb0EfKffEv17rocblas_diagonal_iiT6_lPT7_lllS4_lllPT8_llli.num_agpr, 0
	.set _ZL30rocblas_trmm_outofplace_kernelIfLi32ELi2ELb0ELb1ELb1ELb0EfKffEv17rocblas_diagonal_iiT6_lPT7_lllS4_lllPT8_llli.numbered_sgpr, 62
	.set _ZL30rocblas_trmm_outofplace_kernelIfLi32ELi2ELb0ELb1ELb1ELb0EfKffEv17rocblas_diagonal_iiT6_lPT7_lllS4_lllPT8_llli.num_named_barrier, 0
	.set _ZL30rocblas_trmm_outofplace_kernelIfLi32ELi2ELb0ELb1ELb1ELb0EfKffEv17rocblas_diagonal_iiT6_lPT7_lllS4_lllPT8_llli.private_seg_size, 0
	.set _ZL30rocblas_trmm_outofplace_kernelIfLi32ELi2ELb0ELb1ELb1ELb0EfKffEv17rocblas_diagonal_iiT6_lPT7_lllS4_lllPT8_llli.uses_vcc, 1
	.set _ZL30rocblas_trmm_outofplace_kernelIfLi32ELi2ELb0ELb1ELb1ELb0EfKffEv17rocblas_diagonal_iiT6_lPT7_lllS4_lllPT8_llli.uses_flat_scratch, 0
	.set _ZL30rocblas_trmm_outofplace_kernelIfLi32ELi2ELb0ELb1ELb1ELb0EfKffEv17rocblas_diagonal_iiT6_lPT7_lllS4_lllPT8_llli.has_dyn_sized_stack, 0
	.set _ZL30rocblas_trmm_outofplace_kernelIfLi32ELi2ELb0ELb1ELb1ELb0EfKffEv17rocblas_diagonal_iiT6_lPT7_lllS4_lllPT8_llli.has_recursion, 0
	.set _ZL30rocblas_trmm_outofplace_kernelIfLi32ELi2ELb0ELb1ELb1ELb0EfKffEv17rocblas_diagonal_iiT6_lPT7_lllS4_lllPT8_llli.has_indirect_call, 0
	.section	.AMDGPU.csdata,"",@progbits
; Kernel info:
; codeLenInByte = 3088
; TotalNumSgprs: 64
; NumVgprs: 77
; ScratchSize: 0
; MemoryBound: 0
; FloatMode: 240
; IeeeMode: 1
; LDSByteSize: 8192 bytes/workgroup (compile time only)
; SGPRBlocks: 0
; VGPRBlocks: 4
; NumSGPRsForWavesPerEU: 64
; NumVGPRsForWavesPerEU: 77
; NamedBarCnt: 0
; Occupancy: 12
; WaveLimiterHint : 0
; COMPUTE_PGM_RSRC2:SCRATCH_EN: 0
; COMPUTE_PGM_RSRC2:USER_SGPR: 2
; COMPUTE_PGM_RSRC2:TRAP_HANDLER: 0
; COMPUTE_PGM_RSRC2:TGID_X_EN: 1
; COMPUTE_PGM_RSRC2:TGID_Y_EN: 1
; COMPUTE_PGM_RSRC2:TGID_Z_EN: 1
; COMPUTE_PGM_RSRC2:TIDIG_COMP_CNT: 1
	.section	.text._ZL30rocblas_trmm_outofplace_kernelIfLi32ELi2ELb0ELb0ELb1ELb1EPKfS0_fEv17rocblas_diagonal_iiT6_lPT7_lllS5_lllPT8_llli,"axG",@progbits,_ZL30rocblas_trmm_outofplace_kernelIfLi32ELi2ELb0ELb0ELb1ELb1EPKfS0_fEv17rocblas_diagonal_iiT6_lPT7_lllS5_lllPT8_llli,comdat
	.globl	_ZL30rocblas_trmm_outofplace_kernelIfLi32ELi2ELb0ELb0ELb1ELb1EPKfS0_fEv17rocblas_diagonal_iiT6_lPT7_lllS5_lllPT8_llli ; -- Begin function _ZL30rocblas_trmm_outofplace_kernelIfLi32ELi2ELb0ELb0ELb1ELb1EPKfS0_fEv17rocblas_diagonal_iiT6_lPT7_lllS5_lllPT8_llli
	.p2align	8
	.type	_ZL30rocblas_trmm_outofplace_kernelIfLi32ELi2ELb0ELb0ELb1ELb1EPKfS0_fEv17rocblas_diagonal_iiT6_lPT7_lllS5_lllPT8_llli,@function
_ZL30rocblas_trmm_outofplace_kernelIfLi32ELi2ELb0ELb0ELb1ELb1EPKfS0_fEv17rocblas_diagonal_iiT6_lPT7_lllS5_lllPT8_llli: ; @_ZL30rocblas_trmm_outofplace_kernelIfLi32ELi2ELb0ELb0ELb1ELb1EPKfS0_fEv17rocblas_diagonal_iiT6_lPT7_lllS5_lllPT8_llli
; %bb.0:
	s_load_b32 s33, s[0:1], 0x80
	s_bfe_u32 s2, ttmp6, 0x40014
	s_lshr_b32 s3, ttmp7, 16
	s_add_co_i32 s2, s2, 1
	s_bfe_u32 s5, ttmp6, 0x40008
	s_mul_i32 s4, s3, s2
	s_getreg_b32 s2, hwreg(HW_REG_IB_STS2, 6, 4)
	s_add_co_i32 s5, s5, s4
	s_cmp_eq_u32 s2, 0
	s_mov_b32 s35, 0
	s_cselect_b32 s34, s3, s5
	s_wait_kmcnt 0x0
	s_cmp_ge_u32 s34, s33
	s_cbranch_scc1 .LBB20_55
; %bb.1:
	s_clause 0x3
	s_load_b96 s[36:38], s[0:1], 0x0
	s_load_b512 s[12:27], s[0:1], 0x10
	s_load_b128 s[28:31], s[0:1], 0x70
	s_load_b256 s[4:11], s[0:1], 0x50
	s_bfe_u32 s39, ttmp6, 0x4000c
	s_and_b32 s3, ttmp6, 15
	s_add_co_i32 s39, s39, 1
	s_bfe_u32 s41, ttmp6, 0x40010
	s_mul_i32 s39, ttmp9, s39
	s_and_b32 s40, ttmp7, 0xffff
	s_add_co_i32 s41, s41, 1
	s_add_co_i32 s3, s3, s39
	s_bfe_u32 s42, ttmp6, 0x40004
	s_mul_i32 s41, s40, s41
	v_and_b32_e32 v2, 0x3ff, v0
	v_mov_b32_e32 v3, 0
	v_bfe_u32 v0, v0, 10, 10
	s_add_co_i32 s42, s42, s41
	s_delay_alu instid0(VALU_DEP_3)
	v_dual_mov_b32 v54, 1.0 :: v_dual_lshlrev_b32 v8, 2, v2
	s_wait_kmcnt 0x0
	s_add_co_i32 s43, s38, -1
	v_dual_mov_b32 v1, v3 :: v_dual_lshlrev_b32 v6, 2, v0
	s_ashr_i32 s44, s43, 31
	s_lshl_b64 s[10:11], s[10:11], 2
	s_lshr_b32 s39, s44, 27
	s_delay_alu instid0(VALU_DEP_1)
	v_mul_u64_e32 v[12:13], s[4:5], v[0:1]
	s_add_co_i32 s43, s43, s39
	v_mul_u64_e32 v[16:17], s[20:21], v[2:3]
	s_ashr_i32 s39, s43, 5
	s_cmp_eq_u32 s2, 0
	v_add_nc_u32_e32 v11, 64, v8
	s_cselect_b32 s2, ttmp9, s3
	s_cselect_b32 s44, s40, s42
	v_lshl_add_u32 v4, s2, 5, v2
	v_mov_b32_e32 v7, v3
	s_cmp_le_i32 s44, s39
	s_mov_b32 s2, s37
	s_cselect_b32 s45, -1, 0
	v_ashrrev_i32_e32 v5, 31, v4
	v_add_nc_u64_e32 v[6:7], 64, v[6:7]
	v_add_nc_u32_e32 v10, 16, v4
	v_lshlrev_b32_e32 v50, 7, v0
	s_cmp_eq_u32 s36, 0x84
	s_add_nc_u64 s[10:11], s[8:9], s[10:11]
	s_cselect_b32 s46, -1, 0
	s_ashr_i32 s3, s37, 31
	v_mul_u64_e32 v[6:7], s[4:5], v[6:7]
	v_add_nc_u32_e32 v52, v50, v8
	v_sub_nc_u64_e32 v[14:15], s[2:3], v[4:5]
	s_lshl_b64 s[2:3], s[18:19], 2
	v_or_b32_e32 v51, 0x1000, v8
	s_add_nc_u64 s[8:9], s[16:17], s[2:3]
	s_lshl_b64 s[2:3], s[26:27], 2
	v_mad_nc_u64_u32 v[8:9], s20, v11, s[8:9]
	s_lshl_b64 s[18:19], s[4:5], 7
	s_add_nc_u64 s[4:5], s[24:25], s[2:3]
	s_add_nc_u64 s[42:43], s[0:1], 0x88
	v_cmp_gt_i64_e64 s0, 1, v[14:15]
	v_cmp_gt_i64_e64 s1, 17, v[14:15]
	v_lshl_add_u64 v[14:15], v[4:5], 2, s[4:5]
	v_lshlrev_b64_e32 v[12:13], 2, v[12:13]
	v_cmp_gt_i32_e64 s2, s37, v4
	v_cmp_gt_i32_e64 s3, s37, v10
	v_lshl_add_u64 v[16:17], v[16:17], 2, s[8:9]
	v_mad_u32 v9, s21, v11, v9
	v_add_nc_u64_e32 v[14:15], 64, v[14:15]
	v_ashrrev_i32_e32 v11, 31, v10
	v_add_nc_u32_e32 v53, v51, v50
	s_ashr_i32 s41, s38, 31
	s_mov_b32 s40, s38
	s_lshl_b64 s[16:17], s[20:21], 7
	s_add_nc_u64 s[20:21], s[40:41], -16
	s_lshl_b64 s[24:25], s[6:7], 2
	s_lshl_b64 s[22:23], s[22:23], 2
	s_branch .LBB20_4
.LBB20_2:                               ;   in Loop: Header=BB20_4 Depth=1
	s_add_co_i32 s34, s34, 0x10000
	s_delay_alu instid0(SALU_CYCLE_1)
	s_cmp_ge_u32 s34, s33
	s_cselect_b32 s4, -1, 0
.LBB20_3:                               ;   in Loop: Header=BB20_4 Depth=1
	s_delay_alu instid0(SALU_CYCLE_1)
	s_and_b32 vcc_lo, exec_lo, s4
	s_cbranch_vccnz .LBB20_55
.LBB20_4:                               ; =>This Loop Header: Depth=1
                                        ;     Child Loop BB20_8 Depth 2
                                        ;       Child Loop BB20_11 Depth 3
	s_mul_u64 s[4:5], s[14:15], s[34:35]
	s_delay_alu instid0(SALU_CYCLE_1) | instskip(NEXT) | instid1(SALU_CYCLE_1)
	s_lshl_b64 s[4:5], s[4:5], 2
	s_add_nc_u64 s[4:5], s[12:13], s[4:5]
	global_load_b32 v55, v3, s[4:5]
	s_wait_xcnt 0x0
	s_mov_b32 s4, -1
	s_wait_loadcnt 0x0
	v_cmp_eq_f32_e32 vcc_lo, 0, v55
	s_cbranch_vccnz .LBB20_3
; %bb.5:                                ;   in Loop: Header=BB20_4 Depth=1
	s_and_not1_b32 vcc_lo, exec_lo, s45
	s_cbranch_vccnz .LBB20_2
; %bb.6:                                ;   in Loop: Header=BB20_4 Depth=1
	s_load_b32 s47, s[42:43], 0x4
	v_mad_nc_u64_u32 v[18:19], s24, s34, v[14:15]
	v_mad_nc_u64_u32 v[20:21], s22, s34, v[8:9]
	;; [unrolled: 1-line block ×3, first 2 shown]
	s_mul_i32 s6, s23, s34
	s_mul_u64 s[4:5], s[30:31], s[34:35]
	v_lshl_add_u32 v24, s44, 5, v0
	s_lshl_b64 s[4:5], s[4:5], 2
	s_mov_b32 s49, s44
	s_add_nc_u64 s[26:27], s[10:11], s[4:5]
	s_delay_alu instid0(VALU_DEP_4) | instskip(NEXT) | instid1(VALU_DEP_3)
	v_mad_u32 v19, s25, s34, v19
	v_dual_add_nc_u32 v21, s6, v21 :: v_dual_add_nc_u32 v23, s6, v23
	s_wait_kmcnt 0x0
	s_lshl_b32 s48, s47, 5
	s_branch .LBB20_8
.LBB20_7:                               ;   in Loop: Header=BB20_8 Depth=2
	s_wait_xcnt 0x0
	s_or_b32 exec_lo, exec_lo, s4
	v_add_nc_u32_e32 v24, s48, v24
	s_add_co_i32 s49, s47, s49
	s_delay_alu instid0(SALU_CYCLE_1)
	s_cmp_gt_i32 s49, s39
	s_cbranch_scc1 .LBB20_2
.LBB20_8:                               ;   Parent Loop BB20_4 Depth=1
                                        ; =>  This Loop Header: Depth=2
                                        ;       Child Loop BB20_11 Depth 3
	s_lshl_b32 s50, s49, 5
	s_delay_alu instid0(SALU_CYCLE_1) | instskip(SKIP_1) | instid1(VALU_DEP_1)
	v_dual_mov_b32 v43, 0 :: v_dual_add_nc_u32 v26, s50, v0
	s_cmp_lt_i32 s49, 0
	v_dual_mov_b32 v42, v43 :: v_dual_mov_b32 v41, v43
	s_delay_alu instid0(VALU_DEP_2)
	v_dual_mov_b32 v40, v43 :: v_dual_ashrrev_i32 v27, 31, v26
	s_cbranch_scc1 .LBB20_47
; %bb.9:                                ;   in Loop: Header=BB20_8 Depth=2
	v_sub_nc_u64_e32 v[34:35], 0, v[2:3]
	s_delay_alu instid0(VALU_DEP_2) | instskip(SKIP_4) | instid1(VALU_DEP_4)
	v_add_nc_u64_e32 v[28:29], 16, v[26:27]
	v_dual_mov_b32 v40, 0 :: v_dual_ashrrev_i32 v25, 31, v24
	v_mov_b64_e32 v[30:31], v[22:23]
	v_mov_b64_e32 v[32:33], v[20:21]
	;; [unrolled: 1-line block ×3, first 2 shown]
	v_add_nc_u64_e32 v[34:35], v[34:35], v[24:25]
	v_lshlrev_b64_e32 v[38:39], 2, v[24:25]
	v_cmp_le_i64_e64 s4, s[40:41], v[28:29]
	v_dual_mov_b32 v41, v40 :: v_dual_mov_b32 v42, v40
	v_mov_b32_e32 v43, v40
	s_mov_b64 s[36:37], 0
	v_cmp_le_i32_e32 vcc_lo, s38, v26
	s_branch .LBB20_11
.LBB20_10:                              ;   in Loop: Header=BB20_11 Depth=3
	s_or_b32 exec_lo, exec_lo, s5
	s_wait_dscnt 0x0
	s_barrier_signal -1
	s_barrier_wait -1
	ds_load_b128 v[44:47], v50
	ds_load_2addr_b32 v[48:49], v51 offset1:16
	ds_load_b128 v[56:59], v50 offset:2048
	ds_load_2addr_b32 v[68:69], v51 offset0:32 offset1:48
	ds_load_2addr_b32 v[70:71], v51 offset0:64 offset1:80
	;; [unrolled: 1-line block ×3, first 2 shown]
	ds_load_b128 v[60:63], v50 offset:16
	ds_load_2addr_b32 v[74:75], v51 offset0:128 offset1:144
	ds_load_b128 v[64:67], v50 offset:2064
	v_add_nc_u32_e32 v25, 0x400, v51
	v_add_nc_u32_e32 v78, 0x800, v51
	v_add_nc_u64_e32 v[36:37], s[18:19], v[36:37]
	v_add_nc_u64_e32 v[32:33], s[16:17], v[32:33]
	;; [unrolled: 1-line block ×3, first 2 shown]
	s_add_nc_u64 s[36:37], s[36:37], 32
	s_delay_alu instid0(SALU_CYCLE_1) | instskip(NEXT) | instid1(SALU_CYCLE_1)
	s_sub_co_i32 s5, s36, 32
	s_cmp_ge_i32 s5, s50
	s_wait_dscnt 0x7
	v_pk_fma_f32 v[42:43], v[48:49], v[44:45], v[42:43] op_sel_hi:[1,0,1]
	s_wait_dscnt 0x6
	v_pk_fma_f32 v[40:41], v[48:49], v[56:57], v[40:41] op_sel_hi:[1,0,1]
	ds_load_2addr_b32 v[48:49], v51 offset0:160 offset1:176
	s_wait_dscnt 0x6
	v_pk_fma_f32 v[42:43], v[68:69], v[44:45], v[42:43] op_sel:[0,1,0]
	v_pk_fma_f32 v[40:41], v[68:69], v[56:57], v[40:41] op_sel:[0,1,0]
	v_dual_mov_b32 v44, v47 :: v_dual_mov_b32 v68, v59
	ds_load_2addr_b32 v[56:57], v51 offset0:192 offset1:208
	s_wait_dscnt 0x6
	v_pk_fma_f32 v[42:43], v[70:71], v[46:47], v[42:43] op_sel_hi:[1,0,1]
	v_pk_fma_f32 v[40:41], v[70:71], v[58:59], v[40:41] op_sel_hi:[1,0,1]
	ds_load_2addr_b32 v[58:59], v51 offset0:224 offset1:240
	s_wait_dscnt 0x6
	v_pk_fma_f32 v[70:71], v[72:73], v[44:45], v[42:43] op_sel_hi:[1,0,1]
	v_pk_fma_f32 v[68:69], v[72:73], v[68:69], v[40:41] op_sel_hi:[1,0,1]
	s_wait_dscnt 0x4
	s_delay_alu instid0(VALU_DEP_2) | instskip(SKIP_1) | instid1(VALU_DEP_2)
	v_pk_fma_f32 v[70:71], v[74:75], v[60:61], v[70:71] op_sel_hi:[1,0,1]
	s_wait_dscnt 0x3
	v_pk_fma_f32 v[68:69], v[74:75], v[64:65], v[68:69] op_sel_hi:[1,0,1]
	s_wait_dscnt 0x2
	s_delay_alu instid0(VALU_DEP_2) | instskip(NEXT) | instid1(VALU_DEP_2)
	v_pk_fma_f32 v[60:61], v[48:49], v[60:61], v[70:71] op_sel:[0,1,0]
	v_pk_fma_f32 v[48:49], v[48:49], v[64:65], v[68:69] op_sel:[0,1,0]
	v_mov_b32_e32 v68, v63
	ds_load_b128 v[40:43], v50 offset:32
	ds_load_b128 v[44:47], v50 offset:2080
	ds_load_2addr_b32 v[72:73], v25 offset1:16
	ds_load_2addr_b32 v[74:75], v25 offset0:32 offset1:48
	s_wait_dscnt 0x5
	v_pk_fma_f32 v[60:61], v[56:57], v[62:63], v[60:61] op_sel_hi:[1,0,1]
	ds_load_2addr_b32 v[64:65], v25 offset0:64 offset1:80
	v_mov_b32_e32 v70, v67
	v_pk_fma_f32 v[48:49], v[56:57], v[66:67], v[48:49] op_sel_hi:[1,0,1]
	ds_load_2addr_b32 v[66:67], v25 offset0:96 offset1:112
	s_wait_dscnt 0x6
	v_pk_fma_f32 v[68:69], v[58:59], v[68:69], v[60:61] op_sel_hi:[1,0,1]
	s_wait_dscnt 0x3
	s_delay_alu instid0(VALU_DEP_1) | instskip(SKIP_1) | instid1(VALU_DEP_1)
	v_pk_fma_f32 v[68:69], v[72:73], v[40:41], v[68:69] op_sel_hi:[1,0,1]
	s_wait_dscnt 0x2
	v_pk_fma_f32 v[40:41], v[74:75], v[40:41], v[68:69] op_sel:[0,1,0]
	v_mov_b32_e32 v68, v43
	v_pk_fma_f32 v[48:49], v[58:59], v[70:71], v[48:49] op_sel_hi:[1,0,1]
	ds_load_b128 v[56:59], v50 offset:48
	ds_load_b128 v[60:63], v50 offset:2096
	ds_load_2addr_b32 v[70:71], v25 offset0:128 offset1:144
	s_wait_dscnt 0x4
	v_pk_fma_f32 v[40:41], v[64:65], v[42:43], v[40:41] op_sel_hi:[1,0,1]
	v_pk_fma_f32 v[48:49], v[72:73], v[44:45], v[48:49] op_sel_hi:[1,0,1]
	ds_load_2addr_b32 v[72:73], v25 offset0:160 offset1:176
	s_wait_dscnt 0x4
	v_pk_fma_f32 v[68:69], v[66:67], v[68:69], v[40:41] op_sel_hi:[1,0,1]
	v_pk_fma_f32 v[44:45], v[74:75], v[44:45], v[48:49] op_sel:[0,1,0]
	ds_load_2addr_b32 v[48:49], v25 offset0:192 offset1:208
	v_mov_b32_e32 v74, v47
	v_pk_fma_f32 v[42:43], v[64:65], v[46:47], v[44:45] op_sel_hi:[1,0,1]
	ds_load_2addr_b32 v[64:65], v25 offset0:224 offset1:240
	v_add_nc_u32_e32 v25, 0xc00, v51
	s_wait_dscnt 0x3
	v_pk_fma_f32 v[68:69], v[70:71], v[56:57], v[68:69] op_sel_hi:[1,0,1]
	s_wait_dscnt 0x2
	s_delay_alu instid0(VALU_DEP_1)
	v_pk_fma_f32 v[56:57], v[72:73], v[56:57], v[68:69] op_sel:[0,1,0]
	v_mov_b32_e32 v68, v59
	v_pk_fma_f32 v[66:67], v[66:67], v[74:75], v[42:43] op_sel_hi:[1,0,1]
	ds_load_b128 v[40:43], v50 offset:64
	ds_load_b128 v[44:47], v50 offset:2112
	ds_load_2addr_b32 v[74:75], v78 offset1:16
	ds_load_2addr_b32 v[76:77], v78 offset0:96 offset1:112
	s_wait_dscnt 0x5
	v_pk_fma_f32 v[56:57], v[48:49], v[58:59], v[56:57] op_sel_hi:[1,0,1]
	v_pk_fma_f32 v[66:67], v[70:71], v[60:61], v[66:67] op_sel_hi:[1,0,1]
	ds_load_2addr_b32 v[70:71], v78 offset0:32 offset1:48
	s_wait_dscnt 0x5
	v_pk_fma_f32 v[68:69], v[64:65], v[68:69], v[56:57] op_sel_hi:[1,0,1]
	v_pk_fma_f32 v[60:61], v[72:73], v[60:61], v[66:67] op_sel:[0,1,0]
	ds_load_2addr_b32 v[66:67], v78 offset0:64 offset1:80
	v_mov_b32_e32 v72, v63
	v_pk_fma_f32 v[48:49], v[48:49], v[62:63], v[60:61] op_sel_hi:[1,0,1]
	s_wait_dscnt 0x3
	v_pk_fma_f32 v[68:69], v[74:75], v[40:41], v[68:69] op_sel_hi:[1,0,1]
	s_wait_dscnt 0x1
	s_delay_alu instid0(VALU_DEP_1)
	v_pk_fma_f32 v[40:41], v[70:71], v[40:41], v[68:69] op_sel:[0,1,0]
	v_mov_b32_e32 v68, v43
	v_pk_fma_f32 v[48:49], v[64:65], v[72:73], v[48:49] op_sel_hi:[1,0,1]
	ds_load_b128 v[56:59], v50 offset:80
	ds_load_b128 v[60:63], v50 offset:2128
	ds_load_2addr_b32 v[64:65], v78 offset0:128 offset1:144
	ds_load_2addr_b32 v[72:73], v78 offset0:160 offset1:176
	s_wait_dscnt 0x4
	v_pk_fma_f32 v[40:41], v[66:67], v[42:43], v[40:41] op_sel_hi:[1,0,1]
	v_pk_fma_f32 v[48:49], v[74:75], v[44:45], v[48:49] op_sel_hi:[1,0,1]
	s_delay_alu instid0(VALU_DEP_2) | instskip(NEXT) | instid1(VALU_DEP_2)
	v_pk_fma_f32 v[68:69], v[76:77], v[68:69], v[40:41] op_sel_hi:[1,0,1]
	v_pk_fma_f32 v[44:45], v[70:71], v[44:45], v[48:49] op_sel:[0,1,0]
	ds_load_2addr_b32 v[48:49], v78 offset0:192 offset1:208
	v_mov_b32_e32 v70, v47
	v_pk_fma_f32 v[42:43], v[66:67], v[46:47], v[44:45] op_sel_hi:[1,0,1]
	ds_load_2addr_b32 v[66:67], v78 offset0:224 offset1:240
	v_pk_fma_f32 v[70:71], v[76:77], v[70:71], v[42:43] op_sel_hi:[1,0,1]
	ds_load_b128 v[40:43], v50 offset:96
	ds_load_b128 v[44:47], v50 offset:2144
	ds_load_2addr_b32 v[74:75], v25 offset1:16
	s_wait_dscnt 0x6
	v_pk_fma_f32 v[68:69], v[64:65], v[56:57], v[68:69] op_sel_hi:[1,0,1]
	ds_load_2addr_b32 v[76:77], v25 offset0:96 offset1:112
	v_pk_fma_f32 v[64:65], v[64:65], v[60:61], v[70:71] op_sel_hi:[1,0,1]
	ds_load_2addr_b32 v[70:71], v25 offset0:32 offset1:48
	s_wait_dscnt 0x7
	v_pk_fma_f32 v[56:57], v[72:73], v[56:57], v[68:69] op_sel:[0,1,0]
	v_mov_b32_e32 v68, v59
	v_pk_fma_f32 v[60:61], v[72:73], v[60:61], v[64:65] op_sel:[0,1,0]
	ds_load_2addr_b32 v[64:65], v25 offset0:64 offset1:80
	v_mov_b32_e32 v72, v63
	s_wait_dscnt 0x7
	v_pk_fma_f32 v[56:57], v[48:49], v[58:59], v[56:57] op_sel_hi:[1,0,1]
	v_pk_fma_f32 v[48:49], v[48:49], v[62:63], v[60:61] op_sel_hi:[1,0,1]
	s_wait_dscnt 0x6
	s_delay_alu instid0(VALU_DEP_2) | instskip(NEXT) | instid1(VALU_DEP_2)
	v_pk_fma_f32 v[68:69], v[66:67], v[68:69], v[56:57] op_sel_hi:[1,0,1]
	v_pk_fma_f32 v[48:49], v[66:67], v[72:73], v[48:49] op_sel_hi:[1,0,1]
	ds_load_b128 v[56:59], v50 offset:112
	ds_load_b128 v[60:63], v50 offset:2160
	ds_load_2addr_b32 v[66:67], v25 offset0:128 offset1:144
	ds_load_2addr_b32 v[72:73], v25 offset0:160 offset1:176
	s_wait_dscnt 0x7
	v_pk_fma_f32 v[68:69], v[74:75], v[40:41], v[68:69] op_sel_hi:[1,0,1]
	v_pk_fma_f32 v[48:49], v[74:75], v[44:45], v[48:49] op_sel_hi:[1,0,1]
	s_wait_dscnt 0x5
	s_delay_alu instid0(VALU_DEP_2) | instskip(SKIP_1) | instid1(VALU_DEP_3)
	v_pk_fma_f32 v[40:41], v[70:71], v[40:41], v[68:69] op_sel:[0,1,0]
	v_mov_b32_e32 v68, v43
	v_pk_fma_f32 v[44:45], v[70:71], v[44:45], v[48:49] op_sel:[0,1,0]
	ds_load_2addr_b32 v[48:49], v25 offset0:192 offset1:208
	v_mov_b32_e32 v70, v47
	s_wait_dscnt 0x5
	v_pk_fma_f32 v[40:41], v[64:65], v[42:43], v[40:41] op_sel_hi:[1,0,1]
	v_pk_fma_f32 v[42:43], v[64:65], v[46:47], v[44:45] op_sel_hi:[1,0,1]
	ds_load_2addr_b32 v[44:45], v25 offset0:224 offset1:240
	s_wait_dscnt 0x0
	v_pk_fma_f32 v[40:41], v[76:77], v[68:69], v[40:41] op_sel_hi:[1,0,1]
	v_mov_b32_e32 v46, v59
	v_pk_fma_f32 v[42:43], v[76:77], v[70:71], v[42:43] op_sel_hi:[1,0,1]
	s_barrier_signal -1
	s_barrier_wait -1
	v_pk_fma_f32 v[40:41], v[66:67], v[56:57], v[40:41] op_sel_hi:[1,0,1]
	s_delay_alu instid0(VALU_DEP_2) | instskip(NEXT) | instid1(VALU_DEP_2)
	v_pk_fma_f32 v[42:43], v[66:67], v[60:61], v[42:43] op_sel_hi:[1,0,1]
	v_pk_fma_f32 v[40:41], v[72:73], v[56:57], v[40:41] op_sel:[0,1,0]
	v_mov_b32_e32 v56, v63
	s_delay_alu instid0(VALU_DEP_3) | instskip(NEXT) | instid1(VALU_DEP_3)
	v_pk_fma_f32 v[42:43], v[72:73], v[60:61], v[42:43] op_sel:[0,1,0]
	v_pk_fma_f32 v[40:41], v[48:49], v[58:59], v[40:41] op_sel_hi:[1,0,1]
	s_delay_alu instid0(VALU_DEP_2) | instskip(NEXT) | instid1(VALU_DEP_2)
	v_pk_fma_f32 v[48:49], v[48:49], v[62:63], v[42:43] op_sel_hi:[1,0,1]
	v_pk_fma_f32 v[42:43], v[44:45], v[46:47], v[40:41] op_sel_hi:[1,0,1]
	s_delay_alu instid0(VALU_DEP_2)
	v_pk_fma_f32 v[40:41], v[44:45], v[56:57], v[48:49] op_sel_hi:[1,0,1]
	s_cbranch_scc1 .LBB20_47
.LBB20_11:                              ;   Parent Loop BB20_4 Depth=1
                                        ;     Parent Loop BB20_8 Depth=2
                                        ; =>    This Inner Loop Header: Depth=3
	v_add_nc_u64_e32 v[46:47], s[36:37], v[2:3]
	v_cmp_eq_u64_e64 s7, s[36:37], v[34:35]
	v_add_nc_u64_e32 v[44:45], v[30:31], v[38:39]
                                        ; implicit-def: $vgpr25
	s_delay_alu instid0(VALU_DEP_3) | instskip(SKIP_3) | instid1(SALU_CYCLE_1)
	v_cmp_gt_i64_e64 s5, v[46:47], v[26:27]
	v_cmp_le_i64_e64 s6, s[40:41], v[46:47]
	s_and_b32 s51, s46, s7
	s_or_b32 s7, vcc_lo, s5
	s_or_b32 s7, s7, s51
	s_delay_alu instid0(SALU_CYCLE_1) | instskip(NEXT) | instid1(SALU_CYCLE_1)
	s_nor_b32 s7, s6, s7
	s_and_saveexec_b32 s8, s7
	s_delay_alu instid0(SALU_CYCLE_1)
	s_xor_b32 s7, exec_lo, s8
	s_cbranch_execz .LBB20_13
; %bb.12:                               ;   in Loop: Header=BB20_11 Depth=3
	global_load_b32 v25, v[44:45], off
.LBB20_13:                              ;   in Loop: Header=BB20_11 Depth=3
	s_wait_xcnt 0x0
	s_and_not1_saveexec_b32 s7, s7
	s_cbranch_execz .LBB20_15
; %bb.14:                               ;   in Loop: Header=BB20_11 Depth=3
	s_wait_loadcnt 0x0
	v_cndmask_b32_e64 v25, 0, 1.0, s51
.LBB20_15:                              ;   in Loop: Header=BB20_11 Depth=3
	s_or_b32 exec_lo, exec_lo, s7
	v_add_nc_u64_e32 v[48:49], -16, v[34:35]
	v_add_nc_u64_e32 v[56:57], 16, v[46:47]
	s_wait_loadcnt 0x0
	ds_store_b32 v52, v25
	v_cmp_eq_u64_e64 s8, s[36:37], v[48:49]
	v_cmp_gt_i64_e64 s9, v[56:57], v[26:27]
	v_cmp_le_i64_e64 s7, s[40:41], v[56:57]
	v_add_nc_u64_e32 v[48:49], v[32:33], v[38:39]
	s_and_b32 s52, s46, s8
	s_or_b32 s8, vcc_lo, s9
	s_delay_alu instid0(SALU_CYCLE_1) | instskip(NEXT) | instid1(SALU_CYCLE_1)
	s_or_b32 s8, s8, s52
	s_nor_b32 s8, s7, s8
	s_delay_alu instid0(SALU_CYCLE_1) | instskip(NEXT) | instid1(SALU_CYCLE_1)
	s_and_saveexec_b32 s9, s8
	s_xor_b32 s8, exec_lo, s9
	s_cbranch_execz .LBB20_17
; %bb.16:                               ;   in Loop: Header=BB20_11 Depth=3
	global_load_b32 v25, v[48:49], off
	s_wait_loadcnt 0x0
	ds_store_b32 v52, v25 offset:64
.LBB20_17:                              ;   in Loop: Header=BB20_11 Depth=3
	s_wait_xcnt 0x0
	s_and_not1_saveexec_b32 s8, s8
	s_cbranch_execz .LBB20_23
; %bb.18:                               ;   in Loop: Header=BB20_11 Depth=3
	s_xor_b32 s9, s52, -1
	s_delay_alu instid0(SALU_CYCLE_1) | instskip(NEXT) | instid1(SALU_CYCLE_1)
	s_and_saveexec_b32 s52, s9
	s_xor_b32 s9, exec_lo, s52
; %bb.19:                               ;   in Loop: Header=BB20_11 Depth=3
	ds_store_b32 v52, v3 offset:64
; %bb.20:                               ;   in Loop: Header=BB20_11 Depth=3
	s_and_not1_saveexec_b32 s9, s9
; %bb.21:                               ;   in Loop: Header=BB20_11 Depth=3
	ds_store_b32 v52, v54 offset:64
; %bb.22:                               ;   in Loop: Header=BB20_11 Depth=3
	s_or_b32 exec_lo, exec_lo, s9
.LBB20_23:                              ;   in Loop: Header=BB20_11 Depth=3
	s_delay_alu instid0(SALU_CYCLE_1) | instskip(SKIP_2) | instid1(VALU_DEP_2)
	s_or_b32 exec_lo, exec_lo, s8
	v_add_nc_u64_e32 v[56:57], 16, v[34:35]
	v_cmp_gt_i64_e64 s9, v[46:47], v[28:29]
                                        ; implicit-def: $vgpr25
	v_cmp_eq_u64_e64 s8, s[36:37], v[56:57]
	s_or_b32 s9, s4, s9
	s_and_b32 s8, s46, s8
	s_delay_alu instid0(SALU_CYCLE_1) | instskip(NEXT) | instid1(SALU_CYCLE_1)
	s_or_b32 s9, s9, s8
	s_nor_b32 s6, s6, s9
	s_delay_alu instid0(SALU_CYCLE_1) | instskip(NEXT) | instid1(SALU_CYCLE_1)
	s_and_saveexec_b32 s9, s6
	s_xor_b32 s6, exec_lo, s9
	s_cbranch_execz .LBB20_25
; %bb.24:                               ;   in Loop: Header=BB20_11 Depth=3
	global_load_b32 v25, v[44:45], off offset:64
.LBB20_25:                              ;   in Loop: Header=BB20_11 Depth=3
	s_wait_xcnt 0x0
	s_and_not1_saveexec_b32 s6, s6
	s_cbranch_execz .LBB20_27
; %bb.26:                               ;   in Loop: Header=BB20_11 Depth=3
	s_wait_loadcnt 0x0
	v_cndmask_b32_e64 v25, 0, 1.0, s8
.LBB20_27:                              ;   in Loop: Header=BB20_11 Depth=3
	s_or_b32 exec_lo, exec_lo, s6
	s_or_b32 s5, s4, s5
	s_wait_loadcnt 0x0
	ds_store_b32 v52, v25 offset:2048
	s_or_b32 s5, s5, s51
	s_delay_alu instid0(SALU_CYCLE_1) | instskip(NEXT) | instid1(SALU_CYCLE_1)
	s_nor_b32 s5, s7, s5
	s_and_saveexec_b32 s6, s5
	s_delay_alu instid0(SALU_CYCLE_1)
	s_xor_b32 s5, exec_lo, s6
	s_cbranch_execz .LBB20_29
; %bb.28:                               ;   in Loop: Header=BB20_11 Depth=3
	global_load_b32 v25, v[48:49], off offset:64
	s_wait_loadcnt 0x0
	ds_store_b32 v52, v25 offset:2112
.LBB20_29:                              ;   in Loop: Header=BB20_11 Depth=3
	s_wait_xcnt 0x0
	s_and_not1_saveexec_b32 s5, s5
	s_cbranch_execz .LBB20_35
; %bb.30:                               ;   in Loop: Header=BB20_11 Depth=3
	s_xor_b32 s6, s51, -1
	s_delay_alu instid0(SALU_CYCLE_1) | instskip(NEXT) | instid1(SALU_CYCLE_1)
	s_and_saveexec_b32 s7, s6
	s_xor_b32 s6, exec_lo, s7
; %bb.31:                               ;   in Loop: Header=BB20_11 Depth=3
	ds_store_b32 v52, v3 offset:2112
; %bb.32:                               ;   in Loop: Header=BB20_11 Depth=3
	s_and_not1_saveexec_b32 s6, s6
; %bb.33:                               ;   in Loop: Header=BB20_11 Depth=3
	ds_store_b32 v52, v54 offset:2112
; %bb.34:                               ;   in Loop: Header=BB20_11 Depth=3
	s_or_b32 exec_lo, exec_lo, s6
.LBB20_35:                              ;   in Loop: Header=BB20_11 Depth=3
	s_delay_alu instid0(SALU_CYCLE_1) | instskip(SKIP_3) | instid1(VALU_DEP_3)
	s_or_b32 exec_lo, exec_lo, s5
	v_add_nc_u64_e32 v[44:45], s[36:37], v[0:1]
	v_add_nc_u64_e32 v[46:47], v[36:37], v[12:13]
	v_mov_b32_e32 v25, 0
	v_cmp_le_i64_e64 s5, s[40:41], v[44:45]
	s_nor_b32 s7, s5, s0
	s_delay_alu instid0(SALU_CYCLE_1)
	s_and_saveexec_b32 s6, s7
	s_cbranch_execz .LBB20_37
; %bb.36:                               ;   in Loop: Header=BB20_11 Depth=3
	global_load_b32 v25, v[46:47], off offset:-64
.LBB20_37:                              ;   in Loop: Header=BB20_11 Depth=3
	s_wait_xcnt 0x0
	s_or_b32 exec_lo, exec_lo, s6
	s_nor_b32 s5, s5, s1
	s_wait_loadcnt 0x0
	ds_store_b32 v53, v25
	s_and_saveexec_b32 s6, s5
	s_delay_alu instid0(SALU_CYCLE_1)
	s_xor_b32 s5, exec_lo, s6
	s_cbranch_execz .LBB20_39
; %bb.38:                               ;   in Loop: Header=BB20_11 Depth=3
	global_load_b32 v25, v[46:47], off
	s_wait_loadcnt 0x0
	ds_store_b32 v53, v25 offset:64
.LBB20_39:                              ;   in Loop: Header=BB20_11 Depth=3
	s_wait_xcnt 0x0
	s_and_not1_saveexec_b32 s5, s5
; %bb.40:                               ;   in Loop: Header=BB20_11 Depth=3
	ds_store_b32 v53, v3 offset:64
; %bb.41:                               ;   in Loop: Header=BB20_11 Depth=3
	s_or_b32 exec_lo, exec_lo, s5
	v_cmp_le_i64_e64 s5, s[20:21], v[44:45]
	v_add_nc_u64_e32 v[44:45], v[36:37], v[6:7]
	v_mov_b32_e32 v25, 0
	s_nor_b32 s7, s5, s0
	s_delay_alu instid0(SALU_CYCLE_1)
	s_and_saveexec_b32 s6, s7
	s_cbranch_execz .LBB20_43
; %bb.42:                               ;   in Loop: Header=BB20_11 Depth=3
	global_load_b32 v25, v[44:45], off offset:-64
.LBB20_43:                              ;   in Loop: Header=BB20_11 Depth=3
	s_wait_xcnt 0x0
	s_or_b32 exec_lo, exec_lo, s6
	s_nor_b32 s5, s5, s1
	s_wait_loadcnt 0x0
	ds_store_b32 v53, v25 offset:2048
	s_and_saveexec_b32 s6, s5
	s_delay_alu instid0(SALU_CYCLE_1)
	s_xor_b32 s5, exec_lo, s6
	s_cbranch_execz .LBB20_45
; %bb.44:                               ;   in Loop: Header=BB20_11 Depth=3
	global_load_b32 v25, v[44:45], off
	s_wait_loadcnt 0x0
	ds_store_b32 v53, v25 offset:2112
.LBB20_45:                              ;   in Loop: Header=BB20_11 Depth=3
	s_wait_xcnt 0x0
	s_and_not1_saveexec_b32 s5, s5
	s_cbranch_execz .LBB20_10
; %bb.46:                               ;   in Loop: Header=BB20_11 Depth=3
	ds_store_b32 v53, v3 offset:2112
	s_branch .LBB20_10
.LBB20_47:                              ;   in Loop: Header=BB20_8 Depth=2
	s_delay_alu instid0(VALU_DEP_1) | instskip(SKIP_2) | instid1(VALU_DEP_2)
	v_mul_u64_e32 v[28:29], s[28:29], v[26:27]
	v_cmp_gt_i32_e32 vcc_lo, s38, v26
	s_and_b32 s5, s2, vcc_lo
	v_lshl_add_u64 v[28:29], v[28:29], 2, s[26:27]
	s_and_saveexec_b32 s4, s5
	s_cbranch_execz .LBB20_49
; %bb.48:                               ;   in Loop: Header=BB20_8 Depth=2
	s_delay_alu instid0(VALU_DEP_1)
	v_lshl_add_u64 v[30:31], v[4:5], 2, v[28:29]
	global_load_b32 v25, v[30:31], off
	s_wait_loadcnt 0x0
	v_fmac_f32_e32 v25, v55, v42
	global_store_b32 v[30:31], v25, off
.LBB20_49:                              ;   in Loop: Header=BB20_8 Depth=2
	s_wait_xcnt 0x0
	s_or_b32 exec_lo, exec_lo, s4
	s_and_b32 s5, s3, vcc_lo
	s_delay_alu instid0(SALU_CYCLE_1)
	s_and_saveexec_b32 s4, s5
	s_cbranch_execz .LBB20_51
; %bb.50:                               ;   in Loop: Header=BB20_8 Depth=2
	v_lshl_add_u64 v[28:29], v[10:11], 2, v[28:29]
	global_load_b32 v25, v[28:29], off
	s_wait_loadcnt 0x0
	v_fmac_f32_e32 v25, v55, v43
	global_store_b32 v[28:29], v25, off
.LBB20_51:                              ;   in Loop: Header=BB20_8 Depth=2
	s_wait_xcnt 0x0
	s_or_b32 exec_lo, exec_lo, s4
	v_add_nc_u32_e32 v26, 16, v26
	s_delay_alu instid0(VALU_DEP_1) | instskip(SKIP_1) | instid1(VALU_DEP_2)
	v_ashrrev_i32_e32 v27, 31, v26
	v_cmp_gt_i32_e32 vcc_lo, s38, v26
	v_mul_u64_e32 v[28:29], s[28:29], v[26:27]
	s_and_b32 s5, s2, vcc_lo
	s_delay_alu instid0(VALU_DEP_1)
	v_lshl_add_u64 v[26:27], v[28:29], 2, s[26:27]
	s_and_saveexec_b32 s4, s5
	s_cbranch_execz .LBB20_53
; %bb.52:                               ;   in Loop: Header=BB20_8 Depth=2
	s_delay_alu instid0(VALU_DEP_1)
	v_lshl_add_u64 v[28:29], v[4:5], 2, v[26:27]
	global_load_b32 v25, v[28:29], off
	s_wait_loadcnt 0x0
	v_fmac_f32_e32 v25, v55, v40
	global_store_b32 v[28:29], v25, off
.LBB20_53:                              ;   in Loop: Header=BB20_8 Depth=2
	s_wait_xcnt 0x0
	s_or_b32 exec_lo, exec_lo, s4
	s_and_b32 s5, s3, vcc_lo
	s_delay_alu instid0(SALU_CYCLE_1)
	s_and_saveexec_b32 s4, s5
	s_cbranch_execz .LBB20_7
; %bb.54:                               ;   in Loop: Header=BB20_8 Depth=2
	v_lshl_add_u64 v[26:27], v[10:11], 2, v[26:27]
	global_load_b32 v25, v[26:27], off
	s_wait_loadcnt 0x0
	v_fmac_f32_e32 v25, v55, v41
	global_store_b32 v[26:27], v25, off
	s_branch .LBB20_7
.LBB20_55:
	s_sendmsg sendmsg(MSG_DEALLOC_VGPRS)
	s_endpgm
	.section	.rodata,"a",@progbits
	.p2align	6, 0x0
	.amdhsa_kernel _ZL30rocblas_trmm_outofplace_kernelIfLi32ELi2ELb0ELb0ELb1ELb1EPKfS0_fEv17rocblas_diagonal_iiT6_lPT7_lllS5_lllPT8_llli
		.amdhsa_group_segment_fixed_size 8192
		.amdhsa_private_segment_fixed_size 0
		.amdhsa_kernarg_size 392
		.amdhsa_user_sgpr_count 2
		.amdhsa_user_sgpr_dispatch_ptr 0
		.amdhsa_user_sgpr_queue_ptr 0
		.amdhsa_user_sgpr_kernarg_segment_ptr 1
		.amdhsa_user_sgpr_dispatch_id 0
		.amdhsa_user_sgpr_kernarg_preload_length 0
		.amdhsa_user_sgpr_kernarg_preload_offset 0
		.amdhsa_user_sgpr_private_segment_size 0
		.amdhsa_wavefront_size32 1
		.amdhsa_uses_dynamic_stack 0
		.amdhsa_enable_private_segment 0
		.amdhsa_system_sgpr_workgroup_id_x 1
		.amdhsa_system_sgpr_workgroup_id_y 1
		.amdhsa_system_sgpr_workgroup_id_z 1
		.amdhsa_system_sgpr_workgroup_info 0
		.amdhsa_system_vgpr_workitem_id 1
		.amdhsa_next_free_vgpr 79
		.amdhsa_next_free_sgpr 53
		.amdhsa_named_barrier_count 0
		.amdhsa_reserve_vcc 1
		.amdhsa_float_round_mode_32 0
		.amdhsa_float_round_mode_16_64 0
		.amdhsa_float_denorm_mode_32 3
		.amdhsa_float_denorm_mode_16_64 3
		.amdhsa_fp16_overflow 0
		.amdhsa_memory_ordered 1
		.amdhsa_forward_progress 1
		.amdhsa_inst_pref_size 25
		.amdhsa_round_robin_scheduling 0
		.amdhsa_exception_fp_ieee_invalid_op 0
		.amdhsa_exception_fp_denorm_src 0
		.amdhsa_exception_fp_ieee_div_zero 0
		.amdhsa_exception_fp_ieee_overflow 0
		.amdhsa_exception_fp_ieee_underflow 0
		.amdhsa_exception_fp_ieee_inexact 0
		.amdhsa_exception_int_div_zero 0
	.end_amdhsa_kernel
	.section	.text._ZL30rocblas_trmm_outofplace_kernelIfLi32ELi2ELb0ELb0ELb1ELb1EPKfS0_fEv17rocblas_diagonal_iiT6_lPT7_lllS5_lllPT8_llli,"axG",@progbits,_ZL30rocblas_trmm_outofplace_kernelIfLi32ELi2ELb0ELb0ELb1ELb1EPKfS0_fEv17rocblas_diagonal_iiT6_lPT7_lllS5_lllPT8_llli,comdat
.Lfunc_end20:
	.size	_ZL30rocblas_trmm_outofplace_kernelIfLi32ELi2ELb0ELb0ELb1ELb1EPKfS0_fEv17rocblas_diagonal_iiT6_lPT7_lllS5_lllPT8_llli, .Lfunc_end20-_ZL30rocblas_trmm_outofplace_kernelIfLi32ELi2ELb0ELb0ELb1ELb1EPKfS0_fEv17rocblas_diagonal_iiT6_lPT7_lllS5_lllPT8_llli
                                        ; -- End function
	.set _ZL30rocblas_trmm_outofplace_kernelIfLi32ELi2ELb0ELb0ELb1ELb1EPKfS0_fEv17rocblas_diagonal_iiT6_lPT7_lllS5_lllPT8_llli.num_vgpr, 79
	.set _ZL30rocblas_trmm_outofplace_kernelIfLi32ELi2ELb0ELb0ELb1ELb1EPKfS0_fEv17rocblas_diagonal_iiT6_lPT7_lllS5_lllPT8_llli.num_agpr, 0
	.set _ZL30rocblas_trmm_outofplace_kernelIfLi32ELi2ELb0ELb0ELb1ELb1EPKfS0_fEv17rocblas_diagonal_iiT6_lPT7_lllS5_lllPT8_llli.numbered_sgpr, 53
	.set _ZL30rocblas_trmm_outofplace_kernelIfLi32ELi2ELb0ELb0ELb1ELb1EPKfS0_fEv17rocblas_diagonal_iiT6_lPT7_lllS5_lllPT8_llli.num_named_barrier, 0
	.set _ZL30rocblas_trmm_outofplace_kernelIfLi32ELi2ELb0ELb0ELb1ELb1EPKfS0_fEv17rocblas_diagonal_iiT6_lPT7_lllS5_lllPT8_llli.private_seg_size, 0
	.set _ZL30rocblas_trmm_outofplace_kernelIfLi32ELi2ELb0ELb0ELb1ELb1EPKfS0_fEv17rocblas_diagonal_iiT6_lPT7_lllS5_lllPT8_llli.uses_vcc, 1
	.set _ZL30rocblas_trmm_outofplace_kernelIfLi32ELi2ELb0ELb0ELb1ELb1EPKfS0_fEv17rocblas_diagonal_iiT6_lPT7_lllS5_lllPT8_llli.uses_flat_scratch, 0
	.set _ZL30rocblas_trmm_outofplace_kernelIfLi32ELi2ELb0ELb0ELb1ELb1EPKfS0_fEv17rocblas_diagonal_iiT6_lPT7_lllS5_lllPT8_llli.has_dyn_sized_stack, 0
	.set _ZL30rocblas_trmm_outofplace_kernelIfLi32ELi2ELb0ELb0ELb1ELb1EPKfS0_fEv17rocblas_diagonal_iiT6_lPT7_lllS5_lllPT8_llli.has_recursion, 0
	.set _ZL30rocblas_trmm_outofplace_kernelIfLi32ELi2ELb0ELb0ELb1ELb1EPKfS0_fEv17rocblas_diagonal_iiT6_lPT7_lllS5_lllPT8_llli.has_indirect_call, 0
	.section	.AMDGPU.csdata,"",@progbits
; Kernel info:
; codeLenInByte = 3096
; TotalNumSgprs: 55
; NumVgprs: 79
; ScratchSize: 0
; MemoryBound: 0
; FloatMode: 240
; IeeeMode: 1
; LDSByteSize: 8192 bytes/workgroup (compile time only)
; SGPRBlocks: 0
; VGPRBlocks: 4
; NumSGPRsForWavesPerEU: 55
; NumVGPRsForWavesPerEU: 79
; NamedBarCnt: 0
; Occupancy: 12
; WaveLimiterHint : 0
; COMPUTE_PGM_RSRC2:SCRATCH_EN: 0
; COMPUTE_PGM_RSRC2:USER_SGPR: 2
; COMPUTE_PGM_RSRC2:TRAP_HANDLER: 0
; COMPUTE_PGM_RSRC2:TGID_X_EN: 1
; COMPUTE_PGM_RSRC2:TGID_Y_EN: 1
; COMPUTE_PGM_RSRC2:TGID_Z_EN: 1
; COMPUTE_PGM_RSRC2:TIDIG_COMP_CNT: 1
	.section	.text._ZL30rocblas_trmm_outofplace_kernelIfLi32ELi2ELb0ELb0ELb1ELb1EfKffEv17rocblas_diagonal_iiT6_lPT7_lllS4_lllPT8_llli,"axG",@progbits,_ZL30rocblas_trmm_outofplace_kernelIfLi32ELi2ELb0ELb0ELb1ELb1EfKffEv17rocblas_diagonal_iiT6_lPT7_lllS4_lllPT8_llli,comdat
	.globl	_ZL30rocblas_trmm_outofplace_kernelIfLi32ELi2ELb0ELb0ELb1ELb1EfKffEv17rocblas_diagonal_iiT6_lPT7_lllS4_lllPT8_llli ; -- Begin function _ZL30rocblas_trmm_outofplace_kernelIfLi32ELi2ELb0ELb0ELb1ELb1EfKffEv17rocblas_diagonal_iiT6_lPT7_lllS4_lllPT8_llli
	.p2align	8
	.type	_ZL30rocblas_trmm_outofplace_kernelIfLi32ELi2ELb0ELb0ELb1ELb1EfKffEv17rocblas_diagonal_iiT6_lPT7_lllS4_lllPT8_llli,@function
_ZL30rocblas_trmm_outofplace_kernelIfLi32ELi2ELb0ELb0ELb1ELb1EfKffEv17rocblas_diagonal_iiT6_lPT7_lllS4_lllPT8_llli: ; @_ZL30rocblas_trmm_outofplace_kernelIfLi32ELi2ELb0ELb0ELb1ELb1EfKffEv17rocblas_diagonal_iiT6_lPT7_lllS4_lllPT8_llli
; %bb.0:
	s_load_b32 s33, s[0:1], 0x78
	s_bfe_u32 s2, ttmp6, 0x40014
	s_lshr_b32 s3, ttmp7, 16
	s_add_co_i32 s2, s2, 1
	s_bfe_u32 s5, ttmp6, 0x40008
	s_mul_i32 s4, s3, s2
	s_getreg_b32 s2, hwreg(HW_REG_IB_STS2, 6, 4)
	s_add_co_i32 s5, s5, s4
	s_cmp_eq_u32 s2, 0
	s_cselect_b32 s34, s3, s5
	s_wait_kmcnt 0x0
	s_cmp_ge_u32 s34, s33
	s_cbranch_scc1 .LBB21_54
; %bb.1:
	s_load_b128 s[28:31], s[0:1], 0x0
	s_wait_kmcnt 0x0
	s_cmp_eq_f32 s31, 0
	s_cbranch_scc1 .LBB21_54
; %bb.2:
	s_add_co_i32 s3, s30, -1
	s_bfe_u32 s22, ttmp6, 0x4000c
	s_ashr_i32 s20, s3, 31
	s_load_b512 s[4:19], s[0:1], 0x18
	s_lshr_b32 s20, s20, 27
	s_add_co_i32 s22, s22, 1
	s_add_co_i32 s3, s3, s20
	s_and_b32 s20, ttmp7, 0xffff
	s_ashr_i32 s42, s3, 5
	s_bfe_u32 s3, ttmp6, 0x40010
	s_and_b32 s21, ttmp6, 15
	s_add_co_i32 s3, s3, 1
	s_mul_i32 s22, ttmp9, s22
	s_mul_i32 s3, s20, s3
	s_bfe_u32 s23, ttmp6, 0x40004
	s_add_co_i32 s21, s21, s22
	s_add_co_i32 s23, s23, s3
	v_and_b32_e32 v2, 0x3ff, v0
	s_cmp_eq_u32 s2, 0
	v_bfe_u32 v0, v0, 10, 10
	s_cselect_b32 s2, ttmp9, s21
	s_cselect_b32 s43, s20, s23
	v_lshl_add_u32 v4, s2, 5, v2
	v_dual_mov_b32 v3, 0 :: v_dual_lshlrev_b32 v8, 2, v2
	s_load_b256 s[20:27], s[0:1], 0x58
	s_cmp_le_i32 s43, s42
	s_delay_alu instid0(VALU_DEP_1)
	v_dual_ashrrev_i32 v5, 31, v4 :: v_dual_mov_b32 v1, v3
	v_dual_mov_b32 v7, v3 :: v_dual_lshlrev_b32 v6, 2, v0
	s_wait_kmcnt 0x0
	v_mul_u64_e32 v[16:17], s[8:9], v[2:3]
	s_cselect_b32 s44, -1, 0
	v_mul_u64_e32 v[12:13], s[16:17], v[0:1]
	s_cmp_eq_u32 s28, 0x84
	v_add_nc_u64_e32 v[6:7], 64, v[6:7]
	s_cselect_b32 s28, -1, 0
	s_ashr_i32 s3, s29, 31
	s_mov_b32 s2, s29
	v_dual_add_nc_u32 v18, 64, v8 :: v_dual_mov_b32 v54, 1.0
	v_add_nc_u32_e32 v10, 16, v4
	s_delay_alu instid0(VALU_DEP_3)
	v_mul_u64_e32 v[6:7], s[16:17], v[6:7]
	v_lshlrev_b32_e32 v50, 7, v0
	v_sub_nc_u64_e32 v[14:15], s[2:3], v[4:5]
	s_lshl_b64 s[2:3], s[6:7], 2
	v_or_b32_e32 v51, 0x1000, v8
	s_add_nc_u64 s[4:5], s[4:5], s[2:3]
	v_dual_ashrrev_i32 v11, 31, v10 :: v_dual_add_nc_u32 v52, v50, v8
	v_mad_nc_u64_u32 v[8:9], s8, v18, s[4:5]
	s_lshl_b64 s[2:3], s[14:15], 2
	s_add_nc_u64 s[40:41], s[0:1], 0x80
	s_lshl_b64 s[0:1], s[22:23], 2
	s_add_nc_u64 s[6:7], s[12:13], s[2:3]
	s_add_nc_u64 s[20:21], s[20:21], s[0:1]
	v_cmp_gt_i64_e64 s0, 1, v[14:15]
	v_cmp_gt_i64_e64 s1, 17, v[14:15]
	v_lshl_add_u64 v[14:15], v[4:5], 2, s[6:7]
	v_add_nc_u32_e32 v53, v51, v50
	v_cmp_gt_i32_e64 s2, s29, v4
	v_mad_u32 v9, s9, v18, v9
	v_cmp_gt_i32_e64 s3, s29, v10
	v_add_nc_u64_e32 v[14:15], 64, v[14:15]
	v_lshl_add_u64 v[16:17], v[16:17], 2, s[4:5]
	v_lshlrev_b64_e32 v[12:13], 2, v[12:13]
	v_add_nc_u32_e32 v55, 0x400, v51
	s_ashr_i32 s37, s30, 31
	s_mov_b32 s36, s30
	s_mov_b32 s35, 0
	s_lshl_b64 s[38:39], s[8:9], 7
	s_lshl_b64 s[16:17], s[16:17], 7
	s_add_nc_u64 s[12:13], s[36:37], -16
	s_lshl_b64 s[14:15], s[18:19], 2
	s_lshl_b64 s[10:11], s[10:11], 2
	s_branch .LBB21_4
.LBB21_3:                               ;   in Loop: Header=BB21_4 Depth=1
	s_add_co_i32 s34, s34, 0x10000
	s_delay_alu instid0(SALU_CYCLE_1)
	s_cmp_ge_u32 s34, s33
	s_cbranch_scc1 .LBB21_54
.LBB21_4:                               ; =>This Loop Header: Depth=1
                                        ;     Child Loop BB21_7 Depth 2
                                        ;       Child Loop BB21_10 Depth 3
	s_and_not1_b32 vcc_lo, exec_lo, s44
	s_cbranch_vccnz .LBB21_3
; %bb.5:                                ;   in Loop: Header=BB21_4 Depth=1
	s_load_b32 s29, s[40:41], 0x4
	v_mad_nc_u64_u32 v[18:19], s14, s34, v[14:15]
	v_mad_nc_u64_u32 v[20:21], s10, s34, v[8:9]
	;; [unrolled: 1-line block ×3, first 2 shown]
	s_mul_i32 s6, s11, s34
	s_mul_u64 s[4:5], s[26:27], s[34:35]
	v_lshl_add_u32 v24, s43, 5, v0
	s_lshl_b64 s[4:5], s[4:5], 2
	s_mov_b32 s46, s43
	s_add_nc_u64 s[18:19], s[20:21], s[4:5]
	s_delay_alu instid0(VALU_DEP_4) | instskip(NEXT) | instid1(VALU_DEP_3)
	v_mad_u32 v19, s15, s34, v19
	v_dual_add_nc_u32 v21, s6, v21 :: v_dual_add_nc_u32 v23, s6, v23
	s_wait_kmcnt 0x0
	s_lshl_b32 s45, s29, 5
	s_branch .LBB21_7
.LBB21_6:                               ;   in Loop: Header=BB21_7 Depth=2
	s_wait_xcnt 0x0
	s_or_b32 exec_lo, exec_lo, s4
	v_add_nc_u32_e32 v24, s45, v24
	s_add_co_i32 s46, s29, s46
	s_delay_alu instid0(SALU_CYCLE_1)
	s_cmp_gt_i32 s46, s42
	s_cbranch_scc1 .LBB21_3
.LBB21_7:                               ;   Parent Loop BB21_4 Depth=1
                                        ; =>  This Loop Header: Depth=2
                                        ;       Child Loop BB21_10 Depth 3
	s_lshl_b32 s47, s46, 5
	s_delay_alu instid0(SALU_CYCLE_1) | instskip(SKIP_1) | instid1(VALU_DEP_1)
	v_dual_mov_b32 v43, 0 :: v_dual_add_nc_u32 v26, s47, v0
	s_cmp_lt_i32 s46, 0
	v_dual_mov_b32 v42, v43 :: v_dual_mov_b32 v41, v43
	s_delay_alu instid0(VALU_DEP_2)
	v_dual_mov_b32 v40, v43 :: v_dual_ashrrev_i32 v27, 31, v26
	s_cbranch_scc1 .LBB21_46
; %bb.8:                                ;   in Loop: Header=BB21_7 Depth=2
	v_sub_nc_u64_e32 v[34:35], 0, v[2:3]
	s_delay_alu instid0(VALU_DEP_2) | instskip(SKIP_4) | instid1(VALU_DEP_4)
	v_add_nc_u64_e32 v[28:29], 16, v[26:27]
	v_dual_mov_b32 v40, 0 :: v_dual_ashrrev_i32 v25, 31, v24
	v_mov_b64_e32 v[30:31], v[22:23]
	v_mov_b64_e32 v[32:33], v[20:21]
	;; [unrolled: 1-line block ×3, first 2 shown]
	v_add_nc_u64_e32 v[34:35], v[34:35], v[24:25]
	v_lshlrev_b64_e32 v[38:39], 2, v[24:25]
	v_cmp_le_i64_e64 s4, s[36:37], v[28:29]
	v_dual_mov_b32 v41, v40 :: v_dual_mov_b32 v42, v40
	v_mov_b32_e32 v43, v40
	s_mov_b64 s[22:23], 0
	v_cmp_le_i32_e32 vcc_lo, s30, v26
	s_branch .LBB21_10
.LBB21_9:                               ;   in Loop: Header=BB21_10 Depth=3
	s_or_b32 exec_lo, exec_lo, s5
	s_wait_dscnt 0x0
	s_barrier_signal -1
	s_barrier_wait -1
	ds_load_b128 v[44:47], v50
	ds_load_2addr_b32 v[48:49], v51 offset1:16
	ds_load_b128 v[56:59], v50 offset:2048
	ds_load_2addr_b32 v[68:69], v51 offset0:32 offset1:48
	ds_load_2addr_b32 v[70:71], v51 offset0:64 offset1:80
	;; [unrolled: 1-line block ×3, first 2 shown]
	ds_load_b128 v[60:63], v50 offset:16
	ds_load_2addr_b32 v[74:75], v51 offset0:128 offset1:144
	ds_load_b128 v[64:67], v50 offset:2064
	v_add_nc_u32_e32 v78, 0xc00, v51
	v_add_nc_u64_e32 v[36:37], s[16:17], v[36:37]
	v_add_nc_u64_e32 v[32:33], s[38:39], v[32:33]
	;; [unrolled: 1-line block ×3, first 2 shown]
	s_add_nc_u64 s[22:23], s[22:23], 32
	s_delay_alu instid0(SALU_CYCLE_1) | instskip(NEXT) | instid1(SALU_CYCLE_1)
	s_sub_co_i32 s5, s22, 32
	s_cmp_ge_i32 s5, s47
	s_wait_dscnt 0x7
	v_pk_fma_f32 v[42:43], v[48:49], v[44:45], v[42:43] op_sel_hi:[1,0,1]
	s_wait_dscnt 0x6
	v_pk_fma_f32 v[40:41], v[48:49], v[56:57], v[40:41] op_sel_hi:[1,0,1]
	ds_load_2addr_b32 v[48:49], v51 offset0:160 offset1:176
	s_wait_dscnt 0x6
	v_pk_fma_f32 v[42:43], v[68:69], v[44:45], v[42:43] op_sel:[0,1,0]
	v_pk_fma_f32 v[40:41], v[68:69], v[56:57], v[40:41] op_sel:[0,1,0]
	ds_load_2addr_b32 v[56:57], v51 offset0:192 offset1:208
	v_dual_mov_b32 v44, v47 :: v_dual_mov_b32 v68, v59
	s_wait_dscnt 0x6
	v_pk_fma_f32 v[42:43], v[70:71], v[46:47], v[42:43] op_sel_hi:[1,0,1]
	v_pk_fma_f32 v[40:41], v[70:71], v[58:59], v[40:41] op_sel_hi:[1,0,1]
	ds_load_2addr_b32 v[58:59], v51 offset0:224 offset1:240
	s_wait_dscnt 0x6
	v_pk_fma_f32 v[70:71], v[72:73], v[44:45], v[42:43] op_sel_hi:[1,0,1]
	v_pk_fma_f32 v[68:69], v[72:73], v[68:69], v[40:41] op_sel_hi:[1,0,1]
	ds_load_b128 v[40:43], v50 offset:32
	ds_load_2addr_b32 v[72:73], v55 offset1:16
	ds_load_b128 v[44:47], v50 offset:2080
	s_wait_dscnt 0x7
	v_pk_fma_f32 v[70:71], v[74:75], v[60:61], v[70:71] op_sel_hi:[1,0,1]
	s_wait_dscnt 0x6
	v_pk_fma_f32 v[68:69], v[74:75], v[64:65], v[68:69] op_sel_hi:[1,0,1]
	ds_load_2addr_b32 v[74:75], v55 offset0:32 offset1:48
	s_wait_dscnt 0x6
	v_pk_fma_f32 v[60:61], v[48:49], v[60:61], v[70:71] op_sel:[0,1,0]
	v_pk_fma_f32 v[48:49], v[48:49], v[64:65], v[68:69] op_sel:[0,1,0]
	ds_load_2addr_b32 v[64:65], v55 offset0:64 offset1:80
	v_dual_mov_b32 v68, v63 :: v_dual_mov_b32 v70, v67
	s_wait_dscnt 0x6
	v_pk_fma_f32 v[60:61], v[56:57], v[62:63], v[60:61] op_sel_hi:[1,0,1]
	v_pk_fma_f32 v[48:49], v[56:57], v[66:67], v[48:49] op_sel_hi:[1,0,1]
	ds_load_2addr_b32 v[66:67], v55 offset0:96 offset1:112
	s_wait_dscnt 0x6
	v_pk_fma_f32 v[68:69], v[58:59], v[68:69], v[60:61] op_sel_hi:[1,0,1]
	v_pk_fma_f32 v[48:49], v[58:59], v[70:71], v[48:49] op_sel_hi:[1,0,1]
	ds_load_b128 v[56:59], v50 offset:48
	ds_load_2addr_b32 v[70:71], v55 offset0:128 offset1:144
	ds_load_b128 v[60:63], v50 offset:2096
	v_add_nc_u32_e32 v25, 0x800, v51
	s_wait_dscnt 0x7
	v_pk_fma_f32 v[68:69], v[72:73], v[40:41], v[68:69] op_sel_hi:[1,0,1]
	s_wait_dscnt 0x6
	v_pk_fma_f32 v[48:49], v[72:73], v[44:45], v[48:49] op_sel_hi:[1,0,1]
	ds_load_2addr_b32 v[72:73], v55 offset0:160 offset1:176
	s_wait_dscnt 0x6
	v_pk_fma_f32 v[40:41], v[74:75], v[40:41], v[68:69] op_sel:[0,1,0]
	v_mov_b32_e32 v68, v43
	v_pk_fma_f32 v[44:45], v[74:75], v[44:45], v[48:49] op_sel:[0,1,0]
	ds_load_2addr_b32 v[48:49], v55 offset0:192 offset1:208
	v_mov_b32_e32 v74, v47
	s_wait_dscnt 0x6
	v_pk_fma_f32 v[40:41], v[64:65], v[42:43], v[40:41] op_sel_hi:[1,0,1]
	v_pk_fma_f32 v[42:43], v[64:65], v[46:47], v[44:45] op_sel_hi:[1,0,1]
	ds_load_2addr_b32 v[64:65], v55 offset0:224 offset1:240
	s_wait_dscnt 0x6
	v_pk_fma_f32 v[68:69], v[66:67], v[68:69], v[40:41] op_sel_hi:[1,0,1]
	v_pk_fma_f32 v[66:67], v[66:67], v[74:75], v[42:43] op_sel_hi:[1,0,1]
	s_wait_dscnt 0x4
	s_delay_alu instid0(VALU_DEP_2) | instskip(SKIP_1) | instid1(VALU_DEP_2)
	v_pk_fma_f32 v[68:69], v[70:71], v[56:57], v[68:69] op_sel_hi:[1,0,1]
	s_wait_dscnt 0x3
	v_pk_fma_f32 v[66:67], v[70:71], v[60:61], v[66:67] op_sel_hi:[1,0,1]
	s_wait_dscnt 0x2
	s_delay_alu instid0(VALU_DEP_2)
	v_pk_fma_f32 v[56:57], v[72:73], v[56:57], v[68:69] op_sel:[0,1,0]
	v_mov_b32_e32 v68, v59
	ds_load_b128 v[40:43], v50 offset:64
	ds_load_b128 v[44:47], v50 offset:2112
	ds_load_2addr_b32 v[74:75], v25 offset1:16
	ds_load_2addr_b32 v[70:71], v25 offset0:32 offset1:48
	v_pk_fma_f32 v[60:61], v[72:73], v[60:61], v[66:67] op_sel:[0,1,0]
	s_wait_dscnt 0x5
	v_pk_fma_f32 v[56:57], v[48:49], v[58:59], v[56:57] op_sel_hi:[1,0,1]
	ds_load_2addr_b32 v[66:67], v25 offset0:64 offset1:80
	v_mov_b32_e32 v72, v63
	ds_load_2addr_b32 v[76:77], v25 offset0:96 offset1:112
	v_pk_fma_f32 v[48:49], v[48:49], v[62:63], v[60:61] op_sel_hi:[1,0,1]
	s_wait_dscnt 0x6
	v_pk_fma_f32 v[68:69], v[64:65], v[68:69], v[56:57] op_sel_hi:[1,0,1]
	s_wait_dscnt 0x3
	s_delay_alu instid0(VALU_DEP_1) | instskip(SKIP_1) | instid1(VALU_DEP_1)
	v_pk_fma_f32 v[68:69], v[74:75], v[40:41], v[68:69] op_sel_hi:[1,0,1]
	s_wait_dscnt 0x2
	v_pk_fma_f32 v[40:41], v[70:71], v[40:41], v[68:69] op_sel:[0,1,0]
	v_mov_b32_e32 v68, v43
	v_pk_fma_f32 v[48:49], v[64:65], v[72:73], v[48:49] op_sel_hi:[1,0,1]
	ds_load_b128 v[56:59], v50 offset:80
	ds_load_b128 v[60:63], v50 offset:2128
	ds_load_2addr_b32 v[64:65], v25 offset0:128 offset1:144
	ds_load_2addr_b32 v[72:73], v25 offset0:160 offset1:176
	s_wait_dscnt 0x5
	v_pk_fma_f32 v[40:41], v[66:67], v[42:43], v[40:41] op_sel_hi:[1,0,1]
	v_pk_fma_f32 v[48:49], v[74:75], v[44:45], v[48:49] op_sel_hi:[1,0,1]
	s_wait_dscnt 0x4
	s_delay_alu instid0(VALU_DEP_2) | instskip(NEXT) | instid1(VALU_DEP_2)
	v_pk_fma_f32 v[68:69], v[76:77], v[68:69], v[40:41] op_sel_hi:[1,0,1]
	v_pk_fma_f32 v[44:45], v[70:71], v[44:45], v[48:49] op_sel:[0,1,0]
	ds_load_2addr_b32 v[48:49], v25 offset0:192 offset1:208
	v_mov_b32_e32 v70, v47
	v_pk_fma_f32 v[42:43], v[66:67], v[46:47], v[44:45] op_sel_hi:[1,0,1]
	ds_load_2addr_b32 v[66:67], v25 offset0:224 offset1:240
	s_wait_dscnt 0x3
	v_pk_fma_f32 v[68:69], v[64:65], v[56:57], v[68:69] op_sel_hi:[1,0,1]
	s_wait_dscnt 0x2
	s_delay_alu instid0(VALU_DEP_1)
	v_pk_fma_f32 v[56:57], v[72:73], v[56:57], v[68:69] op_sel:[0,1,0]
	v_mov_b32_e32 v68, v59
	v_pk_fma_f32 v[70:71], v[76:77], v[70:71], v[42:43] op_sel_hi:[1,0,1]
	ds_load_b128 v[40:43], v50 offset:96
	ds_load_b128 v[44:47], v50 offset:2144
	ds_load_2addr_b32 v[74:75], v78 offset1:16
	ds_load_2addr_b32 v[76:77], v78 offset0:96 offset1:112
	s_wait_dscnt 0x5
	v_pk_fma_f32 v[56:57], v[48:49], v[58:59], v[56:57] op_sel_hi:[1,0,1]
	v_pk_fma_f32 v[64:65], v[64:65], v[60:61], v[70:71] op_sel_hi:[1,0,1]
	ds_load_2addr_b32 v[70:71], v78 offset0:32 offset1:48
	s_wait_dscnt 0x5
	v_pk_fma_f32 v[68:69], v[66:67], v[68:69], v[56:57] op_sel_hi:[1,0,1]
	v_pk_fma_f32 v[60:61], v[72:73], v[60:61], v[64:65] op_sel:[0,1,0]
	ds_load_2addr_b32 v[64:65], v78 offset0:64 offset1:80
	v_mov_b32_e32 v72, v63
	v_pk_fma_f32 v[48:49], v[48:49], v[62:63], v[60:61] op_sel_hi:[1,0,1]
	s_wait_dscnt 0x3
	v_pk_fma_f32 v[68:69], v[74:75], v[40:41], v[68:69] op_sel_hi:[1,0,1]
	s_wait_dscnt 0x1
	s_delay_alu instid0(VALU_DEP_1)
	v_pk_fma_f32 v[40:41], v[70:71], v[40:41], v[68:69] op_sel:[0,1,0]
	v_mov_b32_e32 v68, v43
	v_pk_fma_f32 v[48:49], v[66:67], v[72:73], v[48:49] op_sel_hi:[1,0,1]
	ds_load_b128 v[56:59], v50 offset:112
	ds_load_b128 v[60:63], v50 offset:2160
	ds_load_2addr_b32 v[66:67], v78 offset0:128 offset1:144
	ds_load_2addr_b32 v[72:73], v78 offset0:160 offset1:176
	s_wait_dscnt 0x4
	v_pk_fma_f32 v[40:41], v[64:65], v[42:43], v[40:41] op_sel_hi:[1,0,1]
	v_pk_fma_f32 v[48:49], v[74:75], v[44:45], v[48:49] op_sel_hi:[1,0,1]
	s_delay_alu instid0(VALU_DEP_2) | instskip(NEXT) | instid1(VALU_DEP_2)
	v_pk_fma_f32 v[40:41], v[76:77], v[68:69], v[40:41] op_sel_hi:[1,0,1]
	v_pk_fma_f32 v[44:45], v[70:71], v[44:45], v[48:49] op_sel:[0,1,0]
	ds_load_2addr_b32 v[48:49], v78 offset0:192 offset1:208
	v_mov_b32_e32 v70, v47
	v_pk_fma_f32 v[42:43], v[64:65], v[46:47], v[44:45] op_sel_hi:[1,0,1]
	ds_load_2addr_b32 v[44:45], v78 offset0:224 offset1:240
	s_wait_dscnt 0x0
	s_barrier_signal -1
	v_mov_b32_e32 v46, v59
	v_pk_fma_f32 v[42:43], v[76:77], v[70:71], v[42:43] op_sel_hi:[1,0,1]
	v_pk_fma_f32 v[40:41], v[66:67], v[56:57], v[40:41] op_sel_hi:[1,0,1]
	s_barrier_wait -1
	s_delay_alu instid0(VALU_DEP_2) | instskip(NEXT) | instid1(VALU_DEP_2)
	v_pk_fma_f32 v[42:43], v[66:67], v[60:61], v[42:43] op_sel_hi:[1,0,1]
	v_pk_fma_f32 v[40:41], v[72:73], v[56:57], v[40:41] op_sel:[0,1,0]
	v_mov_b32_e32 v56, v63
	s_delay_alu instid0(VALU_DEP_3) | instskip(NEXT) | instid1(VALU_DEP_3)
	v_pk_fma_f32 v[42:43], v[72:73], v[60:61], v[42:43] op_sel:[0,1,0]
	v_pk_fma_f32 v[40:41], v[48:49], v[58:59], v[40:41] op_sel_hi:[1,0,1]
	s_delay_alu instid0(VALU_DEP_2) | instskip(NEXT) | instid1(VALU_DEP_2)
	v_pk_fma_f32 v[48:49], v[48:49], v[62:63], v[42:43] op_sel_hi:[1,0,1]
	v_pk_fma_f32 v[42:43], v[44:45], v[46:47], v[40:41] op_sel_hi:[1,0,1]
	s_delay_alu instid0(VALU_DEP_2)
	v_pk_fma_f32 v[40:41], v[44:45], v[56:57], v[48:49] op_sel_hi:[1,0,1]
	s_cbranch_scc1 .LBB21_46
.LBB21_10:                              ;   Parent Loop BB21_4 Depth=1
                                        ;     Parent Loop BB21_7 Depth=2
                                        ; =>    This Inner Loop Header: Depth=3
	v_add_nc_u64_e32 v[46:47], s[22:23], v[2:3]
	v_cmp_eq_u64_e64 s7, s[22:23], v[34:35]
	v_add_nc_u64_e32 v[44:45], v[30:31], v[38:39]
                                        ; implicit-def: $vgpr25
	s_delay_alu instid0(VALU_DEP_3) | instskip(SKIP_3) | instid1(SALU_CYCLE_1)
	v_cmp_gt_i64_e64 s5, v[46:47], v[26:27]
	v_cmp_le_i64_e64 s6, s[36:37], v[46:47]
	s_and_b32 s48, s28, s7
	s_or_b32 s7, vcc_lo, s5
	s_or_b32 s7, s7, s48
	s_delay_alu instid0(SALU_CYCLE_1) | instskip(NEXT) | instid1(SALU_CYCLE_1)
	s_nor_b32 s7, s6, s7
	s_and_saveexec_b32 s8, s7
	s_delay_alu instid0(SALU_CYCLE_1)
	s_xor_b32 s7, exec_lo, s8
	s_cbranch_execz .LBB21_12
; %bb.11:                               ;   in Loop: Header=BB21_10 Depth=3
	global_load_b32 v25, v[44:45], off
.LBB21_12:                              ;   in Loop: Header=BB21_10 Depth=3
	s_wait_xcnt 0x0
	s_and_not1_saveexec_b32 s7, s7
	s_cbranch_execz .LBB21_14
; %bb.13:                               ;   in Loop: Header=BB21_10 Depth=3
	s_wait_loadcnt 0x0
	v_cndmask_b32_e64 v25, 0, 1.0, s48
.LBB21_14:                              ;   in Loop: Header=BB21_10 Depth=3
	s_or_b32 exec_lo, exec_lo, s7
	v_add_nc_u64_e32 v[48:49], -16, v[34:35]
	v_add_nc_u64_e32 v[56:57], 16, v[46:47]
	s_wait_loadcnt 0x0
	ds_store_b32 v52, v25
	v_cmp_eq_u64_e64 s8, s[22:23], v[48:49]
	v_cmp_gt_i64_e64 s9, v[56:57], v[26:27]
	v_cmp_le_i64_e64 s7, s[36:37], v[56:57]
	v_add_nc_u64_e32 v[48:49], v[32:33], v[38:39]
	s_and_b32 s49, s28, s8
	s_or_b32 s8, vcc_lo, s9
	s_delay_alu instid0(SALU_CYCLE_1) | instskip(NEXT) | instid1(SALU_CYCLE_1)
	s_or_b32 s8, s8, s49
	s_nor_b32 s8, s7, s8
	s_delay_alu instid0(SALU_CYCLE_1) | instskip(NEXT) | instid1(SALU_CYCLE_1)
	s_and_saveexec_b32 s9, s8
	s_xor_b32 s8, exec_lo, s9
	s_cbranch_execz .LBB21_16
; %bb.15:                               ;   in Loop: Header=BB21_10 Depth=3
	global_load_b32 v25, v[48:49], off
	s_wait_loadcnt 0x0
	ds_store_b32 v52, v25 offset:64
.LBB21_16:                              ;   in Loop: Header=BB21_10 Depth=3
	s_wait_xcnt 0x0
	s_and_not1_saveexec_b32 s8, s8
	s_cbranch_execz .LBB21_22
; %bb.17:                               ;   in Loop: Header=BB21_10 Depth=3
	s_xor_b32 s9, s49, -1
	s_delay_alu instid0(SALU_CYCLE_1) | instskip(NEXT) | instid1(SALU_CYCLE_1)
	s_and_saveexec_b32 s49, s9
	s_xor_b32 s9, exec_lo, s49
; %bb.18:                               ;   in Loop: Header=BB21_10 Depth=3
	ds_store_b32 v52, v3 offset:64
; %bb.19:                               ;   in Loop: Header=BB21_10 Depth=3
	s_and_not1_saveexec_b32 s9, s9
; %bb.20:                               ;   in Loop: Header=BB21_10 Depth=3
	ds_store_b32 v52, v54 offset:64
; %bb.21:                               ;   in Loop: Header=BB21_10 Depth=3
	s_or_b32 exec_lo, exec_lo, s9
.LBB21_22:                              ;   in Loop: Header=BB21_10 Depth=3
	s_delay_alu instid0(SALU_CYCLE_1) | instskip(SKIP_2) | instid1(VALU_DEP_2)
	s_or_b32 exec_lo, exec_lo, s8
	v_add_nc_u64_e32 v[56:57], 16, v[34:35]
	v_cmp_gt_i64_e64 s9, v[46:47], v[28:29]
                                        ; implicit-def: $vgpr25
	v_cmp_eq_u64_e64 s8, s[22:23], v[56:57]
	s_or_b32 s9, s4, s9
	s_and_b32 s8, s28, s8
	s_delay_alu instid0(SALU_CYCLE_1) | instskip(NEXT) | instid1(SALU_CYCLE_1)
	s_or_b32 s9, s9, s8
	s_nor_b32 s6, s6, s9
	s_delay_alu instid0(SALU_CYCLE_1) | instskip(NEXT) | instid1(SALU_CYCLE_1)
	s_and_saveexec_b32 s9, s6
	s_xor_b32 s6, exec_lo, s9
	s_cbranch_execz .LBB21_24
; %bb.23:                               ;   in Loop: Header=BB21_10 Depth=3
	global_load_b32 v25, v[44:45], off offset:64
.LBB21_24:                              ;   in Loop: Header=BB21_10 Depth=3
	s_wait_xcnt 0x0
	s_and_not1_saveexec_b32 s6, s6
	s_cbranch_execz .LBB21_26
; %bb.25:                               ;   in Loop: Header=BB21_10 Depth=3
	s_wait_loadcnt 0x0
	v_cndmask_b32_e64 v25, 0, 1.0, s8
.LBB21_26:                              ;   in Loop: Header=BB21_10 Depth=3
	s_or_b32 exec_lo, exec_lo, s6
	s_or_b32 s5, s4, s5
	s_wait_loadcnt 0x0
	ds_store_b32 v52, v25 offset:2048
	s_or_b32 s5, s5, s48
	s_delay_alu instid0(SALU_CYCLE_1) | instskip(NEXT) | instid1(SALU_CYCLE_1)
	s_nor_b32 s5, s7, s5
	s_and_saveexec_b32 s6, s5
	s_delay_alu instid0(SALU_CYCLE_1)
	s_xor_b32 s5, exec_lo, s6
	s_cbranch_execz .LBB21_28
; %bb.27:                               ;   in Loop: Header=BB21_10 Depth=3
	global_load_b32 v25, v[48:49], off offset:64
	s_wait_loadcnt 0x0
	ds_store_b32 v52, v25 offset:2112
.LBB21_28:                              ;   in Loop: Header=BB21_10 Depth=3
	s_wait_xcnt 0x0
	s_and_not1_saveexec_b32 s5, s5
	s_cbranch_execz .LBB21_34
; %bb.29:                               ;   in Loop: Header=BB21_10 Depth=3
	s_xor_b32 s6, s48, -1
	s_delay_alu instid0(SALU_CYCLE_1) | instskip(NEXT) | instid1(SALU_CYCLE_1)
	s_and_saveexec_b32 s7, s6
	s_xor_b32 s6, exec_lo, s7
; %bb.30:                               ;   in Loop: Header=BB21_10 Depth=3
	ds_store_b32 v52, v3 offset:2112
; %bb.31:                               ;   in Loop: Header=BB21_10 Depth=3
	s_and_not1_saveexec_b32 s6, s6
; %bb.32:                               ;   in Loop: Header=BB21_10 Depth=3
	ds_store_b32 v52, v54 offset:2112
; %bb.33:                               ;   in Loop: Header=BB21_10 Depth=3
	s_or_b32 exec_lo, exec_lo, s6
.LBB21_34:                              ;   in Loop: Header=BB21_10 Depth=3
	s_delay_alu instid0(SALU_CYCLE_1) | instskip(SKIP_3) | instid1(VALU_DEP_3)
	s_or_b32 exec_lo, exec_lo, s5
	v_add_nc_u64_e32 v[44:45], s[22:23], v[0:1]
	v_add_nc_u64_e32 v[46:47], v[36:37], v[12:13]
	v_mov_b32_e32 v25, 0
	v_cmp_le_i64_e64 s5, s[36:37], v[44:45]
	s_nor_b32 s7, s5, s0
	s_delay_alu instid0(SALU_CYCLE_1)
	s_and_saveexec_b32 s6, s7
	s_cbranch_execz .LBB21_36
; %bb.35:                               ;   in Loop: Header=BB21_10 Depth=3
	global_load_b32 v25, v[46:47], off offset:-64
.LBB21_36:                              ;   in Loop: Header=BB21_10 Depth=3
	s_wait_xcnt 0x0
	s_or_b32 exec_lo, exec_lo, s6
	s_nor_b32 s5, s5, s1
	s_wait_loadcnt 0x0
	ds_store_b32 v53, v25
	s_and_saveexec_b32 s6, s5
	s_delay_alu instid0(SALU_CYCLE_1)
	s_xor_b32 s5, exec_lo, s6
	s_cbranch_execz .LBB21_38
; %bb.37:                               ;   in Loop: Header=BB21_10 Depth=3
	global_load_b32 v25, v[46:47], off
	s_wait_loadcnt 0x0
	ds_store_b32 v53, v25 offset:64
.LBB21_38:                              ;   in Loop: Header=BB21_10 Depth=3
	s_wait_xcnt 0x0
	s_and_not1_saveexec_b32 s5, s5
; %bb.39:                               ;   in Loop: Header=BB21_10 Depth=3
	ds_store_b32 v53, v3 offset:64
; %bb.40:                               ;   in Loop: Header=BB21_10 Depth=3
	s_or_b32 exec_lo, exec_lo, s5
	v_cmp_le_i64_e64 s5, s[12:13], v[44:45]
	v_add_nc_u64_e32 v[44:45], v[36:37], v[6:7]
	v_mov_b32_e32 v25, 0
	s_nor_b32 s7, s5, s0
	s_delay_alu instid0(SALU_CYCLE_1)
	s_and_saveexec_b32 s6, s7
	s_cbranch_execz .LBB21_42
; %bb.41:                               ;   in Loop: Header=BB21_10 Depth=3
	global_load_b32 v25, v[44:45], off offset:-64
.LBB21_42:                              ;   in Loop: Header=BB21_10 Depth=3
	s_wait_xcnt 0x0
	s_or_b32 exec_lo, exec_lo, s6
	s_nor_b32 s5, s5, s1
	s_wait_loadcnt 0x0
	ds_store_b32 v53, v25 offset:2048
	s_and_saveexec_b32 s6, s5
	s_delay_alu instid0(SALU_CYCLE_1)
	s_xor_b32 s5, exec_lo, s6
	s_cbranch_execz .LBB21_44
; %bb.43:                               ;   in Loop: Header=BB21_10 Depth=3
	global_load_b32 v25, v[44:45], off
	s_wait_loadcnt 0x0
	ds_store_b32 v53, v25 offset:2112
.LBB21_44:                              ;   in Loop: Header=BB21_10 Depth=3
	s_wait_xcnt 0x0
	s_and_not1_saveexec_b32 s5, s5
	s_cbranch_execz .LBB21_9
; %bb.45:                               ;   in Loop: Header=BB21_10 Depth=3
	ds_store_b32 v53, v3 offset:2112
	s_branch .LBB21_9
.LBB21_46:                              ;   in Loop: Header=BB21_7 Depth=2
	s_delay_alu instid0(VALU_DEP_1) | instskip(SKIP_2) | instid1(VALU_DEP_2)
	v_mul_u64_e32 v[28:29], s[24:25], v[26:27]
	v_cmp_gt_i32_e32 vcc_lo, s30, v26
	s_and_b32 s5, s2, vcc_lo
	v_lshl_add_u64 v[28:29], v[28:29], 2, s[18:19]
	s_and_saveexec_b32 s4, s5
	s_cbranch_execz .LBB21_48
; %bb.47:                               ;   in Loop: Header=BB21_7 Depth=2
	s_delay_alu instid0(VALU_DEP_1)
	v_lshl_add_u64 v[30:31], v[4:5], 2, v[28:29]
	global_load_b32 v25, v[30:31], off
	s_wait_loadcnt 0x0
	v_fmac_f32_e32 v25, s31, v42
	global_store_b32 v[30:31], v25, off
.LBB21_48:                              ;   in Loop: Header=BB21_7 Depth=2
	s_wait_xcnt 0x0
	s_or_b32 exec_lo, exec_lo, s4
	s_and_b32 s5, s3, vcc_lo
	s_delay_alu instid0(SALU_CYCLE_1)
	s_and_saveexec_b32 s4, s5
	s_cbranch_execz .LBB21_50
; %bb.49:                               ;   in Loop: Header=BB21_7 Depth=2
	v_lshl_add_u64 v[28:29], v[10:11], 2, v[28:29]
	global_load_b32 v25, v[28:29], off
	s_wait_loadcnt 0x0
	v_fmac_f32_e32 v25, s31, v43
	global_store_b32 v[28:29], v25, off
.LBB21_50:                              ;   in Loop: Header=BB21_7 Depth=2
	s_wait_xcnt 0x0
	s_or_b32 exec_lo, exec_lo, s4
	v_add_nc_u32_e32 v26, 16, v26
	s_delay_alu instid0(VALU_DEP_1) | instskip(SKIP_1) | instid1(VALU_DEP_2)
	v_ashrrev_i32_e32 v27, 31, v26
	v_cmp_gt_i32_e32 vcc_lo, s30, v26
	v_mul_u64_e32 v[28:29], s[24:25], v[26:27]
	s_and_b32 s5, s2, vcc_lo
	s_delay_alu instid0(VALU_DEP_1)
	v_lshl_add_u64 v[26:27], v[28:29], 2, s[18:19]
	s_and_saveexec_b32 s4, s5
	s_cbranch_execz .LBB21_52
; %bb.51:                               ;   in Loop: Header=BB21_7 Depth=2
	s_delay_alu instid0(VALU_DEP_1)
	v_lshl_add_u64 v[28:29], v[4:5], 2, v[26:27]
	global_load_b32 v25, v[28:29], off
	s_wait_loadcnt 0x0
	v_fmac_f32_e32 v25, s31, v40
	global_store_b32 v[28:29], v25, off
.LBB21_52:                              ;   in Loop: Header=BB21_7 Depth=2
	s_wait_xcnt 0x0
	s_or_b32 exec_lo, exec_lo, s4
	s_and_b32 s5, s3, vcc_lo
	s_delay_alu instid0(SALU_CYCLE_1)
	s_and_saveexec_b32 s4, s5
	s_cbranch_execz .LBB21_6
; %bb.53:                               ;   in Loop: Header=BB21_7 Depth=2
	v_lshl_add_u64 v[26:27], v[10:11], 2, v[26:27]
	global_load_b32 v25, v[26:27], off
	s_wait_loadcnt 0x0
	v_fmac_f32_e32 v25, s31, v41
	global_store_b32 v[26:27], v25, off
	s_branch .LBB21_6
.LBB21_54:
	s_sendmsg sendmsg(MSG_DEALLOC_VGPRS)
	s_endpgm
	.section	.rodata,"a",@progbits
	.p2align	6, 0x0
	.amdhsa_kernel _ZL30rocblas_trmm_outofplace_kernelIfLi32ELi2ELb0ELb0ELb1ELb1EfKffEv17rocblas_diagonal_iiT6_lPT7_lllS4_lllPT8_llli
		.amdhsa_group_segment_fixed_size 8192
		.amdhsa_private_segment_fixed_size 0
		.amdhsa_kernarg_size 384
		.amdhsa_user_sgpr_count 2
		.amdhsa_user_sgpr_dispatch_ptr 0
		.amdhsa_user_sgpr_queue_ptr 0
		.amdhsa_user_sgpr_kernarg_segment_ptr 1
		.amdhsa_user_sgpr_dispatch_id 0
		.amdhsa_user_sgpr_kernarg_preload_length 0
		.amdhsa_user_sgpr_kernarg_preload_offset 0
		.amdhsa_user_sgpr_private_segment_size 0
		.amdhsa_wavefront_size32 1
		.amdhsa_uses_dynamic_stack 0
		.amdhsa_enable_private_segment 0
		.amdhsa_system_sgpr_workgroup_id_x 1
		.amdhsa_system_sgpr_workgroup_id_y 1
		.amdhsa_system_sgpr_workgroup_id_z 1
		.amdhsa_system_sgpr_workgroup_info 0
		.amdhsa_system_vgpr_workitem_id 1
		.amdhsa_next_free_vgpr 79
		.amdhsa_next_free_sgpr 50
		.amdhsa_named_barrier_count 0
		.amdhsa_reserve_vcc 1
		.amdhsa_float_round_mode_32 0
		.amdhsa_float_round_mode_16_64 0
		.amdhsa_float_denorm_mode_32 3
		.amdhsa_float_denorm_mode_16_64 3
		.amdhsa_fp16_overflow 0
		.amdhsa_memory_ordered 1
		.amdhsa_forward_progress 1
		.amdhsa_inst_pref_size 24
		.amdhsa_round_robin_scheduling 0
		.amdhsa_exception_fp_ieee_invalid_op 0
		.amdhsa_exception_fp_denorm_src 0
		.amdhsa_exception_fp_ieee_div_zero 0
		.amdhsa_exception_fp_ieee_overflow 0
		.amdhsa_exception_fp_ieee_underflow 0
		.amdhsa_exception_fp_ieee_inexact 0
		.amdhsa_exception_int_div_zero 0
	.end_amdhsa_kernel
	.section	.text._ZL30rocblas_trmm_outofplace_kernelIfLi32ELi2ELb0ELb0ELb1ELb1EfKffEv17rocblas_diagonal_iiT6_lPT7_lllS4_lllPT8_llli,"axG",@progbits,_ZL30rocblas_trmm_outofplace_kernelIfLi32ELi2ELb0ELb0ELb1ELb1EfKffEv17rocblas_diagonal_iiT6_lPT7_lllS4_lllPT8_llli,comdat
.Lfunc_end21:
	.size	_ZL30rocblas_trmm_outofplace_kernelIfLi32ELi2ELb0ELb0ELb1ELb1EfKffEv17rocblas_diagonal_iiT6_lPT7_lllS4_lllPT8_llli, .Lfunc_end21-_ZL30rocblas_trmm_outofplace_kernelIfLi32ELi2ELb0ELb0ELb1ELb1EfKffEv17rocblas_diagonal_iiT6_lPT7_lllS4_lllPT8_llli
                                        ; -- End function
	.set _ZL30rocblas_trmm_outofplace_kernelIfLi32ELi2ELb0ELb0ELb1ELb1EfKffEv17rocblas_diagonal_iiT6_lPT7_lllS4_lllPT8_llli.num_vgpr, 79
	.set _ZL30rocblas_trmm_outofplace_kernelIfLi32ELi2ELb0ELb0ELb1ELb1EfKffEv17rocblas_diagonal_iiT6_lPT7_lllS4_lllPT8_llli.num_agpr, 0
	.set _ZL30rocblas_trmm_outofplace_kernelIfLi32ELi2ELb0ELb0ELb1ELb1EfKffEv17rocblas_diagonal_iiT6_lPT7_lllS4_lllPT8_llli.numbered_sgpr, 50
	.set _ZL30rocblas_trmm_outofplace_kernelIfLi32ELi2ELb0ELb0ELb1ELb1EfKffEv17rocblas_diagonal_iiT6_lPT7_lllS4_lllPT8_llli.num_named_barrier, 0
	.set _ZL30rocblas_trmm_outofplace_kernelIfLi32ELi2ELb0ELb0ELb1ELb1EfKffEv17rocblas_diagonal_iiT6_lPT7_lllS4_lllPT8_llli.private_seg_size, 0
	.set _ZL30rocblas_trmm_outofplace_kernelIfLi32ELi2ELb0ELb0ELb1ELb1EfKffEv17rocblas_diagonal_iiT6_lPT7_lllS4_lllPT8_llli.uses_vcc, 1
	.set _ZL30rocblas_trmm_outofplace_kernelIfLi32ELi2ELb0ELb0ELb1ELb1EfKffEv17rocblas_diagonal_iiT6_lPT7_lllS4_lllPT8_llli.uses_flat_scratch, 0
	.set _ZL30rocblas_trmm_outofplace_kernelIfLi32ELi2ELb0ELb0ELb1ELb1EfKffEv17rocblas_diagonal_iiT6_lPT7_lllS4_lllPT8_llli.has_dyn_sized_stack, 0
	.set _ZL30rocblas_trmm_outofplace_kernelIfLi32ELi2ELb0ELb0ELb1ELb1EfKffEv17rocblas_diagonal_iiT6_lPT7_lllS4_lllPT8_llli.has_recursion, 0
	.set _ZL30rocblas_trmm_outofplace_kernelIfLi32ELi2ELb0ELb0ELb1ELb1EfKffEv17rocblas_diagonal_iiT6_lPT7_lllS4_lllPT8_llli.has_indirect_call, 0
	.section	.AMDGPU.csdata,"",@progbits
; Kernel info:
; codeLenInByte = 3056
; TotalNumSgprs: 52
; NumVgprs: 79
; ScratchSize: 0
; MemoryBound: 0
; FloatMode: 240
; IeeeMode: 1
; LDSByteSize: 8192 bytes/workgroup (compile time only)
; SGPRBlocks: 0
; VGPRBlocks: 4
; NumSGPRsForWavesPerEU: 52
; NumVGPRsForWavesPerEU: 79
; NamedBarCnt: 0
; Occupancy: 12
; WaveLimiterHint : 0
; COMPUTE_PGM_RSRC2:SCRATCH_EN: 0
; COMPUTE_PGM_RSRC2:USER_SGPR: 2
; COMPUTE_PGM_RSRC2:TRAP_HANDLER: 0
; COMPUTE_PGM_RSRC2:TGID_X_EN: 1
; COMPUTE_PGM_RSRC2:TGID_Y_EN: 1
; COMPUTE_PGM_RSRC2:TGID_Z_EN: 1
; COMPUTE_PGM_RSRC2:TIDIG_COMP_CNT: 1
	.section	.text._ZL30rocblas_trmm_outofplace_kernelIfLi32ELi2ELb0ELb1ELb1ELb1EPKfS0_fEv17rocblas_diagonal_iiT6_lPT7_lllS5_lllPT8_llli,"axG",@progbits,_ZL30rocblas_trmm_outofplace_kernelIfLi32ELi2ELb0ELb1ELb1ELb1EPKfS0_fEv17rocblas_diagonal_iiT6_lPT7_lllS5_lllPT8_llli,comdat
	.globl	_ZL30rocblas_trmm_outofplace_kernelIfLi32ELi2ELb0ELb1ELb1ELb1EPKfS0_fEv17rocblas_diagonal_iiT6_lPT7_lllS5_lllPT8_llli ; -- Begin function _ZL30rocblas_trmm_outofplace_kernelIfLi32ELi2ELb0ELb1ELb1ELb1EPKfS0_fEv17rocblas_diagonal_iiT6_lPT7_lllS5_lllPT8_llli
	.p2align	8
	.type	_ZL30rocblas_trmm_outofplace_kernelIfLi32ELi2ELb0ELb1ELb1ELb1EPKfS0_fEv17rocblas_diagonal_iiT6_lPT7_lllS5_lllPT8_llli,@function
_ZL30rocblas_trmm_outofplace_kernelIfLi32ELi2ELb0ELb1ELb1ELb1EPKfS0_fEv17rocblas_diagonal_iiT6_lPT7_lllS5_lllPT8_llli: ; @_ZL30rocblas_trmm_outofplace_kernelIfLi32ELi2ELb0ELb1ELb1ELb1EPKfS0_fEv17rocblas_diagonal_iiT6_lPT7_lllS5_lllPT8_llli
; %bb.0:
	s_load_b32 s11, s[0:1], 0x80
	s_bfe_u32 s2, ttmp6, 0x40014
	s_lshr_b32 s3, ttmp7, 16
	s_add_co_i32 s2, s2, 1
	s_bfe_u32 s5, ttmp6, 0x40008
	s_mul_i32 s4, s3, s2
	s_getreg_b32 s2, hwreg(HW_REG_IB_STS2, 6, 4)
	s_add_co_i32 s5, s5, s4
	s_cmp_eq_u32 s2, 0
	s_mov_b32 s35, 0
	s_cselect_b32 s34, s3, s5
	s_wait_kmcnt 0x0
	s_cmp_ge_u32 s34, s11
	s_cbranch_scc1 .LBB22_56
; %bb.1:
	s_clause 0x3
	s_load_b96 s[8:10], s[0:1], 0x0
	s_load_b512 s[12:27], s[0:1], 0x10
	s_load_b128 s[28:31], s[0:1], 0x70
	s_load_b256 s[36:43], s[0:1], 0x50
	s_bfe_u32 s4, ttmp6, 0x4000c
	s_bfe_u32 s6, ttmp6, 0x40010
	s_add_co_i32 s4, s4, 1
	s_and_b32 s3, ttmp6, 15
	s_and_b32 s5, ttmp7, 0xffff
	s_add_nc_u64 s[44:45], s[0:1], 0x88
	s_add_co_i32 s6, s6, 1
	s_wait_xcnt 0x0
	s_mul_i32 s0, ttmp9, s4
	s_bfe_u32 s7, ttmp6, 0x40004
	s_mul_i32 s1, s5, s6
	s_add_co_i32 s3, s3, s0
	s_add_co_i32 s7, s7, s1
	v_bfe_u32 v44, v0, 10, 10
	v_and_b32_e32 v6, 0x3ff, v0
	v_dual_mov_b32 v52, 1.0 :: v_dual_mov_b32 v51, 0
	s_wait_kmcnt 0x0
	s_add_co_i32 s0, s10, -1
	s_delay_alu instid0(VALU_DEP_2) | instskip(SKIP_1) | instid1(SALU_CYCLE_1)
	v_dual_lshlrev_b32 v45, 7, v44 :: v_dual_lshlrev_b32 v0, 2, v6
	s_ashr_i32 s1, s0, 31
	s_lshr_b32 s1, s1, 27
	s_delay_alu instid0(SALU_CYCLE_1)
	s_add_co_i32 s4, s0, s1
	s_lshl_b64 s[0:1], s[42:43], 2
	s_ashr_i32 s33, s4, 5
	s_cmp_eq_u32 s2, 0
	v_or_b32_e32 v47, 0x1000, v0
	s_cselect_b32 s2, ttmp9, s3
	v_add_nc_u32_e32 v46, v45, v0
	v_lshl_add_u32 v0, s2, 5, v6
	s_cselect_b32 s56, s5, s7
	s_mov_b32 s2, s9
	s_cmp_le_i32 s56, s33
	s_add_nc_u64 s[40:41], s[40:41], s[0:1]
	v_dual_ashrrev_i32 v1, 31, v0 :: v_dual_add_nc_u32 v2, 16, v0
	s_cselect_b32 s57, -1, 0
	s_cmp_eq_u32 s8, 0x84
	v_add_nc_u32_e32 v48, v47, v45
	s_cselect_b32 s58, -1, 0
	s_ashr_i32 s3, s9, 31
	s_lshl_b64 s[4:5], s[26:27], 2
	v_sub_nc_u64_e32 v[4:5], s[2:3], v[0:1]
	s_lshl_b32 s6, s56, 5
	s_add_nc_u64 s[4:5], s[24:25], s[4:5]
	v_cmp_gt_i32_e64 s0, s9, v0
	v_cmp_gt_i32_e64 s3, s9, v2
	v_dual_ashrrev_i32 v3, 31, v2 :: v_dual_add_nc_u32 v50, s6, v44
	s_delay_alu instid0(VALU_DEP_4)
	v_cmp_gt_i64_e64 s1, 1, v[4:5]
	v_cmp_gt_i64_e64 s2, 17, v[4:5]
	v_add_nc_u32_e32 v49, s6, v6
	v_lshl_add_u64 v[4:5], v[0:1], 2, s[4:5]
	s_mov_b32 s42, s10
	s_ashr_i32 s43, s10, 31
	s_lshl_b64 s[4:5], s[18:19], 2
	s_lshl_b64 s[46:47], s[20:21], 7
	;; [unrolled: 1-line block ×3, first 2 shown]
	s_add_nc_u64 s[50:51], s[42:43], -16
	s_lshl_b64 s[24:25], s[36:37], 2
	s_lshl_b64 s[26:27], s[38:39], 2
	s_add_nc_u64 s[16:17], s[16:17], s[4:5]
	s_lshl_b64 s[18:19], s[22:23], 2
	s_lshl_b64 s[22:23], s[20:21], 2
	s_branch .LBB22_4
.LBB22_2:                               ;   in Loop: Header=BB22_4 Depth=1
	s_add_co_i32 s34, s34, 0x10000
	s_delay_alu instid0(SALU_CYCLE_1)
	s_cmp_ge_u32 s34, s11
	s_cselect_b32 s4, -1, 0
.LBB22_3:                               ;   in Loop: Header=BB22_4 Depth=1
	s_delay_alu instid0(SALU_CYCLE_1)
	s_and_b32 vcc_lo, exec_lo, s4
	s_cbranch_vccnz .LBB22_56
.LBB22_4:                               ; =>This Loop Header: Depth=1
                                        ;     Child Loop BB22_8 Depth 2
                                        ;       Child Loop BB22_11 Depth 3
	s_mul_u64 s[4:5], s[14:15], s[34:35]
	s_delay_alu instid0(SALU_CYCLE_1) | instskip(NEXT) | instid1(SALU_CYCLE_1)
	s_lshl_b64 s[4:5], s[4:5], 2
	s_add_nc_u64 s[4:5], s[12:13], s[4:5]
	global_load_b32 v53, v51, s[4:5]
	s_wait_xcnt 0x0
	s_mov_b32 s4, -1
	s_wait_loadcnt 0x0
	v_cmp_eq_f32_e32 vcc_lo, 0, v53
	s_cbranch_vccnz .LBB22_3
; %bb.5:                                ;   in Loop: Header=BB22_4 Depth=1
	s_and_not1_b32 vcc_lo, exec_lo, s57
	s_cbranch_vccnz .LBB22_2
; %bb.6:                                ;   in Loop: Header=BB22_4 Depth=1
	s_load_b32 s59, s[44:45], 0x4
	v_mad_nc_u64_u32 v[6:7], s26, s34, v[4:5]
	s_mul_u64 s[6:7], s[30:31], s[34:35]
	v_dual_mov_b32 v8, v50 :: v_dual_mov_b32 v10, v49
	s_mul_u64 s[4:5], s[18:19], s[34:35]
	s_lshl_b64 s[6:7], s[6:7], 2
	s_add_nc_u64 s[38:39], s[16:17], s[4:5]
	s_add_nc_u64 s[52:53], s[40:41], s[6:7]
	s_mov_b32 s61, s56
	s_delay_alu instid0(VALU_DEP_2)
	v_mad_u32 v7, s27, s34, v7
	s_wait_kmcnt 0x0
	s_lshl_b32 s60, s59, 5
	s_branch .LBB22_8
.LBB22_7:                               ;   in Loop: Header=BB22_8 Depth=2
	s_wait_xcnt 0x0
	s_or_b32 exec_lo, exec_lo, s4
	v_dual_add_nc_u32 v10, s60, v10 :: v_dual_add_nc_u32 v8, s60, v8
	s_add_co_i32 s61, s59, s61
	s_delay_alu instid0(SALU_CYCLE_1)
	s_cmp_gt_i32 s61, s33
	s_cbranch_scc1 .LBB22_2
.LBB22_8:                               ;   Parent Loop BB22_4 Depth=1
                                        ; =>  This Loop Header: Depth=2
                                        ;       Child Loop BB22_11 Depth 3
	s_lshl_b32 s4, s61, 5
	v_ashrrev_i32_e32 v9, 31, v8
	v_dual_add_nc_u32 v12, s4, v44 :: v_dual_ashrrev_i32 v11, 31, v10
	s_sub_co_i32 s62, s10, s4
	s_delay_alu instid0(SALU_CYCLE_1) | instskip(NEXT) | instid1(VALU_DEP_1)
	s_cmp_lt_i32 s62, 1
	v_ashrrev_i32_e32 v13, 31, v12
	s_cbranch_scc1 .LBB22_47
; %bb.9:                                ;   in Loop: Header=BB22_8 Depth=2
	v_lshlrev_b64_e32 v[14:15], 2, v[8:9]
	v_lshl_add_u64 v[30:31], v[10:11], 2, 64
	v_mad_nc_u64_u32 v[16:17], s24, v8, 64
	v_mad_nc_u64_u32 v[18:19], s22, v10, s[38:39]
	v_sub_nc_u64_e32 v[24:25], v[8:9], v[10:11]
	v_add_nc_u64_e32 v[26:27], 16, v[12:13]
	v_mad_nc_u64_u32 v[20:21], s20, v30, s[38:39]
	v_add_nc_u64_e32 v[28:29], 64, v[14:15]
	v_mov_b32_e32 v34, 0
	v_mov_b64_e32 v[32:33], v[6:7]
	s_mov_b64 s[54:55], 0
	v_cmp_le_i32_e32 vcc_lo, s10, v12
	v_cmp_le_i64_e64 s4, s[42:43], v[26:27]
	v_mad_u32 v17, s25, v8, v17
	v_mad_nc_u64_u32 v[22:23], s36, v28, 64
	v_mad_u32 v19, s23, v10, v19
	v_dual_mov_b32 v35, v34 :: v_dual_mov_b32 v36, v34
	v_mad_u32 v21, s21, v30, v21
	v_mov_b32_e32 v37, v34
	v_mad_u32 v17, s24, v9, v17
	v_mad_u32 v23, s37, v28, v23
	;; [unrolled: 1-line block ×4, first 2 shown]
	v_add_nc_u64_e32 v[30:31], -16, v[24:25]
	s_delay_alu instid0(VALU_DEP_4)
	v_mad_u32 v23, s36, v29, v23
	v_add_nc_u64_e32 v[28:29], 16, v[24:25]
	s_branch .LBB22_11
.LBB22_10:                              ;   in Loop: Header=BB22_11 Depth=3
	s_or_b32 exec_lo, exec_lo, s5
	s_wait_dscnt 0x0
	s_barrier_signal -1
	s_barrier_wait -1
	ds_load_b128 v[38:41], v45
	ds_load_2addr_b32 v[42:43], v47 offset1:16
	ds_load_b128 v[54:57], v45 offset:2048
	ds_load_2addr_b32 v[66:67], v47 offset0:32 offset1:48
	ds_load_2addr_b32 v[68:69], v47 offset0:64 offset1:80
	;; [unrolled: 1-line block ×3, first 2 shown]
	ds_load_b128 v[58:61], v45 offset:16
	ds_load_2addr_b32 v[72:73], v47 offset0:128 offset1:144
	ds_load_b128 v[62:65], v45 offset:2064
	v_add_nc_u32_e32 v74, 0x400, v47
	v_add_nc_u32_e32 v76, 0x800, v47
	v_add_nc_u64_e32 v[32:33], s[48:49], v[32:33]
	v_add_nc_u64_e32 v[20:21], s[46:47], v[20:21]
	;; [unrolled: 1-line block ×3, first 2 shown]
	s_add_nc_u64 s[54:55], s[54:55], 32
	s_delay_alu instid0(SALU_CYCLE_1)
	s_cmp_ge_i32 s54, s62
	s_wait_dscnt 0x7
	v_pk_fma_f32 v[36:37], v[42:43], v[38:39], v[36:37] op_sel_hi:[1,0,1]
	s_wait_dscnt 0x6
	v_pk_fma_f32 v[34:35], v[42:43], v[54:55], v[34:35] op_sel_hi:[1,0,1]
	ds_load_2addr_b32 v[42:43], v47 offset0:160 offset1:176
	s_wait_dscnt 0x6
	v_pk_fma_f32 v[36:37], v[66:67], v[38:39], v[36:37] op_sel:[0,1,0]
	v_pk_fma_f32 v[34:35], v[66:67], v[54:55], v[34:35] op_sel:[0,1,0]
	ds_load_2addr_b32 v[54:55], v47 offset0:192 offset1:208
	v_dual_mov_b32 v38, v41 :: v_dual_mov_b32 v66, v57
	s_wait_dscnt 0x6
	v_pk_fma_f32 v[36:37], v[68:69], v[40:41], v[36:37] op_sel_hi:[1,0,1]
	v_pk_fma_f32 v[34:35], v[68:69], v[56:57], v[34:35] op_sel_hi:[1,0,1]
	ds_load_2addr_b32 v[56:57], v47 offset0:224 offset1:240
	s_wait_dscnt 0x6
	v_pk_fma_f32 v[68:69], v[70:71], v[38:39], v[36:37] op_sel_hi:[1,0,1]
	v_pk_fma_f32 v[66:67], v[70:71], v[66:67], v[34:35] op_sel_hi:[1,0,1]
	ds_load_b128 v[34:37], v45 offset:32
	ds_load_b128 v[38:41], v45 offset:2080
	ds_load_2addr_b32 v[70:71], v74 offset1:16
	s_wait_dscnt 0x7
	v_pk_fma_f32 v[68:69], v[72:73], v[58:59], v[68:69] op_sel_hi:[1,0,1]
	s_wait_dscnt 0x6
	v_pk_fma_f32 v[66:67], v[72:73], v[62:63], v[66:67] op_sel_hi:[1,0,1]
	ds_load_2addr_b32 v[72:73], v74 offset0:32 offset1:48
	s_wait_dscnt 0x6
	v_pk_fma_f32 v[58:59], v[42:43], v[58:59], v[68:69] op_sel:[0,1,0]
	v_pk_fma_f32 v[42:43], v[42:43], v[62:63], v[66:67] op_sel:[0,1,0]
	ds_load_2addr_b32 v[62:63], v74 offset0:64 offset1:80
	v_dual_mov_b32 v66, v61 :: v_dual_mov_b32 v68, v65
	s_wait_dscnt 0x6
	v_pk_fma_f32 v[58:59], v[54:55], v[60:61], v[58:59] op_sel_hi:[1,0,1]
	v_pk_fma_f32 v[42:43], v[54:55], v[64:65], v[42:43] op_sel_hi:[1,0,1]
	ds_load_2addr_b32 v[64:65], v74 offset0:96 offset1:112
	s_wait_dscnt 0x6
	v_pk_fma_f32 v[66:67], v[56:57], v[66:67], v[58:59] op_sel_hi:[1,0,1]
	v_pk_fma_f32 v[42:43], v[56:57], v[68:69], v[42:43] op_sel_hi:[1,0,1]
	ds_load_b128 v[54:57], v45 offset:48
	ds_load_b128 v[58:61], v45 offset:2096
	ds_load_2addr_b32 v[68:69], v74 offset0:128 offset1:144
	s_wait_dscnt 0x6
	v_pk_fma_f32 v[66:67], v[70:71], v[34:35], v[66:67] op_sel_hi:[1,0,1]
	v_pk_fma_f32 v[42:43], v[70:71], v[38:39], v[42:43] op_sel_hi:[1,0,1]
	ds_load_2addr_b32 v[70:71], v74 offset0:160 offset1:176
	s_wait_dscnt 0x6
	v_pk_fma_f32 v[34:35], v[72:73], v[34:35], v[66:67] op_sel:[0,1,0]
	v_pk_fma_f32 v[38:39], v[72:73], v[38:39], v[42:43] op_sel:[0,1,0]
	ds_load_2addr_b32 v[42:43], v74 offset0:192 offset1:208
	v_dual_mov_b32 v66, v37 :: v_dual_mov_b32 v72, v41
	s_wait_dscnt 0x6
	v_pk_fma_f32 v[34:35], v[62:63], v[36:37], v[34:35] op_sel_hi:[1,0,1]
	v_pk_fma_f32 v[36:37], v[62:63], v[40:41], v[38:39] op_sel_hi:[1,0,1]
	ds_load_2addr_b32 v[62:63], v74 offset0:224 offset1:240
	s_wait_dscnt 0x6
	v_pk_fma_f32 v[66:67], v[64:65], v[66:67], v[34:35] op_sel_hi:[1,0,1]
	v_pk_fma_f32 v[64:65], v[64:65], v[72:73], v[36:37] op_sel_hi:[1,0,1]
	ds_load_b128 v[34:37], v45 offset:64
	ds_load_b128 v[38:41], v45 offset:2112
	ds_load_2addr_b32 v[72:73], v76 offset1:16
	ds_load_2addr_b32 v[74:75], v76 offset0:96 offset1:112
	s_wait_dscnt 0x7
	v_pk_fma_f32 v[66:67], v[68:69], v[54:55], v[66:67] op_sel_hi:[1,0,1]
	v_pk_fma_f32 v[64:65], v[68:69], v[58:59], v[64:65] op_sel_hi:[1,0,1]
	ds_load_2addr_b32 v[68:69], v76 offset0:32 offset1:48
	s_wait_dscnt 0x7
	v_pk_fma_f32 v[54:55], v[70:71], v[54:55], v[66:67] op_sel:[0,1,0]
	v_pk_fma_f32 v[58:59], v[70:71], v[58:59], v[64:65] op_sel:[0,1,0]
	ds_load_2addr_b32 v[64:65], v76 offset0:64 offset1:80
	v_dual_mov_b32 v66, v57 :: v_dual_mov_b32 v70, v61
	s_wait_dscnt 0x7
	v_pk_fma_f32 v[54:55], v[42:43], v[56:57], v[54:55] op_sel_hi:[1,0,1]
	v_pk_fma_f32 v[42:43], v[42:43], v[60:61], v[58:59] op_sel_hi:[1,0,1]
	s_wait_dscnt 0x6
	s_delay_alu instid0(VALU_DEP_2) | instskip(NEXT) | instid1(VALU_DEP_2)
	v_pk_fma_f32 v[66:67], v[62:63], v[66:67], v[54:55] op_sel_hi:[1,0,1]
	v_pk_fma_f32 v[42:43], v[62:63], v[70:71], v[42:43] op_sel_hi:[1,0,1]
	ds_load_b128 v[54:57], v45 offset:80
	ds_load_b128 v[58:61], v45 offset:2128
	ds_load_2addr_b32 v[62:63], v76 offset0:128 offset1:144
	ds_load_2addr_b32 v[70:71], v76 offset0:160 offset1:176
	v_add_nc_u32_e32 v77, 0xc00, v47
	s_wait_dscnt 0x7
	v_pk_fma_f32 v[66:67], v[72:73], v[34:35], v[66:67] op_sel_hi:[1,0,1]
	v_pk_fma_f32 v[42:43], v[72:73], v[38:39], v[42:43] op_sel_hi:[1,0,1]
	s_wait_dscnt 0x5
	s_delay_alu instid0(VALU_DEP_2) | instskip(SKIP_1) | instid1(VALU_DEP_3)
	v_pk_fma_f32 v[34:35], v[68:69], v[34:35], v[66:67] op_sel:[0,1,0]
	v_mov_b32_e32 v66, v37
	v_pk_fma_f32 v[38:39], v[68:69], v[38:39], v[42:43] op_sel:[0,1,0]
	ds_load_2addr_b32 v[42:43], v76 offset0:192 offset1:208
	v_mov_b32_e32 v68, v41
	s_wait_dscnt 0x5
	v_pk_fma_f32 v[34:35], v[64:65], v[36:37], v[34:35] op_sel_hi:[1,0,1]
	v_pk_fma_f32 v[36:37], v[64:65], v[40:41], v[38:39] op_sel_hi:[1,0,1]
	ds_load_2addr_b32 v[64:65], v76 offset0:224 offset1:240
	v_pk_fma_f32 v[66:67], v[74:75], v[66:67], v[34:35] op_sel_hi:[1,0,1]
	v_pk_fma_f32 v[68:69], v[74:75], v[68:69], v[36:37] op_sel_hi:[1,0,1]
	s_wait_dscnt 0x3
	s_delay_alu instid0(VALU_DEP_2) | instskip(NEXT) | instid1(VALU_DEP_2)
	v_pk_fma_f32 v[66:67], v[62:63], v[54:55], v[66:67] op_sel_hi:[1,0,1]
	v_pk_fma_f32 v[62:63], v[62:63], v[58:59], v[68:69] op_sel_hi:[1,0,1]
	s_wait_dscnt 0x2
	s_delay_alu instid0(VALU_DEP_2)
	v_pk_fma_f32 v[54:55], v[70:71], v[54:55], v[66:67] op_sel:[0,1,0]
	v_mov_b32_e32 v66, v57
	ds_load_b128 v[34:37], v45 offset:96
	ds_load_b128 v[38:41], v45 offset:2144
	ds_load_2addr_b32 v[72:73], v77 offset1:16
	ds_load_2addr_b32 v[68:69], v77 offset0:32 offset1:48
	v_pk_fma_f32 v[58:59], v[70:71], v[58:59], v[62:63] op_sel:[0,1,0]
	s_wait_dscnt 0x5
	v_pk_fma_f32 v[54:55], v[42:43], v[56:57], v[54:55] op_sel_hi:[1,0,1]
	ds_load_2addr_b32 v[62:63], v77 offset0:64 offset1:80
	v_mov_b32_e32 v70, v61
	ds_load_2addr_b32 v[74:75], v77 offset0:96 offset1:112
	v_pk_fma_f32 v[42:43], v[42:43], v[60:61], v[58:59] op_sel_hi:[1,0,1]
	s_wait_dscnt 0x6
	v_pk_fma_f32 v[66:67], v[64:65], v[66:67], v[54:55] op_sel_hi:[1,0,1]
	s_wait_dscnt 0x3
	s_delay_alu instid0(VALU_DEP_1) | instskip(SKIP_1) | instid1(VALU_DEP_1)
	v_pk_fma_f32 v[66:67], v[72:73], v[34:35], v[66:67] op_sel_hi:[1,0,1]
	s_wait_dscnt 0x2
	v_pk_fma_f32 v[34:35], v[68:69], v[34:35], v[66:67] op_sel:[0,1,0]
	v_mov_b32_e32 v66, v37
	v_pk_fma_f32 v[42:43], v[64:65], v[70:71], v[42:43] op_sel_hi:[1,0,1]
	ds_load_b128 v[54:57], v45 offset:112
	ds_load_b128 v[58:61], v45 offset:2160
	ds_load_2addr_b32 v[64:65], v77 offset0:128 offset1:144
	ds_load_2addr_b32 v[70:71], v77 offset0:160 offset1:176
	s_wait_dscnt 0x5
	v_pk_fma_f32 v[34:35], v[62:63], v[36:37], v[34:35] op_sel_hi:[1,0,1]
	v_pk_fma_f32 v[42:43], v[72:73], v[38:39], v[42:43] op_sel_hi:[1,0,1]
	s_wait_dscnt 0x4
	s_delay_alu instid0(VALU_DEP_2) | instskip(NEXT) | instid1(VALU_DEP_2)
	v_pk_fma_f32 v[34:35], v[74:75], v[66:67], v[34:35] op_sel_hi:[1,0,1]
	v_pk_fma_f32 v[38:39], v[68:69], v[38:39], v[42:43] op_sel:[0,1,0]
	ds_load_2addr_b32 v[42:43], v77 offset0:192 offset1:208
	v_mov_b32_e32 v68, v41
	v_pk_fma_f32 v[36:37], v[62:63], v[40:41], v[38:39] op_sel_hi:[1,0,1]
	ds_load_2addr_b32 v[38:39], v77 offset0:224 offset1:240
	s_wait_dscnt 0x0
	s_barrier_signal -1
	v_mov_b32_e32 v40, v57
	v_pk_fma_f32 v[36:37], v[74:75], v[68:69], v[36:37] op_sel_hi:[1,0,1]
	v_pk_fma_f32 v[34:35], v[64:65], v[54:55], v[34:35] op_sel_hi:[1,0,1]
	s_barrier_wait -1
	s_delay_alu instid0(VALU_DEP_2) | instskip(NEXT) | instid1(VALU_DEP_2)
	v_pk_fma_f32 v[36:37], v[64:65], v[58:59], v[36:37] op_sel_hi:[1,0,1]
	v_pk_fma_f32 v[34:35], v[70:71], v[54:55], v[34:35] op_sel:[0,1,0]
	v_mov_b32_e32 v54, v61
	s_delay_alu instid0(VALU_DEP_3) | instskip(NEXT) | instid1(VALU_DEP_3)
	v_pk_fma_f32 v[36:37], v[70:71], v[58:59], v[36:37] op_sel:[0,1,0]
	v_pk_fma_f32 v[34:35], v[42:43], v[56:57], v[34:35] op_sel_hi:[1,0,1]
	s_delay_alu instid0(VALU_DEP_2) | instskip(NEXT) | instid1(VALU_DEP_2)
	v_pk_fma_f32 v[42:43], v[42:43], v[60:61], v[36:37] op_sel_hi:[1,0,1]
	v_pk_fma_f32 v[36:37], v[38:39], v[40:41], v[34:35] op_sel_hi:[1,0,1]
	s_delay_alu instid0(VALU_DEP_2)
	v_pk_fma_f32 v[34:35], v[38:39], v[54:55], v[42:43] op_sel_hi:[1,0,1]
	s_cbranch_scc1 .LBB22_48
.LBB22_11:                              ;   Parent Loop BB22_4 Depth=1
                                        ;     Parent Loop BB22_8 Depth=2
                                        ; =>    This Inner Loop Header: Depth=3
	v_add_nc_u64_e32 v[40:41], s[54:55], v[10:11]
	v_cmp_eq_u64_e64 s7, s[54:55], v[24:25]
	v_add_nc_u64_e32 v[38:39], v[18:19], v[14:15]
                                        ; implicit-def: $vgpr54
	s_delay_alu instid0(VALU_DEP_3) | instskip(SKIP_3) | instid1(SALU_CYCLE_1)
	v_cmp_lt_i64_e64 s5, v[40:41], v[12:13]
	v_cmp_le_i64_e64 s6, s[42:43], v[40:41]
	s_and_b32 s63, s58, s7
	s_or_b32 s8, vcc_lo, s5
	s_or_b32 s7, s6, s8
	s_delay_alu instid0(SALU_CYCLE_1) | instskip(NEXT) | instid1(SALU_CYCLE_1)
	s_nor_b32 s7, s7, s63
	s_and_saveexec_b32 s8, s7
	s_delay_alu instid0(SALU_CYCLE_1)
	s_xor_b32 s7, exec_lo, s8
	s_cbranch_execz .LBB22_13
; %bb.12:                               ;   in Loop: Header=BB22_11 Depth=3
	global_load_b32 v54, v[38:39], off
.LBB22_13:                              ;   in Loop: Header=BB22_11 Depth=3
	s_wait_xcnt 0x0
	s_and_not1_saveexec_b32 s7, s7
	s_cbranch_execz .LBB22_15
; %bb.14:                               ;   in Loop: Header=BB22_11 Depth=3
	s_wait_loadcnt 0x0
	v_cndmask_b32_e64 v54, 0, 1.0, s63
.LBB22_15:                              ;   in Loop: Header=BB22_11 Depth=3
	s_or_b32 exec_lo, exec_lo, s7
	v_add_nc_u64_e32 v[42:43], 16, v[40:41]
	v_cmp_eq_u64_e64 s9, s[54:55], v[30:31]
	s_wait_loadcnt 0x0
	ds_store_b32 v46, v54
	v_cmp_lt_i64_e64 s8, v[42:43], v[12:13]
	v_cmp_le_i64_e64 s7, s[42:43], v[42:43]
	v_add_nc_u64_e32 v[42:43], v[20:21], v[14:15]
	s_and_b32 s9, s58, s9
	s_or_b32 s8, vcc_lo, s8
	s_delay_alu instid0(SALU_CYCLE_1) | instskip(NEXT) | instid1(SALU_CYCLE_1)
	s_or_b32 s8, s7, s8
	s_nor_b32 s8, s8, s9
	s_delay_alu instid0(SALU_CYCLE_1) | instskip(NEXT) | instid1(SALU_CYCLE_1)
	s_and_saveexec_b32 s64, s8
	s_xor_b32 s8, exec_lo, s64
	s_cbranch_execz .LBB22_17
; %bb.16:                               ;   in Loop: Header=BB22_11 Depth=3
	global_load_b32 v54, v[42:43], off
	s_wait_loadcnt 0x0
	ds_store_b32 v46, v54 offset:64
.LBB22_17:                              ;   in Loop: Header=BB22_11 Depth=3
	s_wait_xcnt 0x0
	s_and_not1_saveexec_b32 s8, s8
	s_cbranch_execz .LBB22_23
; %bb.18:                               ;   in Loop: Header=BB22_11 Depth=3
	s_xor_b32 s9, s9, -1
	s_delay_alu instid0(SALU_CYCLE_1) | instskip(NEXT) | instid1(SALU_CYCLE_1)
	s_and_saveexec_b32 s64, s9
	s_xor_b32 s9, exec_lo, s64
; %bb.19:                               ;   in Loop: Header=BB22_11 Depth=3
	ds_store_b32 v46, v51 offset:64
; %bb.20:                               ;   in Loop: Header=BB22_11 Depth=3
	s_and_not1_saveexec_b32 s9, s9
; %bb.21:                               ;   in Loop: Header=BB22_11 Depth=3
	ds_store_b32 v46, v52 offset:64
; %bb.22:                               ;   in Loop: Header=BB22_11 Depth=3
	s_or_b32 exec_lo, exec_lo, s9
.LBB22_23:                              ;   in Loop: Header=BB22_11 Depth=3
	s_delay_alu instid0(SALU_CYCLE_1) | instskip(SKIP_4) | instid1(SALU_CYCLE_1)
	s_or_b32 exec_lo, exec_lo, s8
	v_cmp_eq_u64_e64 s8, s[54:55], v[28:29]
	v_cmp_lt_i64_e64 s9, v[40:41], v[26:27]
                                        ; implicit-def: $vgpr40
	s_and_b32 s8, s58, s8
	s_or_b32 s9, s4, s9
	s_or_b32 s9, s9, s8
	s_delay_alu instid0(SALU_CYCLE_1) | instskip(NEXT) | instid1(SALU_CYCLE_1)
	s_nor_b32 s6, s6, s9
	s_and_saveexec_b32 s9, s6
	s_delay_alu instid0(SALU_CYCLE_1)
	s_xor_b32 s6, exec_lo, s9
	s_cbranch_execz .LBB22_25
; %bb.24:                               ;   in Loop: Header=BB22_11 Depth=3
	global_load_b32 v40, v[38:39], off offset:64
.LBB22_25:                              ;   in Loop: Header=BB22_11 Depth=3
	s_wait_xcnt 0x0
	s_and_not1_saveexec_b32 s6, s6
	s_cbranch_execz .LBB22_27
; %bb.26:                               ;   in Loop: Header=BB22_11 Depth=3
	s_wait_loadcnt 0x0
	v_cndmask_b32_e64 v40, 0, 1.0, s8
.LBB22_27:                              ;   in Loop: Header=BB22_11 Depth=3
	s_or_b32 exec_lo, exec_lo, s6
	s_or_b32 s5, s4, s5
	s_wait_loadcnt 0x0
	ds_store_b32 v46, v40 offset:2048
	s_or_b32 s5, s7, s5
	s_delay_alu instid0(SALU_CYCLE_1) | instskip(NEXT) | instid1(SALU_CYCLE_1)
	s_nor_b32 s5, s5, s63
	s_and_saveexec_b32 s6, s5
	s_delay_alu instid0(SALU_CYCLE_1)
	s_xor_b32 s5, exec_lo, s6
	s_cbranch_execz .LBB22_29
; %bb.28:                               ;   in Loop: Header=BB22_11 Depth=3
	global_load_b32 v38, v[42:43], off offset:64
	s_wait_loadcnt 0x0
	ds_store_b32 v46, v38 offset:2112
.LBB22_29:                              ;   in Loop: Header=BB22_11 Depth=3
	s_wait_xcnt 0x0
	s_and_not1_saveexec_b32 s5, s5
	s_cbranch_execz .LBB22_35
; %bb.30:                               ;   in Loop: Header=BB22_11 Depth=3
	s_xor_b32 s6, s63, -1
	s_delay_alu instid0(SALU_CYCLE_1) | instskip(NEXT) | instid1(SALU_CYCLE_1)
	s_and_saveexec_b32 s7, s6
	s_xor_b32 s6, exec_lo, s7
; %bb.31:                               ;   in Loop: Header=BB22_11 Depth=3
	ds_store_b32 v46, v51 offset:2112
; %bb.32:                               ;   in Loop: Header=BB22_11 Depth=3
	s_and_not1_saveexec_b32 s6, s6
; %bb.33:                               ;   in Loop: Header=BB22_11 Depth=3
	ds_store_b32 v46, v52 offset:2112
; %bb.34:                               ;   in Loop: Header=BB22_11 Depth=3
	s_or_b32 exec_lo, exec_lo, s6
.LBB22_35:                              ;   in Loop: Header=BB22_11 Depth=3
	s_delay_alu instid0(SALU_CYCLE_1) | instskip(SKIP_3) | instid1(VALU_DEP_3)
	s_or_b32 exec_lo, exec_lo, s5
	v_add_nc_u64_e32 v[38:39], s[54:55], v[8:9]
	v_add_nc_u64_e32 v[40:41], v[32:33], v[16:17]
	v_mov_b32_e32 v42, 0
	v_cmp_le_i64_e64 s5, s[42:43], v[38:39]
	s_nor_b32 s7, s5, s1
	s_delay_alu instid0(SALU_CYCLE_1)
	s_and_saveexec_b32 s6, s7
	s_cbranch_execz .LBB22_37
; %bb.36:                               ;   in Loop: Header=BB22_11 Depth=3
	global_load_b32 v42, v[40:41], off offset:-64
.LBB22_37:                              ;   in Loop: Header=BB22_11 Depth=3
	s_wait_xcnt 0x0
	s_or_b32 exec_lo, exec_lo, s6
	s_nor_b32 s5, s5, s2
	s_wait_loadcnt 0x0
	ds_store_b32 v48, v42
	s_and_saveexec_b32 s6, s5
	s_delay_alu instid0(SALU_CYCLE_1)
	s_xor_b32 s5, exec_lo, s6
	s_cbranch_execz .LBB22_39
; %bb.38:                               ;   in Loop: Header=BB22_11 Depth=3
	global_load_b32 v40, v[40:41], off
	s_wait_loadcnt 0x0
	ds_store_b32 v48, v40 offset:64
.LBB22_39:                              ;   in Loop: Header=BB22_11 Depth=3
	s_wait_xcnt 0x0
	s_and_not1_saveexec_b32 s5, s5
; %bb.40:                               ;   in Loop: Header=BB22_11 Depth=3
	ds_store_b32 v48, v51 offset:64
; %bb.41:                               ;   in Loop: Header=BB22_11 Depth=3
	s_or_b32 exec_lo, exec_lo, s5
	v_cmp_le_i64_e64 s5, s[50:51], v[38:39]
	v_add_nc_u64_e32 v[38:39], v[32:33], v[22:23]
	v_mov_b32_e32 v40, 0
	s_nor_b32 s7, s5, s1
	s_delay_alu instid0(SALU_CYCLE_1)
	s_and_saveexec_b32 s6, s7
	s_cbranch_execz .LBB22_43
; %bb.42:                               ;   in Loop: Header=BB22_11 Depth=3
	global_load_b32 v40, v[38:39], off offset:-64
.LBB22_43:                              ;   in Loop: Header=BB22_11 Depth=3
	s_wait_xcnt 0x0
	s_or_b32 exec_lo, exec_lo, s6
	s_nor_b32 s5, s5, s2
	s_wait_loadcnt 0x0
	ds_store_b32 v48, v40 offset:2048
	s_and_saveexec_b32 s6, s5
	s_delay_alu instid0(SALU_CYCLE_1)
	s_xor_b32 s5, exec_lo, s6
	s_cbranch_execz .LBB22_45
; %bb.44:                               ;   in Loop: Header=BB22_11 Depth=3
	global_load_b32 v38, v[38:39], off
	s_wait_loadcnt 0x0
	ds_store_b32 v48, v38 offset:2112
.LBB22_45:                              ;   in Loop: Header=BB22_11 Depth=3
	s_wait_xcnt 0x0
	s_and_not1_saveexec_b32 s5, s5
	s_cbranch_execz .LBB22_10
; %bb.46:                               ;   in Loop: Header=BB22_11 Depth=3
	ds_store_b32 v48, v51 offset:2112
	s_branch .LBB22_10
.LBB22_47:                              ;   in Loop: Header=BB22_8 Depth=2
	v_mov_b32_e32 v37, 0
	s_delay_alu instid0(VALU_DEP_1)
	v_dual_mov_b32 v36, v37 :: v_dual_mov_b32 v35, v37
	v_mov_b32_e32 v34, v37
.LBB22_48:                              ;   in Loop: Header=BB22_8 Depth=2
	v_mul_u64_e32 v[14:15], s[28:29], v[12:13]
	v_cmp_gt_i32_e32 vcc_lo, s10, v12
	s_and_b32 s5, s0, vcc_lo
	s_delay_alu instid0(VALU_DEP_2)
	v_lshl_add_u64 v[14:15], v[14:15], 2, s[52:53]
	s_and_saveexec_b32 s4, s5
	s_cbranch_execz .LBB22_50
; %bb.49:                               ;   in Loop: Header=BB22_8 Depth=2
	s_delay_alu instid0(VALU_DEP_1)
	v_lshl_add_u64 v[16:17], v[0:1], 2, v[14:15]
	global_load_b32 v9, v[16:17], off
	s_wait_loadcnt 0x0
	v_fmac_f32_e32 v9, v53, v36
	global_store_b32 v[16:17], v9, off
.LBB22_50:                              ;   in Loop: Header=BB22_8 Depth=2
	s_wait_xcnt 0x0
	s_or_b32 exec_lo, exec_lo, s4
	s_and_b32 s5, s3, vcc_lo
	s_delay_alu instid0(SALU_CYCLE_1)
	s_and_saveexec_b32 s4, s5
	s_cbranch_execz .LBB22_52
; %bb.51:                               ;   in Loop: Header=BB22_8 Depth=2
	v_lshl_add_u64 v[14:15], v[2:3], 2, v[14:15]
	global_load_b32 v9, v[14:15], off
	s_wait_loadcnt 0x0
	v_fmac_f32_e32 v9, v53, v37
	global_store_b32 v[14:15], v9, off
.LBB22_52:                              ;   in Loop: Header=BB22_8 Depth=2
	s_wait_xcnt 0x0
	s_or_b32 exec_lo, exec_lo, s4
	v_add_nc_u32_e32 v12, 16, v12
	s_delay_alu instid0(VALU_DEP_1) | instskip(SKIP_1) | instid1(VALU_DEP_2)
	v_ashrrev_i32_e32 v13, 31, v12
	v_cmp_gt_i32_e32 vcc_lo, s10, v12
	v_mul_u64_e32 v[14:15], s[28:29], v[12:13]
	s_and_b32 s5, s0, vcc_lo
	s_delay_alu instid0(VALU_DEP_1)
	v_lshl_add_u64 v[12:13], v[14:15], 2, s[52:53]
	s_and_saveexec_b32 s4, s5
	s_cbranch_execz .LBB22_54
; %bb.53:                               ;   in Loop: Header=BB22_8 Depth=2
	s_delay_alu instid0(VALU_DEP_1)
	v_lshl_add_u64 v[14:15], v[0:1], 2, v[12:13]
	global_load_b32 v9, v[14:15], off
	s_wait_loadcnt 0x0
	v_fmac_f32_e32 v9, v53, v34
	global_store_b32 v[14:15], v9, off
.LBB22_54:                              ;   in Loop: Header=BB22_8 Depth=2
	s_wait_xcnt 0x0
	s_or_b32 exec_lo, exec_lo, s4
	s_and_b32 s5, s3, vcc_lo
	s_delay_alu instid0(SALU_CYCLE_1)
	s_and_saveexec_b32 s4, s5
	s_cbranch_execz .LBB22_7
; %bb.55:                               ;   in Loop: Header=BB22_8 Depth=2
	v_lshl_add_u64 v[12:13], v[2:3], 2, v[12:13]
	global_load_b32 v9, v[12:13], off
	s_wait_loadcnt 0x0
	v_fmac_f32_e32 v9, v53, v35
	global_store_b32 v[12:13], v9, off
	s_branch .LBB22_7
.LBB22_56:
	s_sendmsg sendmsg(MSG_DEALLOC_VGPRS)
	s_endpgm
	.section	.rodata,"a",@progbits
	.p2align	6, 0x0
	.amdhsa_kernel _ZL30rocblas_trmm_outofplace_kernelIfLi32ELi2ELb0ELb1ELb1ELb1EPKfS0_fEv17rocblas_diagonal_iiT6_lPT7_lllS5_lllPT8_llli
		.amdhsa_group_segment_fixed_size 8192
		.amdhsa_private_segment_fixed_size 0
		.amdhsa_kernarg_size 392
		.amdhsa_user_sgpr_count 2
		.amdhsa_user_sgpr_dispatch_ptr 0
		.amdhsa_user_sgpr_queue_ptr 0
		.amdhsa_user_sgpr_kernarg_segment_ptr 1
		.amdhsa_user_sgpr_dispatch_id 0
		.amdhsa_user_sgpr_kernarg_preload_length 0
		.amdhsa_user_sgpr_kernarg_preload_offset 0
		.amdhsa_user_sgpr_private_segment_size 0
		.amdhsa_wavefront_size32 1
		.amdhsa_uses_dynamic_stack 0
		.amdhsa_enable_private_segment 0
		.amdhsa_system_sgpr_workgroup_id_x 1
		.amdhsa_system_sgpr_workgroup_id_y 1
		.amdhsa_system_sgpr_workgroup_id_z 1
		.amdhsa_system_sgpr_workgroup_info 0
		.amdhsa_system_vgpr_workitem_id 1
		.amdhsa_next_free_vgpr 78
		.amdhsa_next_free_sgpr 65
		.amdhsa_named_barrier_count 0
		.amdhsa_reserve_vcc 1
		.amdhsa_float_round_mode_32 0
		.amdhsa_float_round_mode_16_64 0
		.amdhsa_float_denorm_mode_32 3
		.amdhsa_float_denorm_mode_16_64 3
		.amdhsa_fp16_overflow 0
		.amdhsa_memory_ordered 1
		.amdhsa_forward_progress 1
		.amdhsa_inst_pref_size 25
		.amdhsa_round_robin_scheduling 0
		.amdhsa_exception_fp_ieee_invalid_op 0
		.amdhsa_exception_fp_denorm_src 0
		.amdhsa_exception_fp_ieee_div_zero 0
		.amdhsa_exception_fp_ieee_overflow 0
		.amdhsa_exception_fp_ieee_underflow 0
		.amdhsa_exception_fp_ieee_inexact 0
		.amdhsa_exception_int_div_zero 0
	.end_amdhsa_kernel
	.section	.text._ZL30rocblas_trmm_outofplace_kernelIfLi32ELi2ELb0ELb1ELb1ELb1EPKfS0_fEv17rocblas_diagonal_iiT6_lPT7_lllS5_lllPT8_llli,"axG",@progbits,_ZL30rocblas_trmm_outofplace_kernelIfLi32ELi2ELb0ELb1ELb1ELb1EPKfS0_fEv17rocblas_diagonal_iiT6_lPT7_lllS5_lllPT8_llli,comdat
.Lfunc_end22:
	.size	_ZL30rocblas_trmm_outofplace_kernelIfLi32ELi2ELb0ELb1ELb1ELb1EPKfS0_fEv17rocblas_diagonal_iiT6_lPT7_lllS5_lllPT8_llli, .Lfunc_end22-_ZL30rocblas_trmm_outofplace_kernelIfLi32ELi2ELb0ELb1ELb1ELb1EPKfS0_fEv17rocblas_diagonal_iiT6_lPT7_lllS5_lllPT8_llli
                                        ; -- End function
	.set _ZL30rocblas_trmm_outofplace_kernelIfLi32ELi2ELb0ELb1ELb1ELb1EPKfS0_fEv17rocblas_diagonal_iiT6_lPT7_lllS5_lllPT8_llli.num_vgpr, 78
	.set _ZL30rocblas_trmm_outofplace_kernelIfLi32ELi2ELb0ELb1ELb1ELb1EPKfS0_fEv17rocblas_diagonal_iiT6_lPT7_lllS5_lllPT8_llli.num_agpr, 0
	.set _ZL30rocblas_trmm_outofplace_kernelIfLi32ELi2ELb0ELb1ELb1ELb1EPKfS0_fEv17rocblas_diagonal_iiT6_lPT7_lllS5_lllPT8_llli.numbered_sgpr, 65
	.set _ZL30rocblas_trmm_outofplace_kernelIfLi32ELi2ELb0ELb1ELb1ELb1EPKfS0_fEv17rocblas_diagonal_iiT6_lPT7_lllS5_lllPT8_llli.num_named_barrier, 0
	.set _ZL30rocblas_trmm_outofplace_kernelIfLi32ELi2ELb0ELb1ELb1ELb1EPKfS0_fEv17rocblas_diagonal_iiT6_lPT7_lllS5_lllPT8_llli.private_seg_size, 0
	.set _ZL30rocblas_trmm_outofplace_kernelIfLi32ELi2ELb0ELb1ELb1ELb1EPKfS0_fEv17rocblas_diagonal_iiT6_lPT7_lllS5_lllPT8_llli.uses_vcc, 1
	.set _ZL30rocblas_trmm_outofplace_kernelIfLi32ELi2ELb0ELb1ELb1ELb1EPKfS0_fEv17rocblas_diagonal_iiT6_lPT7_lllS5_lllPT8_llli.uses_flat_scratch, 0
	.set _ZL30rocblas_trmm_outofplace_kernelIfLi32ELi2ELb0ELb1ELb1ELb1EPKfS0_fEv17rocblas_diagonal_iiT6_lPT7_lllS5_lllPT8_llli.has_dyn_sized_stack, 0
	.set _ZL30rocblas_trmm_outofplace_kernelIfLi32ELi2ELb0ELb1ELb1ELb1EPKfS0_fEv17rocblas_diagonal_iiT6_lPT7_lllS5_lllPT8_llli.has_recursion, 0
	.set _ZL30rocblas_trmm_outofplace_kernelIfLi32ELi2ELb0ELb1ELb1ELb1EPKfS0_fEv17rocblas_diagonal_iiT6_lPT7_lllS5_lllPT8_llli.has_indirect_call, 0
	.section	.AMDGPU.csdata,"",@progbits
; Kernel info:
; codeLenInByte = 3168
; TotalNumSgprs: 67
; NumVgprs: 78
; ScratchSize: 0
; MemoryBound: 0
; FloatMode: 240
; IeeeMode: 1
; LDSByteSize: 8192 bytes/workgroup (compile time only)
; SGPRBlocks: 0
; VGPRBlocks: 4
; NumSGPRsForWavesPerEU: 67
; NumVGPRsForWavesPerEU: 78
; NamedBarCnt: 0
; Occupancy: 12
; WaveLimiterHint : 0
; COMPUTE_PGM_RSRC2:SCRATCH_EN: 0
; COMPUTE_PGM_RSRC2:USER_SGPR: 2
; COMPUTE_PGM_RSRC2:TRAP_HANDLER: 0
; COMPUTE_PGM_RSRC2:TGID_X_EN: 1
; COMPUTE_PGM_RSRC2:TGID_Y_EN: 1
; COMPUTE_PGM_RSRC2:TGID_Z_EN: 1
; COMPUTE_PGM_RSRC2:TIDIG_COMP_CNT: 1
	.section	.text._ZL30rocblas_trmm_outofplace_kernelIfLi32ELi2ELb0ELb1ELb1ELb1EfKffEv17rocblas_diagonal_iiT6_lPT7_lllS4_lllPT8_llli,"axG",@progbits,_ZL30rocblas_trmm_outofplace_kernelIfLi32ELi2ELb0ELb1ELb1ELb1EfKffEv17rocblas_diagonal_iiT6_lPT7_lllS4_lllPT8_llli,comdat
	.globl	_ZL30rocblas_trmm_outofplace_kernelIfLi32ELi2ELb0ELb1ELb1ELb1EfKffEv17rocblas_diagonal_iiT6_lPT7_lllS4_lllPT8_llli ; -- Begin function _ZL30rocblas_trmm_outofplace_kernelIfLi32ELi2ELb0ELb1ELb1ELb1EfKffEv17rocblas_diagonal_iiT6_lPT7_lllS4_lllPT8_llli
	.p2align	8
	.type	_ZL30rocblas_trmm_outofplace_kernelIfLi32ELi2ELb0ELb1ELb1ELb1EfKffEv17rocblas_diagonal_iiT6_lPT7_lllS4_lllPT8_llli,@function
_ZL30rocblas_trmm_outofplace_kernelIfLi32ELi2ELb0ELb1ELb1ELb1EfKffEv17rocblas_diagonal_iiT6_lPT7_lllS4_lllPT8_llli: ; @_ZL30rocblas_trmm_outofplace_kernelIfLi32ELi2ELb0ELb1ELb1ELb1EfKffEv17rocblas_diagonal_iiT6_lPT7_lllS4_lllPT8_llli
; %bb.0:
	s_load_b32 s33, s[0:1], 0x78
	s_bfe_u32 s2, ttmp6, 0x40014
	s_lshr_b32 s3, ttmp7, 16
	s_add_co_i32 s2, s2, 1
	s_bfe_u32 s5, ttmp6, 0x40008
	s_mul_i32 s4, s3, s2
	s_getreg_b32 s2, hwreg(HW_REG_IB_STS2, 6, 4)
	s_add_co_i32 s5, s5, s4
	s_cmp_eq_u32 s2, 0
	s_cselect_b32 s34, s3, s5
	s_wait_kmcnt 0x0
	s_cmp_ge_u32 s34, s33
	s_cbranch_scc1 .LBB23_55
; %bb.1:
	s_load_b128 s[36:39], s[0:1], 0x0
	s_wait_kmcnt 0x0
	s_cmp_eq_f32 s39, 0
	s_cbranch_scc1 .LBB23_55
; %bb.2:
	s_add_co_i32 s3, s38, -1
	s_bfe_u32 s6, ttmp6, 0x4000c
	s_ashr_i32 s5, s3, 31
	s_bfe_u32 s7, ttmp6, 0x40010
	s_lshr_b32 s5, s5, 27
	s_add_co_i32 s6, s6, 1
	s_add_co_i32 s3, s3, s5
	;; [unrolled: 1-line block ×3, first 2 shown]
	s_ashr_i32 s52, s3, 5
	s_and_b32 s3, ttmp7, 0xffff
	s_and_b32 s4, ttmp6, 15
	s_mul_i32 s5, ttmp9, s6
	s_mul_i32 s6, s3, s7
	s_bfe_u32 s7, ttmp6, 0x40004
	s_add_co_i32 s4, s4, s5
	s_add_co_i32 s7, s7, s6
	v_and_b32_e32 v6, 0x3ff, v0
	s_cmp_eq_u32 s2, 0
	s_load_b512 s[8:23], s[0:1], 0x18
	s_cselect_b32 s2, ttmp9, s4
	s_load_b256 s[24:31], s[0:1], 0x58
	v_lshl_add_u32 v2, s2, 5, v6
	v_bfe_u32 v44, v0, 10, 10
	s_cselect_b32 s53, s3, s7
	s_mov_b32 s2, s37
	s_cmp_le_i32 s53, s52
	s_delay_alu instid0(VALU_DEP_1)
	v_dual_ashrrev_i32 v3, 31, v2 :: v_dual_lshlrev_b32 v45, 7, v44
	v_lshlrev_b32_e32 v0, 2, v6
	s_cselect_b32 s54, -1, 0
	s_cmp_eq_u32 s36, 0x84
	v_mov_b32_e32 v51, 0
	s_cselect_b32 s55, -1, 0
	s_ashr_i32 s3, s37, 31
	v_or_b32_e32 v46, 0x1000, v0
	v_sub_nc_u64_e32 v[4:5], s[2:3], v[2:3]
	s_lshl_b32 s6, s53, 5
	v_mov_b32_e32 v52, 1.0
	s_wait_kmcnt 0x0
	s_lshl_b64 s[4:5], s[18:19], 2
	v_dual_add_nc_u32 v48, v46, v45 :: v_dual_add_nc_u32 v47, v45, v0
	v_add_nc_u32_e32 v0, 16, v2
	s_lshl_b64 s[2:3], s[26:27], 2
	s_add_nc_u64 s[26:27], s[0:1], 0x80
	v_cmp_gt_i64_e64 s0, 1, v[4:5]
	v_cmp_gt_i64_e64 s1, 17, v[4:5]
	s_add_nc_u64 s[4:5], s[16:17], s[4:5]
	s_add_nc_u64 s[24:25], s[24:25], s[2:3]
	v_cmp_gt_i32_e64 s2, s37, v2
	v_cmp_gt_i32_e64 s3, s37, v0
	v_dual_ashrrev_i32 v1, 31, v0 :: v_dual_add_nc_u32 v49, s6, v6
	v_add_nc_u32_e32 v50, s6, v44
	v_lshl_add_u64 v[4:5], v[2:3], 2, s[4:5]
	s_ashr_i32 s41, s38, 31
	s_mov_b32 s40, s38
	s_lshl_b64 s[4:5], s[10:11], 2
	s_mov_b32 s35, 0
	s_lshl_b64 s[42:43], s[12:13], 7
	s_lshl_b64 s[44:45], s[20:21], 7
	s_add_nc_u64 s[46:47], s[40:41], -16
	s_lshl_b64 s[16:17], s[20:21], 2
	s_lshl_b64 s[18:19], s[22:23], 2
	s_add_nc_u64 s[10:11], s[8:9], s[4:5]
	s_lshl_b64 s[14:15], s[14:15], 2
	s_lshl_b64 s[22:23], s[12:13], 2
	s_branch .LBB23_4
.LBB23_3:                               ;   in Loop: Header=BB23_4 Depth=1
	s_add_co_i32 s34, s34, 0x10000
	s_delay_alu instid0(SALU_CYCLE_1)
	s_cmp_ge_u32 s34, s33
	s_cbranch_scc1 .LBB23_55
.LBB23_4:                               ; =>This Loop Header: Depth=1
                                        ;     Child Loop BB23_7 Depth 2
                                        ;       Child Loop BB23_10 Depth 3
	s_and_not1_b32 vcc_lo, exec_lo, s54
	s_cbranch_vccnz .LBB23_3
; %bb.5:                                ;   in Loop: Header=BB23_4 Depth=1
	s_load_b32 s56, s[26:27], 0x4
	v_mad_nc_u64_u32 v[6:7], s18, s34, v[4:5]
	s_mul_u64 s[6:7], s[30:31], s[34:35]
	v_dual_mov_b32 v8, v50 :: v_dual_mov_b32 v10, v49
	s_mul_u64 s[4:5], s[14:15], s[34:35]
	s_lshl_b64 s[6:7], s[6:7], 2
	s_add_nc_u64 s[36:37], s[10:11], s[4:5]
	s_add_nc_u64 s[48:49], s[24:25], s[6:7]
	s_mov_b32 s58, s53
	s_delay_alu instid0(VALU_DEP_2)
	v_mad_u32 v7, s19, s34, v7
	s_wait_kmcnt 0x0
	s_lshl_b32 s57, s56, 5
	s_branch .LBB23_7
.LBB23_6:                               ;   in Loop: Header=BB23_7 Depth=2
	s_wait_xcnt 0x0
	s_or_b32 exec_lo, exec_lo, s4
	v_dual_add_nc_u32 v10, s57, v10 :: v_dual_add_nc_u32 v8, s57, v8
	s_add_co_i32 s58, s56, s58
	s_delay_alu instid0(SALU_CYCLE_1)
	s_cmp_gt_i32 s58, s52
	s_cbranch_scc1 .LBB23_3
.LBB23_7:                               ;   Parent Loop BB23_4 Depth=1
                                        ; =>  This Loop Header: Depth=2
                                        ;       Child Loop BB23_10 Depth 3
	s_lshl_b32 s4, s58, 5
	v_ashrrev_i32_e32 v9, 31, v8
	v_dual_add_nc_u32 v12, s4, v44 :: v_dual_ashrrev_i32 v11, 31, v10
	s_sub_co_i32 s59, s38, s4
	s_delay_alu instid0(SALU_CYCLE_1) | instskip(NEXT) | instid1(VALU_DEP_1)
	s_cmp_lt_i32 s59, 1
	v_ashrrev_i32_e32 v13, 31, v12
	s_cbranch_scc1 .LBB23_46
; %bb.8:                                ;   in Loop: Header=BB23_7 Depth=2
	v_lshlrev_b64_e32 v[14:15], 2, v[8:9]
	v_lshl_add_u64 v[30:31], v[10:11], 2, 64
	v_mad_nc_u64_u32 v[16:17], s16, v8, 64
	v_mad_nc_u64_u32 v[18:19], s22, v10, s[36:37]
	v_sub_nc_u64_e32 v[24:25], v[8:9], v[10:11]
	v_add_nc_u64_e32 v[26:27], 16, v[12:13]
	v_mad_nc_u64_u32 v[20:21], s12, v30, s[36:37]
	v_add_nc_u64_e32 v[28:29], 64, v[14:15]
	v_mov_b32_e32 v34, 0
	v_mov_b64_e32 v[32:33], v[6:7]
	s_mov_b64 s[50:51], 0
	v_cmp_le_i32_e32 vcc_lo, s38, v12
	v_cmp_le_i64_e64 s4, s[40:41], v[26:27]
	v_mad_u32 v17, s17, v8, v17
	v_mad_nc_u64_u32 v[22:23], s20, v28, 64
	v_mad_u32 v19, s23, v10, v19
	v_dual_mov_b32 v35, v34 :: v_dual_mov_b32 v36, v34
	v_mad_u32 v21, s13, v30, v21
	v_mov_b32_e32 v37, v34
	v_mad_u32 v17, s16, v9, v17
	v_mad_u32 v23, s21, v28, v23
	;; [unrolled: 1-line block ×4, first 2 shown]
	v_add_nc_u64_e32 v[30:31], -16, v[24:25]
	s_delay_alu instid0(VALU_DEP_4)
	v_mad_u32 v23, s20, v29, v23
	v_add_nc_u64_e32 v[28:29], 16, v[24:25]
	s_branch .LBB23_10
.LBB23_9:                               ;   in Loop: Header=BB23_10 Depth=3
	s_or_b32 exec_lo, exec_lo, s5
	s_wait_dscnt 0x0
	s_barrier_signal -1
	s_barrier_wait -1
	ds_load_b128 v[38:41], v45
	ds_load_2addr_b32 v[42:43], v46 offset1:16
	ds_load_b128 v[54:57], v45 offset:2048
	ds_load_2addr_b32 v[66:67], v46 offset0:32 offset1:48
	ds_load_2addr_b32 v[68:69], v46 offset0:64 offset1:80
	;; [unrolled: 1-line block ×3, first 2 shown]
	ds_load_b128 v[58:61], v45 offset:16
	ds_load_2addr_b32 v[72:73], v46 offset0:128 offset1:144
	ds_load_b128 v[62:65], v45 offset:2064
	v_add_nc_u32_e32 v53, 0x400, v46
	v_add_nc_u32_e32 v76, 0x800, v46
	v_add_nc_u64_e32 v[32:33], s[44:45], v[32:33]
	v_add_nc_u64_e32 v[20:21], s[42:43], v[20:21]
	;; [unrolled: 1-line block ×3, first 2 shown]
	s_add_nc_u64 s[50:51], s[50:51], 32
	s_delay_alu instid0(SALU_CYCLE_1)
	s_cmp_ge_i32 s50, s59
	s_wait_dscnt 0x7
	v_pk_fma_f32 v[36:37], v[42:43], v[38:39], v[36:37] op_sel_hi:[1,0,1]
	s_wait_dscnt 0x6
	v_pk_fma_f32 v[34:35], v[42:43], v[54:55], v[34:35] op_sel_hi:[1,0,1]
	ds_load_2addr_b32 v[42:43], v46 offset0:160 offset1:176
	s_wait_dscnt 0x6
	v_pk_fma_f32 v[36:37], v[66:67], v[38:39], v[36:37] op_sel:[0,1,0]
	v_pk_fma_f32 v[34:35], v[66:67], v[54:55], v[34:35] op_sel:[0,1,0]
	v_dual_mov_b32 v38, v41 :: v_dual_mov_b32 v66, v57
	ds_load_2addr_b32 v[54:55], v46 offset0:192 offset1:208
	s_wait_dscnt 0x6
	v_pk_fma_f32 v[36:37], v[68:69], v[40:41], v[36:37] op_sel_hi:[1,0,1]
	v_pk_fma_f32 v[34:35], v[68:69], v[56:57], v[34:35] op_sel_hi:[1,0,1]
	ds_load_2addr_b32 v[56:57], v46 offset0:224 offset1:240
	s_wait_dscnt 0x6
	v_pk_fma_f32 v[68:69], v[70:71], v[38:39], v[36:37] op_sel_hi:[1,0,1]
	v_pk_fma_f32 v[66:67], v[70:71], v[66:67], v[34:35] op_sel_hi:[1,0,1]
	s_wait_dscnt 0x4
	s_delay_alu instid0(VALU_DEP_2) | instskip(SKIP_1) | instid1(VALU_DEP_2)
	v_pk_fma_f32 v[68:69], v[72:73], v[58:59], v[68:69] op_sel_hi:[1,0,1]
	s_wait_dscnt 0x3
	v_pk_fma_f32 v[66:67], v[72:73], v[62:63], v[66:67] op_sel_hi:[1,0,1]
	s_wait_dscnt 0x2
	s_delay_alu instid0(VALU_DEP_2) | instskip(NEXT) | instid1(VALU_DEP_2)
	v_pk_fma_f32 v[58:59], v[42:43], v[58:59], v[68:69] op_sel:[0,1,0]
	v_pk_fma_f32 v[42:43], v[42:43], v[62:63], v[66:67] op_sel:[0,1,0]
	v_mov_b32_e32 v66, v61
	ds_load_b128 v[34:37], v45 offset:32
	ds_load_b128 v[38:41], v45 offset:2080
	ds_load_2addr_b32 v[70:71], v53 offset1:16
	ds_load_2addr_b32 v[72:73], v53 offset0:32 offset1:48
	s_wait_dscnt 0x5
	v_pk_fma_f32 v[58:59], v[54:55], v[60:61], v[58:59] op_sel_hi:[1,0,1]
	ds_load_2addr_b32 v[62:63], v53 offset0:64 offset1:80
	v_mov_b32_e32 v68, v65
	v_pk_fma_f32 v[42:43], v[54:55], v[64:65], v[42:43] op_sel_hi:[1,0,1]
	ds_load_2addr_b32 v[64:65], v53 offset0:96 offset1:112
	s_wait_dscnt 0x6
	v_pk_fma_f32 v[66:67], v[56:57], v[66:67], v[58:59] op_sel_hi:[1,0,1]
	s_wait_dscnt 0x3
	s_delay_alu instid0(VALU_DEP_1) | instskip(SKIP_1) | instid1(VALU_DEP_1)
	v_pk_fma_f32 v[66:67], v[70:71], v[34:35], v[66:67] op_sel_hi:[1,0,1]
	s_wait_dscnt 0x2
	v_pk_fma_f32 v[34:35], v[72:73], v[34:35], v[66:67] op_sel:[0,1,0]
	v_mov_b32_e32 v66, v37
	v_pk_fma_f32 v[42:43], v[56:57], v[68:69], v[42:43] op_sel_hi:[1,0,1]
	ds_load_b128 v[54:57], v45 offset:48
	ds_load_b128 v[58:61], v45 offset:2096
	ds_load_2addr_b32 v[68:69], v53 offset0:128 offset1:144
	s_wait_dscnt 0x4
	v_pk_fma_f32 v[34:35], v[62:63], v[36:37], v[34:35] op_sel_hi:[1,0,1]
	v_pk_fma_f32 v[42:43], v[70:71], v[38:39], v[42:43] op_sel_hi:[1,0,1]
	ds_load_2addr_b32 v[70:71], v53 offset0:160 offset1:176
	s_wait_dscnt 0x4
	v_pk_fma_f32 v[66:67], v[64:65], v[66:67], v[34:35] op_sel_hi:[1,0,1]
	v_pk_fma_f32 v[38:39], v[72:73], v[38:39], v[42:43] op_sel:[0,1,0]
	ds_load_2addr_b32 v[42:43], v53 offset0:192 offset1:208
	v_mov_b32_e32 v72, v41
	v_pk_fma_f32 v[36:37], v[62:63], v[40:41], v[38:39] op_sel_hi:[1,0,1]
	ds_load_2addr_b32 v[62:63], v53 offset0:224 offset1:240
	v_add_nc_u32_e32 v53, 0xc00, v46
	s_wait_dscnt 0x3
	v_pk_fma_f32 v[66:67], v[68:69], v[54:55], v[66:67] op_sel_hi:[1,0,1]
	s_wait_dscnt 0x2
	s_delay_alu instid0(VALU_DEP_1)
	v_pk_fma_f32 v[54:55], v[70:71], v[54:55], v[66:67] op_sel:[0,1,0]
	v_mov_b32_e32 v66, v57
	v_pk_fma_f32 v[64:65], v[64:65], v[72:73], v[36:37] op_sel_hi:[1,0,1]
	ds_load_b128 v[34:37], v45 offset:64
	ds_load_b128 v[38:41], v45 offset:2112
	ds_load_2addr_b32 v[72:73], v76 offset1:16
	ds_load_2addr_b32 v[74:75], v76 offset0:96 offset1:112
	s_wait_dscnt 0x5
	v_pk_fma_f32 v[54:55], v[42:43], v[56:57], v[54:55] op_sel_hi:[1,0,1]
	v_pk_fma_f32 v[64:65], v[68:69], v[58:59], v[64:65] op_sel_hi:[1,0,1]
	ds_load_2addr_b32 v[68:69], v76 offset0:32 offset1:48
	s_wait_dscnt 0x5
	v_pk_fma_f32 v[66:67], v[62:63], v[66:67], v[54:55] op_sel_hi:[1,0,1]
	v_pk_fma_f32 v[58:59], v[70:71], v[58:59], v[64:65] op_sel:[0,1,0]
	ds_load_2addr_b32 v[64:65], v76 offset0:64 offset1:80
	v_mov_b32_e32 v70, v61
	v_pk_fma_f32 v[42:43], v[42:43], v[60:61], v[58:59] op_sel_hi:[1,0,1]
	s_wait_dscnt 0x3
	v_pk_fma_f32 v[66:67], v[72:73], v[34:35], v[66:67] op_sel_hi:[1,0,1]
	s_wait_dscnt 0x1
	s_delay_alu instid0(VALU_DEP_1)
	v_pk_fma_f32 v[34:35], v[68:69], v[34:35], v[66:67] op_sel:[0,1,0]
	v_mov_b32_e32 v66, v37
	v_pk_fma_f32 v[42:43], v[62:63], v[70:71], v[42:43] op_sel_hi:[1,0,1]
	ds_load_b128 v[54:57], v45 offset:80
	ds_load_b128 v[58:61], v45 offset:2128
	ds_load_2addr_b32 v[62:63], v76 offset0:128 offset1:144
	ds_load_2addr_b32 v[70:71], v76 offset0:160 offset1:176
	s_wait_dscnt 0x4
	v_pk_fma_f32 v[34:35], v[64:65], v[36:37], v[34:35] op_sel_hi:[1,0,1]
	v_pk_fma_f32 v[42:43], v[72:73], v[38:39], v[42:43] op_sel_hi:[1,0,1]
	s_delay_alu instid0(VALU_DEP_2) | instskip(NEXT) | instid1(VALU_DEP_2)
	v_pk_fma_f32 v[66:67], v[74:75], v[66:67], v[34:35] op_sel_hi:[1,0,1]
	v_pk_fma_f32 v[38:39], v[68:69], v[38:39], v[42:43] op_sel:[0,1,0]
	ds_load_2addr_b32 v[42:43], v76 offset0:192 offset1:208
	v_mov_b32_e32 v68, v41
	v_pk_fma_f32 v[36:37], v[64:65], v[40:41], v[38:39] op_sel_hi:[1,0,1]
	ds_load_2addr_b32 v[64:65], v76 offset0:224 offset1:240
	v_pk_fma_f32 v[68:69], v[74:75], v[68:69], v[36:37] op_sel_hi:[1,0,1]
	ds_load_b128 v[34:37], v45 offset:96
	ds_load_b128 v[38:41], v45 offset:2144
	ds_load_2addr_b32 v[72:73], v53 offset1:16
	s_wait_dscnt 0x6
	v_pk_fma_f32 v[66:67], v[62:63], v[54:55], v[66:67] op_sel_hi:[1,0,1]
	ds_load_2addr_b32 v[74:75], v53 offset0:96 offset1:112
	v_pk_fma_f32 v[62:63], v[62:63], v[58:59], v[68:69] op_sel_hi:[1,0,1]
	ds_load_2addr_b32 v[68:69], v53 offset0:32 offset1:48
	s_wait_dscnt 0x7
	v_pk_fma_f32 v[54:55], v[70:71], v[54:55], v[66:67] op_sel:[0,1,0]
	v_mov_b32_e32 v66, v57
	v_pk_fma_f32 v[58:59], v[70:71], v[58:59], v[62:63] op_sel:[0,1,0]
	ds_load_2addr_b32 v[62:63], v53 offset0:64 offset1:80
	v_mov_b32_e32 v70, v61
	s_wait_dscnt 0x7
	v_pk_fma_f32 v[54:55], v[42:43], v[56:57], v[54:55] op_sel_hi:[1,0,1]
	v_pk_fma_f32 v[42:43], v[42:43], v[60:61], v[58:59] op_sel_hi:[1,0,1]
	s_wait_dscnt 0x6
	s_delay_alu instid0(VALU_DEP_2) | instskip(NEXT) | instid1(VALU_DEP_2)
	v_pk_fma_f32 v[66:67], v[64:65], v[66:67], v[54:55] op_sel_hi:[1,0,1]
	v_pk_fma_f32 v[42:43], v[64:65], v[70:71], v[42:43] op_sel_hi:[1,0,1]
	ds_load_b128 v[54:57], v45 offset:112
	ds_load_b128 v[58:61], v45 offset:2160
	ds_load_2addr_b32 v[64:65], v53 offset0:128 offset1:144
	ds_load_2addr_b32 v[70:71], v53 offset0:160 offset1:176
	s_wait_dscnt 0x7
	v_pk_fma_f32 v[66:67], v[72:73], v[34:35], v[66:67] op_sel_hi:[1,0,1]
	v_pk_fma_f32 v[42:43], v[72:73], v[38:39], v[42:43] op_sel_hi:[1,0,1]
	s_wait_dscnt 0x5
	s_delay_alu instid0(VALU_DEP_2) | instskip(SKIP_1) | instid1(VALU_DEP_3)
	v_pk_fma_f32 v[34:35], v[68:69], v[34:35], v[66:67] op_sel:[0,1,0]
	v_mov_b32_e32 v66, v37
	v_pk_fma_f32 v[38:39], v[68:69], v[38:39], v[42:43] op_sel:[0,1,0]
	ds_load_2addr_b32 v[42:43], v53 offset0:192 offset1:208
	v_mov_b32_e32 v68, v41
	s_wait_dscnt 0x5
	v_pk_fma_f32 v[34:35], v[62:63], v[36:37], v[34:35] op_sel_hi:[1,0,1]
	v_pk_fma_f32 v[36:37], v[62:63], v[40:41], v[38:39] op_sel_hi:[1,0,1]
	ds_load_2addr_b32 v[38:39], v53 offset0:224 offset1:240
	s_wait_dscnt 0x0
	v_pk_fma_f32 v[34:35], v[74:75], v[66:67], v[34:35] op_sel_hi:[1,0,1]
	v_mov_b32_e32 v40, v57
	v_pk_fma_f32 v[36:37], v[74:75], v[68:69], v[36:37] op_sel_hi:[1,0,1]
	s_barrier_signal -1
	s_barrier_wait -1
	v_pk_fma_f32 v[34:35], v[64:65], v[54:55], v[34:35] op_sel_hi:[1,0,1]
	s_delay_alu instid0(VALU_DEP_2) | instskip(NEXT) | instid1(VALU_DEP_2)
	v_pk_fma_f32 v[36:37], v[64:65], v[58:59], v[36:37] op_sel_hi:[1,0,1]
	v_pk_fma_f32 v[34:35], v[70:71], v[54:55], v[34:35] op_sel:[0,1,0]
	v_mov_b32_e32 v54, v61
	s_delay_alu instid0(VALU_DEP_3) | instskip(NEXT) | instid1(VALU_DEP_3)
	v_pk_fma_f32 v[36:37], v[70:71], v[58:59], v[36:37] op_sel:[0,1,0]
	v_pk_fma_f32 v[34:35], v[42:43], v[56:57], v[34:35] op_sel_hi:[1,0,1]
	s_delay_alu instid0(VALU_DEP_2) | instskip(NEXT) | instid1(VALU_DEP_2)
	v_pk_fma_f32 v[42:43], v[42:43], v[60:61], v[36:37] op_sel_hi:[1,0,1]
	v_pk_fma_f32 v[36:37], v[38:39], v[40:41], v[34:35] op_sel_hi:[1,0,1]
	s_delay_alu instid0(VALU_DEP_2)
	v_pk_fma_f32 v[34:35], v[38:39], v[54:55], v[42:43] op_sel_hi:[1,0,1]
	s_cbranch_scc1 .LBB23_47
.LBB23_10:                              ;   Parent Loop BB23_4 Depth=1
                                        ;     Parent Loop BB23_7 Depth=2
                                        ; =>    This Inner Loop Header: Depth=3
	v_add_nc_u64_e32 v[40:41], s[50:51], v[10:11]
	v_cmp_eq_u64_e64 s7, s[50:51], v[24:25]
	v_add_nc_u64_e32 v[38:39], v[18:19], v[14:15]
                                        ; implicit-def: $vgpr53
	s_delay_alu instid0(VALU_DEP_3) | instskip(SKIP_3) | instid1(SALU_CYCLE_1)
	v_cmp_lt_i64_e64 s5, v[40:41], v[12:13]
	v_cmp_le_i64_e64 s6, s[40:41], v[40:41]
	s_and_b32 s60, s55, s7
	s_or_b32 s8, vcc_lo, s5
	s_or_b32 s7, s6, s8
	s_delay_alu instid0(SALU_CYCLE_1) | instskip(NEXT) | instid1(SALU_CYCLE_1)
	s_nor_b32 s7, s7, s60
	s_and_saveexec_b32 s8, s7
	s_delay_alu instid0(SALU_CYCLE_1)
	s_xor_b32 s7, exec_lo, s8
	s_cbranch_execz .LBB23_12
; %bb.11:                               ;   in Loop: Header=BB23_10 Depth=3
	global_load_b32 v53, v[38:39], off
.LBB23_12:                              ;   in Loop: Header=BB23_10 Depth=3
	s_wait_xcnt 0x0
	s_and_not1_saveexec_b32 s7, s7
	s_cbranch_execz .LBB23_14
; %bb.13:                               ;   in Loop: Header=BB23_10 Depth=3
	s_wait_loadcnt 0x0
	v_cndmask_b32_e64 v53, 0, 1.0, s60
.LBB23_14:                              ;   in Loop: Header=BB23_10 Depth=3
	s_or_b32 exec_lo, exec_lo, s7
	v_add_nc_u64_e32 v[42:43], 16, v[40:41]
	v_cmp_eq_u64_e64 s9, s[50:51], v[30:31]
	s_wait_loadcnt 0x0
	ds_store_b32 v47, v53
	v_cmp_lt_i64_e64 s8, v[42:43], v[12:13]
	v_cmp_le_i64_e64 s7, s[40:41], v[42:43]
	v_add_nc_u64_e32 v[42:43], v[20:21], v[14:15]
	s_and_b32 s9, s55, s9
	s_or_b32 s8, vcc_lo, s8
	s_delay_alu instid0(SALU_CYCLE_1) | instskip(NEXT) | instid1(SALU_CYCLE_1)
	s_or_b32 s8, s7, s8
	s_nor_b32 s8, s8, s9
	s_delay_alu instid0(SALU_CYCLE_1) | instskip(NEXT) | instid1(SALU_CYCLE_1)
	s_and_saveexec_b32 s61, s8
	s_xor_b32 s8, exec_lo, s61
	s_cbranch_execz .LBB23_16
; %bb.15:                               ;   in Loop: Header=BB23_10 Depth=3
	global_load_b32 v53, v[42:43], off
	s_wait_loadcnt 0x0
	ds_store_b32 v47, v53 offset:64
.LBB23_16:                              ;   in Loop: Header=BB23_10 Depth=3
	s_wait_xcnt 0x0
	s_and_not1_saveexec_b32 s8, s8
	s_cbranch_execz .LBB23_22
; %bb.17:                               ;   in Loop: Header=BB23_10 Depth=3
	s_xor_b32 s9, s9, -1
	s_delay_alu instid0(SALU_CYCLE_1) | instskip(NEXT) | instid1(SALU_CYCLE_1)
	s_and_saveexec_b32 s61, s9
	s_xor_b32 s9, exec_lo, s61
; %bb.18:                               ;   in Loop: Header=BB23_10 Depth=3
	ds_store_b32 v47, v51 offset:64
; %bb.19:                               ;   in Loop: Header=BB23_10 Depth=3
	s_and_not1_saveexec_b32 s9, s9
; %bb.20:                               ;   in Loop: Header=BB23_10 Depth=3
	ds_store_b32 v47, v52 offset:64
; %bb.21:                               ;   in Loop: Header=BB23_10 Depth=3
	s_or_b32 exec_lo, exec_lo, s9
.LBB23_22:                              ;   in Loop: Header=BB23_10 Depth=3
	s_delay_alu instid0(SALU_CYCLE_1) | instskip(SKIP_4) | instid1(SALU_CYCLE_1)
	s_or_b32 exec_lo, exec_lo, s8
	v_cmp_eq_u64_e64 s8, s[50:51], v[28:29]
	v_cmp_lt_i64_e64 s9, v[40:41], v[26:27]
                                        ; implicit-def: $vgpr40
	s_and_b32 s8, s55, s8
	s_or_b32 s9, s4, s9
	s_or_b32 s9, s9, s8
	s_delay_alu instid0(SALU_CYCLE_1) | instskip(NEXT) | instid1(SALU_CYCLE_1)
	s_nor_b32 s6, s6, s9
	s_and_saveexec_b32 s9, s6
	s_delay_alu instid0(SALU_CYCLE_1)
	s_xor_b32 s6, exec_lo, s9
	s_cbranch_execz .LBB23_24
; %bb.23:                               ;   in Loop: Header=BB23_10 Depth=3
	global_load_b32 v40, v[38:39], off offset:64
.LBB23_24:                              ;   in Loop: Header=BB23_10 Depth=3
	s_wait_xcnt 0x0
	s_and_not1_saveexec_b32 s6, s6
	s_cbranch_execz .LBB23_26
; %bb.25:                               ;   in Loop: Header=BB23_10 Depth=3
	s_wait_loadcnt 0x0
	v_cndmask_b32_e64 v40, 0, 1.0, s8
.LBB23_26:                              ;   in Loop: Header=BB23_10 Depth=3
	s_or_b32 exec_lo, exec_lo, s6
	s_or_b32 s5, s4, s5
	s_wait_loadcnt 0x0
	ds_store_b32 v47, v40 offset:2048
	s_or_b32 s5, s7, s5
	s_delay_alu instid0(SALU_CYCLE_1) | instskip(NEXT) | instid1(SALU_CYCLE_1)
	s_nor_b32 s5, s5, s60
	s_and_saveexec_b32 s6, s5
	s_delay_alu instid0(SALU_CYCLE_1)
	s_xor_b32 s5, exec_lo, s6
	s_cbranch_execz .LBB23_28
; %bb.27:                               ;   in Loop: Header=BB23_10 Depth=3
	global_load_b32 v38, v[42:43], off offset:64
	s_wait_loadcnt 0x0
	ds_store_b32 v47, v38 offset:2112
.LBB23_28:                              ;   in Loop: Header=BB23_10 Depth=3
	s_wait_xcnt 0x0
	s_and_not1_saveexec_b32 s5, s5
	s_cbranch_execz .LBB23_34
; %bb.29:                               ;   in Loop: Header=BB23_10 Depth=3
	s_xor_b32 s6, s60, -1
	s_delay_alu instid0(SALU_CYCLE_1) | instskip(NEXT) | instid1(SALU_CYCLE_1)
	s_and_saveexec_b32 s7, s6
	s_xor_b32 s6, exec_lo, s7
; %bb.30:                               ;   in Loop: Header=BB23_10 Depth=3
	ds_store_b32 v47, v51 offset:2112
; %bb.31:                               ;   in Loop: Header=BB23_10 Depth=3
	s_and_not1_saveexec_b32 s6, s6
; %bb.32:                               ;   in Loop: Header=BB23_10 Depth=3
	ds_store_b32 v47, v52 offset:2112
; %bb.33:                               ;   in Loop: Header=BB23_10 Depth=3
	s_or_b32 exec_lo, exec_lo, s6
.LBB23_34:                              ;   in Loop: Header=BB23_10 Depth=3
	s_delay_alu instid0(SALU_CYCLE_1) | instskip(SKIP_3) | instid1(VALU_DEP_3)
	s_or_b32 exec_lo, exec_lo, s5
	v_add_nc_u64_e32 v[38:39], s[50:51], v[8:9]
	v_add_nc_u64_e32 v[40:41], v[32:33], v[16:17]
	v_mov_b32_e32 v42, 0
	v_cmp_le_i64_e64 s5, s[40:41], v[38:39]
	s_nor_b32 s7, s5, s0
	s_delay_alu instid0(SALU_CYCLE_1)
	s_and_saveexec_b32 s6, s7
	s_cbranch_execz .LBB23_36
; %bb.35:                               ;   in Loop: Header=BB23_10 Depth=3
	global_load_b32 v42, v[40:41], off offset:-64
.LBB23_36:                              ;   in Loop: Header=BB23_10 Depth=3
	s_wait_xcnt 0x0
	s_or_b32 exec_lo, exec_lo, s6
	s_nor_b32 s5, s5, s1
	s_wait_loadcnt 0x0
	ds_store_b32 v48, v42
	s_and_saveexec_b32 s6, s5
	s_delay_alu instid0(SALU_CYCLE_1)
	s_xor_b32 s5, exec_lo, s6
	s_cbranch_execz .LBB23_38
; %bb.37:                               ;   in Loop: Header=BB23_10 Depth=3
	global_load_b32 v40, v[40:41], off
	s_wait_loadcnt 0x0
	ds_store_b32 v48, v40 offset:64
.LBB23_38:                              ;   in Loop: Header=BB23_10 Depth=3
	s_wait_xcnt 0x0
	s_and_not1_saveexec_b32 s5, s5
; %bb.39:                               ;   in Loop: Header=BB23_10 Depth=3
	ds_store_b32 v48, v51 offset:64
; %bb.40:                               ;   in Loop: Header=BB23_10 Depth=3
	s_or_b32 exec_lo, exec_lo, s5
	v_cmp_le_i64_e64 s5, s[46:47], v[38:39]
	v_add_nc_u64_e32 v[38:39], v[32:33], v[22:23]
	v_mov_b32_e32 v40, 0
	s_nor_b32 s7, s5, s0
	s_delay_alu instid0(SALU_CYCLE_1)
	s_and_saveexec_b32 s6, s7
	s_cbranch_execz .LBB23_42
; %bb.41:                               ;   in Loop: Header=BB23_10 Depth=3
	global_load_b32 v40, v[38:39], off offset:-64
.LBB23_42:                              ;   in Loop: Header=BB23_10 Depth=3
	s_wait_xcnt 0x0
	s_or_b32 exec_lo, exec_lo, s6
	s_nor_b32 s5, s5, s1
	s_wait_loadcnt 0x0
	ds_store_b32 v48, v40 offset:2048
	s_and_saveexec_b32 s6, s5
	s_delay_alu instid0(SALU_CYCLE_1)
	s_xor_b32 s5, exec_lo, s6
	s_cbranch_execz .LBB23_44
; %bb.43:                               ;   in Loop: Header=BB23_10 Depth=3
	global_load_b32 v38, v[38:39], off
	s_wait_loadcnt 0x0
	ds_store_b32 v48, v38 offset:2112
.LBB23_44:                              ;   in Loop: Header=BB23_10 Depth=3
	s_wait_xcnt 0x0
	s_and_not1_saveexec_b32 s5, s5
	s_cbranch_execz .LBB23_9
; %bb.45:                               ;   in Loop: Header=BB23_10 Depth=3
	ds_store_b32 v48, v51 offset:2112
	s_branch .LBB23_9
.LBB23_46:                              ;   in Loop: Header=BB23_7 Depth=2
	v_mov_b32_e32 v37, 0
	s_delay_alu instid0(VALU_DEP_1)
	v_dual_mov_b32 v36, v37 :: v_dual_mov_b32 v35, v37
	v_mov_b32_e32 v34, v37
.LBB23_47:                              ;   in Loop: Header=BB23_7 Depth=2
	v_mul_u64_e32 v[14:15], s[28:29], v[12:13]
	v_cmp_gt_i32_e32 vcc_lo, s38, v12
	s_and_b32 s5, s2, vcc_lo
	s_delay_alu instid0(VALU_DEP_2)
	v_lshl_add_u64 v[14:15], v[14:15], 2, s[48:49]
	s_and_saveexec_b32 s4, s5
	s_cbranch_execz .LBB23_49
; %bb.48:                               ;   in Loop: Header=BB23_7 Depth=2
	s_delay_alu instid0(VALU_DEP_1)
	v_lshl_add_u64 v[16:17], v[2:3], 2, v[14:15]
	global_load_b32 v9, v[16:17], off
	s_wait_loadcnt 0x0
	v_fmac_f32_e32 v9, s39, v36
	global_store_b32 v[16:17], v9, off
.LBB23_49:                              ;   in Loop: Header=BB23_7 Depth=2
	s_wait_xcnt 0x0
	s_or_b32 exec_lo, exec_lo, s4
	s_and_b32 s5, s3, vcc_lo
	s_delay_alu instid0(SALU_CYCLE_1)
	s_and_saveexec_b32 s4, s5
	s_cbranch_execz .LBB23_51
; %bb.50:                               ;   in Loop: Header=BB23_7 Depth=2
	v_lshl_add_u64 v[14:15], v[0:1], 2, v[14:15]
	global_load_b32 v9, v[14:15], off
	s_wait_loadcnt 0x0
	v_fmac_f32_e32 v9, s39, v37
	global_store_b32 v[14:15], v9, off
.LBB23_51:                              ;   in Loop: Header=BB23_7 Depth=2
	s_wait_xcnt 0x0
	s_or_b32 exec_lo, exec_lo, s4
	v_add_nc_u32_e32 v12, 16, v12
	s_delay_alu instid0(VALU_DEP_1) | instskip(SKIP_1) | instid1(VALU_DEP_2)
	v_ashrrev_i32_e32 v13, 31, v12
	v_cmp_gt_i32_e32 vcc_lo, s38, v12
	v_mul_u64_e32 v[14:15], s[28:29], v[12:13]
	s_and_b32 s5, s2, vcc_lo
	s_delay_alu instid0(VALU_DEP_1)
	v_lshl_add_u64 v[12:13], v[14:15], 2, s[48:49]
	s_and_saveexec_b32 s4, s5
	s_cbranch_execz .LBB23_53
; %bb.52:                               ;   in Loop: Header=BB23_7 Depth=2
	s_delay_alu instid0(VALU_DEP_1)
	v_lshl_add_u64 v[14:15], v[2:3], 2, v[12:13]
	global_load_b32 v9, v[14:15], off
	s_wait_loadcnt 0x0
	v_fmac_f32_e32 v9, s39, v34
	global_store_b32 v[14:15], v9, off
.LBB23_53:                              ;   in Loop: Header=BB23_7 Depth=2
	s_wait_xcnt 0x0
	s_or_b32 exec_lo, exec_lo, s4
	s_and_b32 s5, s3, vcc_lo
	s_delay_alu instid0(SALU_CYCLE_1)
	s_and_saveexec_b32 s4, s5
	s_cbranch_execz .LBB23_6
; %bb.54:                               ;   in Loop: Header=BB23_7 Depth=2
	v_lshl_add_u64 v[12:13], v[0:1], 2, v[12:13]
	global_load_b32 v9, v[12:13], off
	s_wait_loadcnt 0x0
	v_fmac_f32_e32 v9, s39, v35
	global_store_b32 v[12:13], v9, off
	s_branch .LBB23_6
.LBB23_55:
	s_sendmsg sendmsg(MSG_DEALLOC_VGPRS)
	s_endpgm
	.section	.rodata,"a",@progbits
	.p2align	6, 0x0
	.amdhsa_kernel _ZL30rocblas_trmm_outofplace_kernelIfLi32ELi2ELb0ELb1ELb1ELb1EfKffEv17rocblas_diagonal_iiT6_lPT7_lllS4_lllPT8_llli
		.amdhsa_group_segment_fixed_size 8192
		.amdhsa_private_segment_fixed_size 0
		.amdhsa_kernarg_size 384
		.amdhsa_user_sgpr_count 2
		.amdhsa_user_sgpr_dispatch_ptr 0
		.amdhsa_user_sgpr_queue_ptr 0
		.amdhsa_user_sgpr_kernarg_segment_ptr 1
		.amdhsa_user_sgpr_dispatch_id 0
		.amdhsa_user_sgpr_kernarg_preload_length 0
		.amdhsa_user_sgpr_kernarg_preload_offset 0
		.amdhsa_user_sgpr_private_segment_size 0
		.amdhsa_wavefront_size32 1
		.amdhsa_uses_dynamic_stack 0
		.amdhsa_enable_private_segment 0
		.amdhsa_system_sgpr_workgroup_id_x 1
		.amdhsa_system_sgpr_workgroup_id_y 1
		.amdhsa_system_sgpr_workgroup_id_z 1
		.amdhsa_system_sgpr_workgroup_info 0
		.amdhsa_system_vgpr_workitem_id 1
		.amdhsa_next_free_vgpr 77
		.amdhsa_next_free_sgpr 62
		.amdhsa_named_barrier_count 0
		.amdhsa_reserve_vcc 1
		.amdhsa_float_round_mode_32 0
		.amdhsa_float_round_mode_16_64 0
		.amdhsa_float_denorm_mode_32 3
		.amdhsa_float_denorm_mode_16_64 3
		.amdhsa_fp16_overflow 0
		.amdhsa_memory_ordered 1
		.amdhsa_forward_progress 1
		.amdhsa_inst_pref_size 25
		.amdhsa_round_robin_scheduling 0
		.amdhsa_exception_fp_ieee_invalid_op 0
		.amdhsa_exception_fp_denorm_src 0
		.amdhsa_exception_fp_ieee_div_zero 0
		.amdhsa_exception_fp_ieee_overflow 0
		.amdhsa_exception_fp_ieee_underflow 0
		.amdhsa_exception_fp_ieee_inexact 0
		.amdhsa_exception_int_div_zero 0
	.end_amdhsa_kernel
	.section	.text._ZL30rocblas_trmm_outofplace_kernelIfLi32ELi2ELb0ELb1ELb1ELb1EfKffEv17rocblas_diagonal_iiT6_lPT7_lllS4_lllPT8_llli,"axG",@progbits,_ZL30rocblas_trmm_outofplace_kernelIfLi32ELi2ELb0ELb1ELb1ELb1EfKffEv17rocblas_diagonal_iiT6_lPT7_lllS4_lllPT8_llli,comdat
.Lfunc_end23:
	.size	_ZL30rocblas_trmm_outofplace_kernelIfLi32ELi2ELb0ELb1ELb1ELb1EfKffEv17rocblas_diagonal_iiT6_lPT7_lllS4_lllPT8_llli, .Lfunc_end23-_ZL30rocblas_trmm_outofplace_kernelIfLi32ELi2ELb0ELb1ELb1ELb1EfKffEv17rocblas_diagonal_iiT6_lPT7_lllS4_lllPT8_llli
                                        ; -- End function
	.set _ZL30rocblas_trmm_outofplace_kernelIfLi32ELi2ELb0ELb1ELb1ELb1EfKffEv17rocblas_diagonal_iiT6_lPT7_lllS4_lllPT8_llli.num_vgpr, 77
	.set _ZL30rocblas_trmm_outofplace_kernelIfLi32ELi2ELb0ELb1ELb1ELb1EfKffEv17rocblas_diagonal_iiT6_lPT7_lllS4_lllPT8_llli.num_agpr, 0
	.set _ZL30rocblas_trmm_outofplace_kernelIfLi32ELi2ELb0ELb1ELb1ELb1EfKffEv17rocblas_diagonal_iiT6_lPT7_lllS4_lllPT8_llli.numbered_sgpr, 62
	.set _ZL30rocblas_trmm_outofplace_kernelIfLi32ELi2ELb0ELb1ELb1ELb1EfKffEv17rocblas_diagonal_iiT6_lPT7_lllS4_lllPT8_llli.num_named_barrier, 0
	.set _ZL30rocblas_trmm_outofplace_kernelIfLi32ELi2ELb0ELb1ELb1ELb1EfKffEv17rocblas_diagonal_iiT6_lPT7_lllS4_lllPT8_llli.private_seg_size, 0
	.set _ZL30rocblas_trmm_outofplace_kernelIfLi32ELi2ELb0ELb1ELb1ELb1EfKffEv17rocblas_diagonal_iiT6_lPT7_lllS4_lllPT8_llli.uses_vcc, 1
	.set _ZL30rocblas_trmm_outofplace_kernelIfLi32ELi2ELb0ELb1ELb1ELb1EfKffEv17rocblas_diagonal_iiT6_lPT7_lllS4_lllPT8_llli.uses_flat_scratch, 0
	.set _ZL30rocblas_trmm_outofplace_kernelIfLi32ELi2ELb0ELb1ELb1ELb1EfKffEv17rocblas_diagonal_iiT6_lPT7_lllS4_lllPT8_llli.has_dyn_sized_stack, 0
	.set _ZL30rocblas_trmm_outofplace_kernelIfLi32ELi2ELb0ELb1ELb1ELb1EfKffEv17rocblas_diagonal_iiT6_lPT7_lllS4_lllPT8_llli.has_recursion, 0
	.set _ZL30rocblas_trmm_outofplace_kernelIfLi32ELi2ELb0ELb1ELb1ELb1EfKffEv17rocblas_diagonal_iiT6_lPT7_lllS4_lllPT8_llli.has_indirect_call, 0
	.section	.AMDGPU.csdata,"",@progbits
; Kernel info:
; codeLenInByte = 3088
; TotalNumSgprs: 64
; NumVgprs: 77
; ScratchSize: 0
; MemoryBound: 0
; FloatMode: 240
; IeeeMode: 1
; LDSByteSize: 8192 bytes/workgroup (compile time only)
; SGPRBlocks: 0
; VGPRBlocks: 4
; NumSGPRsForWavesPerEU: 64
; NumVGPRsForWavesPerEU: 77
; NamedBarCnt: 0
; Occupancy: 12
; WaveLimiterHint : 0
; COMPUTE_PGM_RSRC2:SCRATCH_EN: 0
; COMPUTE_PGM_RSRC2:USER_SGPR: 2
; COMPUTE_PGM_RSRC2:TRAP_HANDLER: 0
; COMPUTE_PGM_RSRC2:TGID_X_EN: 1
; COMPUTE_PGM_RSRC2:TGID_Y_EN: 1
; COMPUTE_PGM_RSRC2:TGID_Z_EN: 1
; COMPUTE_PGM_RSRC2:TIDIG_COMP_CNT: 1
	.section	.text._ZL23rocblas_trmm_lNx_kernelILi32EfPKfS0_fEv13rocblas_fill_17rocblas_diagonal_iiT1_lPT2_llS6_llPT3_lli,"axG",@progbits,_ZL23rocblas_trmm_lNx_kernelILi32EfPKfS0_fEv13rocblas_fill_17rocblas_diagonal_iiT1_lPT2_llS6_llPT3_lli,comdat
	.globl	_ZL23rocblas_trmm_lNx_kernelILi32EfPKfS0_fEv13rocblas_fill_17rocblas_diagonal_iiT1_lPT2_llS6_llPT3_lli ; -- Begin function _ZL23rocblas_trmm_lNx_kernelILi32EfPKfS0_fEv13rocblas_fill_17rocblas_diagonal_iiT1_lPT2_llS6_llPT3_lli
	.p2align	8
	.type	_ZL23rocblas_trmm_lNx_kernelILi32EfPKfS0_fEv13rocblas_fill_17rocblas_diagonal_iiT1_lPT2_llS6_llPT3_lli,@function
_ZL23rocblas_trmm_lNx_kernelILi32EfPKfS0_fEv13rocblas_fill_17rocblas_diagonal_iiT1_lPT2_llS6_llPT3_lli: ; @_ZL23rocblas_trmm_lNx_kernelILi32EfPKfS0_fEv13rocblas_fill_17rocblas_diagonal_iiT1_lPT2_llS6_llPT3_lli
; %bb.0:
	s_load_b32 s33, s[0:1], 0x68
	s_bfe_u32 s2, ttmp6, 0x40014
	s_lshr_b32 s3, ttmp7, 16
	s_add_co_i32 s2, s2, 1
	s_bfe_u32 s5, ttmp6, 0x40008
	s_mul_i32 s4, s3, s2
	s_getreg_b32 s2, hwreg(HW_REG_IB_STS2, 6, 4)
	s_add_co_i32 s5, s5, s4
	s_cmp_eq_u32 s2, 0
	s_mov_b32 s29, 0
	s_cselect_b32 s28, s3, s5
	s_wait_kmcnt 0x0
	s_cmp_ge_u32 s28, s33
	s_cbranch_scc1 .LBB24_19
; %bb.1:
	s_clause 0x3
	s_load_b128 s[20:23], s[0:1], 0x0
	s_load_b512 s[4:19], s[0:1], 0x10
	s_load_b128 s[24:27], s[0:1], 0x50
	s_load_b64 s[30:31], s[0:1], 0x60
	v_bfe_u32 v2, v0, 10, 10
	v_dual_mov_b32 v3, 0 :: v_dual_mov_b32 v10, 1.0
	s_wait_xcnt 0x0
	s_bfe_u32 s0, ttmp6, 0x4000c
	s_and_b32 s3, ttmp6, 15
	s_add_co_i32 s0, s0, 1
	v_and_b32_e32 v12, 0x3ff, v0
	s_mul_i32 s34, ttmp9, s0
	v_lshlrev_b32_e32 v13, 5, v2
	s_add_co_i32 s3, s3, s34
	v_lshl_add_u32 v11, v2, 7, 0x1000
	v_lshlrev_b32_e32 v0, 2, v12
	v_cmp_eq_u32_e32 vcc_lo, v2, v12
	v_cmp_lt_u32_e64 s0, v12, v2
	v_cmp_gt_u32_e64 s1, v12, v2
	s_delay_alu instid0(VALU_DEP_4)
	v_add_nc_u32_e32 v14, 0xc00, v0
	s_wait_kmcnt 0x0
	v_mul_u64_e32 v[4:5], s[10:11], v[2:3]
	v_mul_u64_e32 v[6:7], s[16:17], v[2:3]
	;; [unrolled: 1-line block ×3, first 2 shown]
	s_add_co_i32 s35, s23, -1
	s_delay_alu instid0(SALU_CYCLE_1) | instskip(NEXT) | instid1(SALU_CYCLE_1)
	s_ashr_i32 s10, s35, 31
	s_lshr_b32 s10, s10, 27
	s_delay_alu instid0(SALU_CYCLE_1) | instskip(NEXT) | instid1(SALU_CYCLE_1)
	s_add_co_i32 s10, s35, s10
	s_and_b32 s11, s10, 0xffffffe0
	s_ashr_i32 s10, s10, 5
	s_sub_co_i32 s11, s23, s11
	s_cmp_eq_u32 s2, 0
	v_cmp_gt_i32_e64 s2, s22, v2
	s_cselect_b32 s23, ttmp9, s3
	v_cmp_gt_i32_e64 s3, s22, v12
	s_cmp_ge_i32 s23, s10
	v_add_lshl_u32 v12, v13, v12, 2
	s_cselect_b32 s11, s11, 32
	s_lshl_b32 s22, s23, 5
	s_and_b32 s10, s2, s3
	s_ashr_i32 s23, s22, 31
	v_cmp_gt_i32_e64 s2, s11, v2
	s_mul_u64 s[16:17], s[16:17], s[22:23]
	s_mul_u64 s[22:23], s[26:27], s[22:23]
	s_lshl_b64 s[16:17], s[16:17], 2
	s_lshl_b64 s[22:23], s[22:23], 2
	s_add_nc_u64 s[14:15], s[14:15], s[16:17]
	s_add_nc_u64 s[16:17], s[24:25], s[22:23]
	v_dual_mov_b32 v1, v3 :: v_dual_add_nc_u32 v2, 0x1000, v12
	v_lshl_add_u64 v[4:5], v[4:5], 2, s[8:9]
	v_lshl_add_u64 v[6:7], v[6:7], 2, s[14:15]
	v_lshl_add_u64 v[8:9], v[8:9], 2, s[16:17]
	s_and_b32 s2, s3, s2
	s_cmp_eq_u32 s21, 0x84
	v_add_nc_u64_e32 v[4:5], v[4:5], v[0:1]
	s_cselect_b32 s3, -1, 0
	v_add_nc_u64_e32 v[6:7], v[6:7], v[0:1]
	v_add_nc_u64_e32 v[8:9], v[8:9], v[0:1]
	s_and_b32 s3, vcc_lo, s3
	v_add_nc_u32_e32 v1, 0x400, v0
	v_add_nc_u32_e32 v13, 0x800, v0
	s_cmp_lg_u32 s20, 0x79
	s_cselect_b32 s8, -1, 0
	s_branch .LBB24_4
.LBB24_2:                               ;   in Loop: Header=BB24_4 Depth=1
	s_wait_xcnt 0x0
	s_or_b32 exec_lo, exec_lo, s9
.LBB24_3:                               ;   in Loop: Header=BB24_4 Depth=1
	s_add_co_i32 s28, s28, 0x10000
	s_delay_alu instid0(SALU_CYCLE_1)
	s_cmp_lt_u32 s28, s33
	s_cbranch_scc0 .LBB24_19
.LBB24_4:                               ; =>This Inner Loop Header: Depth=1
	s_wait_xcnt 0x0
	s_mul_u64 s[14:15], s[6:7], s[28:29]
	s_delay_alu instid0(SALU_CYCLE_1) | instskip(NEXT) | instid1(SALU_CYCLE_1)
	s_lshl_b64 s[14:15], s[14:15], 2
	s_add_nc_u64 s[14:15], s[4:5], s[14:15]
	global_load_b32 v15, v3, s[14:15]
	s_wait_loadcnt 0x0
	v_cmp_eq_f32_e32 vcc_lo, 0, v15
	s_cbranch_vccnz .LBB24_3
; %bb.5:                                ;   in Loop: Header=BB24_4 Depth=1
	ds_store_b32 v12, v3
	ds_store_b32 v2, v3
	s_wait_xcnt 0x0
	s_and_saveexec_b32 s9, s10
	s_cbranch_execnz .LBB24_10
; %bb.6:                                ;   in Loop: Header=BB24_4 Depth=1
	s_or_b32 exec_lo, exec_lo, s9
	s_and_saveexec_b32 s9, s2
	s_cbranch_execnz .LBB24_11
.LBB24_7:                               ;   in Loop: Header=BB24_4 Depth=1
	s_or_b32 exec_lo, exec_lo, s9
	s_and_saveexec_b32 s9, s3
	s_cbranch_execnz .LBB24_12
.LBB24_8:                               ;   in Loop: Header=BB24_4 Depth=1
	s_or_b32 exec_lo, exec_lo, s9
	s_delay_alu instid0(SALU_CYCLE_1)
	s_and_b32 vcc_lo, exec_lo, s8
	s_cbranch_vccz .LBB24_13
.LBB24_9:                               ;   in Loop: Header=BB24_4 Depth=1
	s_and_b32 s9, s0, exec_lo
	s_cbranch_execz .LBB24_14
	s_branch .LBB24_15
.LBB24_10:                              ;   in Loop: Header=BB24_4 Depth=1
	s_mul_u64 s[14:15], s[12:13], s[28:29]
	s_delay_alu instid0(SALU_CYCLE_1)
	v_lshl_add_u64 v[16:17], s[14:15], 2, v[4:5]
	global_load_b32 v16, v[16:17], off
	s_wait_loadcnt 0x0
	ds_store_b32 v12, v16
	s_wait_xcnt 0x0
	s_or_b32 exec_lo, exec_lo, s9
	s_and_saveexec_b32 s9, s2
	s_cbranch_execz .LBB24_7
.LBB24_11:                              ;   in Loop: Header=BB24_4 Depth=1
	s_mul_u64 s[14:15], s[18:19], s[28:29]
	s_delay_alu instid0(SALU_CYCLE_1)
	v_lshl_add_u64 v[16:17], s[14:15], 2, v[6:7]
	global_load_b32 v16, v[16:17], off
	s_wait_loadcnt 0x0
	ds_store_b32 v2, v16
	s_wait_xcnt 0x0
	s_or_b32 exec_lo, exec_lo, s9
	s_and_saveexec_b32 s9, s3
	s_cbranch_execz .LBB24_8
.LBB24_12:                              ;   in Loop: Header=BB24_4 Depth=1
	ds_store_b32 v12, v10
	s_or_b32 exec_lo, exec_lo, s9
	s_delay_alu instid0(SALU_CYCLE_1)
	s_and_b32 vcc_lo, exec_lo, s8
	s_cbranch_vccnz .LBB24_9
.LBB24_13:                              ;   in Loop: Header=BB24_4 Depth=1
	s_mov_b32 s9, 0
.LBB24_14:                              ;   in Loop: Header=BB24_4 Depth=1
	s_delay_alu instid0(SALU_CYCLE_1) | instskip(SKIP_1) | instid1(SALU_CYCLE_1)
	s_and_not1_b32 s9, s9, exec_lo
	s_and_b32 s11, s1, exec_lo
	s_or_b32 s9, s9, s11
.LBB24_15:                              ;   in Loop: Header=BB24_4 Depth=1
	s_delay_alu instid0(SALU_CYCLE_1)
	s_and_saveexec_b32 s11, s9
; %bb.16:                               ;   in Loop: Header=BB24_4 Depth=1
	ds_store_b32 v12, v3
; %bb.17:                               ;   in Loop: Header=BB24_4 Depth=1
	s_or_b32 exec_lo, exec_lo, s11
	s_wait_dscnt 0x0
	s_barrier_signal -1
	s_barrier_wait -1
	s_and_saveexec_b32 s9, s2
	s_cbranch_execz .LBB24_2
; %bb.18:                               ;   in Loop: Header=BB24_4 Depth=1
	ds_load_2addr_b32 v[24:25], v0 offset1:32
	ds_load_b128 v[16:19], v11
	ds_load_2addr_b32 v[26:27], v0 offset0:64 offset1:96
	ds_load_b128 v[20:23], v11 offset:16
	ds_load_2addr_b32 v[28:29], v0 offset0:128 offset1:160
	s_mul_u64 s[14:15], s[30:31], s[28:29]
	s_wait_dscnt 0x3
	v_fma_f32 v36, v24, v16, 0
	s_delay_alu instid0(VALU_DEP_1) | instskip(SKIP_3) | instid1(VALU_DEP_1)
	v_fmac_f32_e32 v36, v25, v17
	ds_load_2addr_b32 v[24:25], v0 offset0:192 offset1:224
	s_wait_dscnt 0x3
	v_fmac_f32_e32 v36, v26, v18
	v_fmac_f32_e32 v36, v27, v19
	ds_load_b128 v[16:19], v11 offset:32
	ds_load_2addr_b32 v[26:27], v1 offset1:32
	s_wait_dscnt 0x3
	v_fmac_f32_e32 v36, v28, v20
	s_delay_alu instid0(VALU_DEP_1) | instskip(SKIP_3) | instid1(VALU_DEP_1)
	v_fmac_f32_e32 v36, v29, v21
	ds_load_2addr_b32 v[28:29], v1 offset0:64 offset1:96
	s_wait_dscnt 0x3
	v_fmac_f32_e32 v36, v24, v22
	v_fmac_f32_e32 v36, v25, v23
	ds_load_b128 v[20:23], v11 offset:48
	ds_load_2addr_b32 v[24:25], v1 offset0:128 offset1:160
	ds_load_2addr_b32 v[30:31], v1 offset0:192 offset1:224
	s_wait_dscnt 0x4
	v_fmac_f32_e32 v36, v26, v16
	s_delay_alu instid0(VALU_DEP_1) | instskip(SKIP_1) | instid1(VALU_DEP_1)
	v_fmac_f32_e32 v36, v27, v17
	s_wait_dscnt 0x3
	v_fmac_f32_e32 v36, v28, v18
	s_delay_alu instid0(VALU_DEP_1)
	v_fmac_f32_e32 v36, v29, v19
	ds_load_2addr_b32 v[28:29], v13 offset1:32
	ds_load_b128 v[16:19], v11 offset:64
	ds_load_2addr_b32 v[32:33], v13 offset0:64 offset1:96
	s_wait_dscnt 0x4
	v_fmac_f32_e32 v36, v24, v20
	s_delay_alu instid0(VALU_DEP_1) | instskip(SKIP_4) | instid1(VALU_DEP_1)
	v_fmac_f32_e32 v36, v25, v21
	ds_load_2addr_b32 v[34:35], v13 offset0:128 offset1:160
	ds_load_b128 v[24:27], v11 offset:80
	s_wait_dscnt 0x5
	v_fmac_f32_e32 v36, v30, v22
	v_fmac_f32_e32 v36, v31, v23
	ds_load_2addr_b32 v[30:31], v13 offset0:192 offset1:224
	s_wait_dscnt 0x4
	v_fmac_f32_e32 v36, v28, v16
	s_delay_alu instid0(VALU_DEP_1)
	v_fmac_f32_e32 v36, v29, v17
	ds_load_2addr_b32 v[28:29], v14 offset1:32
	ds_load_b128 v[20:23], v11 offset:96
	s_wait_dscnt 0x3
	v_pk_mul_f32 v[16:17], v[34:35], v[24:25]
	ds_load_2addr_b32 v[24:25], v14 offset0:64 offset1:96
	v_fmac_f32_e32 v36, v32, v18
	s_delay_alu instid0(VALU_DEP_1) | instskip(SKIP_2) | instid1(VALU_DEP_2)
	v_fmac_f32_e32 v36, v33, v19
	s_wait_dscnt 0x3
	v_pk_mul_f32 v[26:27], v[30:31], v[26:27]
	v_add_f32_e32 v16, v36, v16
	s_delay_alu instid0(VALU_DEP_1)
	v_add_f32_e32 v16, v16, v17
	s_wait_dscnt 0x1
	v_pk_mul_f32 v[20:21], v[28:29], v[20:21]
	s_wait_dscnt 0x0
	v_pk_mul_f32 v[22:23], v[24:25], v[22:23]
	v_add_f32_e32 v26, v16, v26
	ds_load_2addr_b32 v[30:31], v14 offset0:128 offset1:160
	ds_load_b128 v[16:19], v11 offset:112
	v_add_f32_e32 v26, v26, v27
	s_delay_alu instid0(VALU_DEP_1) | instskip(SKIP_2) | instid1(VALU_DEP_1)
	v_add_f32_e32 v20, v26, v20
	ds_load_2addr_b32 v[26:27], v14 offset0:192 offset1:224
	v_add_f32_e32 v20, v20, v21
	v_add_f32_e32 v20, v20, v22
	s_wait_dscnt 0x1
	v_pk_mul_f32 v[16:17], v[30:31], v[16:17]
	s_delay_alu instid0(VALU_DEP_2) | instskip(NEXT) | instid1(VALU_DEP_1)
	v_add_f32_e32 v20, v20, v23
	v_add_f32_e32 v16, v20, v16
	s_wait_dscnt 0x0
	v_pk_mul_f32 v[18:19], v[26:27], v[18:19]
	s_delay_alu instid0(VALU_DEP_2) | instskip(NEXT) | instid1(VALU_DEP_1)
	v_add_f32_e32 v16, v16, v17
	v_add_f32_e32 v16, v16, v18
	s_delay_alu instid0(VALU_DEP_1) | instskip(NEXT) | instid1(VALU_DEP_1)
	v_add_f32_e32 v16, v16, v19
	v_mul_f32_e32 v15, v15, v16
	v_lshl_add_u64 v[16:17], s[14:15], 2, v[8:9]
	global_store_b32 v[16:17], v15, off
	s_branch .LBB24_2
.LBB24_19:
	s_endpgm
	.section	.rodata,"a",@progbits
	.p2align	6, 0x0
	.amdhsa_kernel _ZL23rocblas_trmm_lNx_kernelILi32EfPKfS0_fEv13rocblas_fill_17rocblas_diagonal_iiT1_lPT2_llS6_llPT3_lli
		.amdhsa_group_segment_fixed_size 8192
		.amdhsa_private_segment_fixed_size 0
		.amdhsa_kernarg_size 108
		.amdhsa_user_sgpr_count 2
		.amdhsa_user_sgpr_dispatch_ptr 0
		.amdhsa_user_sgpr_queue_ptr 0
		.amdhsa_user_sgpr_kernarg_segment_ptr 1
		.amdhsa_user_sgpr_dispatch_id 0
		.amdhsa_user_sgpr_kernarg_preload_length 0
		.amdhsa_user_sgpr_kernarg_preload_offset 0
		.amdhsa_user_sgpr_private_segment_size 0
		.amdhsa_wavefront_size32 1
		.amdhsa_uses_dynamic_stack 0
		.amdhsa_enable_private_segment 0
		.amdhsa_system_sgpr_workgroup_id_x 1
		.amdhsa_system_sgpr_workgroup_id_y 0
		.amdhsa_system_sgpr_workgroup_id_z 1
		.amdhsa_system_sgpr_workgroup_info 0
		.amdhsa_system_vgpr_workitem_id 1
		.amdhsa_next_free_vgpr 37
		.amdhsa_next_free_sgpr 36
		.amdhsa_named_barrier_count 0
		.amdhsa_reserve_vcc 1
		.amdhsa_float_round_mode_32 0
		.amdhsa_float_round_mode_16_64 0
		.amdhsa_float_denorm_mode_32 3
		.amdhsa_float_denorm_mode_16_64 3
		.amdhsa_fp16_overflow 0
		.amdhsa_memory_ordered 1
		.amdhsa_forward_progress 1
		.amdhsa_inst_pref_size 11
		.amdhsa_round_robin_scheduling 0
		.amdhsa_exception_fp_ieee_invalid_op 0
		.amdhsa_exception_fp_denorm_src 0
		.amdhsa_exception_fp_ieee_div_zero 0
		.amdhsa_exception_fp_ieee_overflow 0
		.amdhsa_exception_fp_ieee_underflow 0
		.amdhsa_exception_fp_ieee_inexact 0
		.amdhsa_exception_int_div_zero 0
	.end_amdhsa_kernel
	.section	.text._ZL23rocblas_trmm_lNx_kernelILi32EfPKfS0_fEv13rocblas_fill_17rocblas_diagonal_iiT1_lPT2_llS6_llPT3_lli,"axG",@progbits,_ZL23rocblas_trmm_lNx_kernelILi32EfPKfS0_fEv13rocblas_fill_17rocblas_diagonal_iiT1_lPT2_llS6_llPT3_lli,comdat
.Lfunc_end24:
	.size	_ZL23rocblas_trmm_lNx_kernelILi32EfPKfS0_fEv13rocblas_fill_17rocblas_diagonal_iiT1_lPT2_llS6_llPT3_lli, .Lfunc_end24-_ZL23rocblas_trmm_lNx_kernelILi32EfPKfS0_fEv13rocblas_fill_17rocblas_diagonal_iiT1_lPT2_llS6_llPT3_lli
                                        ; -- End function
	.set _ZL23rocblas_trmm_lNx_kernelILi32EfPKfS0_fEv13rocblas_fill_17rocblas_diagonal_iiT1_lPT2_llS6_llPT3_lli.num_vgpr, 37
	.set _ZL23rocblas_trmm_lNx_kernelILi32EfPKfS0_fEv13rocblas_fill_17rocblas_diagonal_iiT1_lPT2_llS6_llPT3_lli.num_agpr, 0
	.set _ZL23rocblas_trmm_lNx_kernelILi32EfPKfS0_fEv13rocblas_fill_17rocblas_diagonal_iiT1_lPT2_llS6_llPT3_lli.numbered_sgpr, 36
	.set _ZL23rocblas_trmm_lNx_kernelILi32EfPKfS0_fEv13rocblas_fill_17rocblas_diagonal_iiT1_lPT2_llS6_llPT3_lli.num_named_barrier, 0
	.set _ZL23rocblas_trmm_lNx_kernelILi32EfPKfS0_fEv13rocblas_fill_17rocblas_diagonal_iiT1_lPT2_llS6_llPT3_lli.private_seg_size, 0
	.set _ZL23rocblas_trmm_lNx_kernelILi32EfPKfS0_fEv13rocblas_fill_17rocblas_diagonal_iiT1_lPT2_llS6_llPT3_lli.uses_vcc, 1
	.set _ZL23rocblas_trmm_lNx_kernelILi32EfPKfS0_fEv13rocblas_fill_17rocblas_diagonal_iiT1_lPT2_llS6_llPT3_lli.uses_flat_scratch, 0
	.set _ZL23rocblas_trmm_lNx_kernelILi32EfPKfS0_fEv13rocblas_fill_17rocblas_diagonal_iiT1_lPT2_llS6_llPT3_lli.has_dyn_sized_stack, 0
	.set _ZL23rocblas_trmm_lNx_kernelILi32EfPKfS0_fEv13rocblas_fill_17rocblas_diagonal_iiT1_lPT2_llS6_llPT3_lli.has_recursion, 0
	.set _ZL23rocblas_trmm_lNx_kernelILi32EfPKfS0_fEv13rocblas_fill_17rocblas_diagonal_iiT1_lPT2_llS6_llPT3_lli.has_indirect_call, 0
	.section	.AMDGPU.csdata,"",@progbits
; Kernel info:
; codeLenInByte = 1312
; TotalNumSgprs: 38
; NumVgprs: 37
; ScratchSize: 0
; MemoryBound: 0
; FloatMode: 240
; IeeeMode: 1
; LDSByteSize: 8192 bytes/workgroup (compile time only)
; SGPRBlocks: 0
; VGPRBlocks: 2
; NumSGPRsForWavesPerEU: 38
; NumVGPRsForWavesPerEU: 37
; NamedBarCnt: 0
; Occupancy: 16
; WaveLimiterHint : 0
; COMPUTE_PGM_RSRC2:SCRATCH_EN: 0
; COMPUTE_PGM_RSRC2:USER_SGPR: 2
; COMPUTE_PGM_RSRC2:TRAP_HANDLER: 0
; COMPUTE_PGM_RSRC2:TGID_X_EN: 1
; COMPUTE_PGM_RSRC2:TGID_Y_EN: 0
; COMPUTE_PGM_RSRC2:TGID_Z_EN: 1
; COMPUTE_PGM_RSRC2:TIDIG_COMP_CNT: 1
	.section	.text._ZL23rocblas_trmm_lNx_kernelILi32EffKffEv13rocblas_fill_17rocblas_diagonal_iiT1_lPT2_llS5_llPT3_lli,"axG",@progbits,_ZL23rocblas_trmm_lNx_kernelILi32EffKffEv13rocblas_fill_17rocblas_diagonal_iiT1_lPT2_llS5_llPT3_lli,comdat
	.globl	_ZL23rocblas_trmm_lNx_kernelILi32EffKffEv13rocblas_fill_17rocblas_diagonal_iiT1_lPT2_llS5_llPT3_lli ; -- Begin function _ZL23rocblas_trmm_lNx_kernelILi32EffKffEv13rocblas_fill_17rocblas_diagonal_iiT1_lPT2_llS5_llPT3_lli
	.p2align	8
	.type	_ZL23rocblas_trmm_lNx_kernelILi32EffKffEv13rocblas_fill_17rocblas_diagonal_iiT1_lPT2_llS5_llPT3_lli,@function
_ZL23rocblas_trmm_lNx_kernelILi32EffKffEv13rocblas_fill_17rocblas_diagonal_iiT1_lPT2_llS5_llPT3_lli: ; @_ZL23rocblas_trmm_lNx_kernelILi32EffKffEv13rocblas_fill_17rocblas_diagonal_iiT1_lPT2_llS5_llPT3_lli
; %bb.0:
	s_load_b32 s28, s[0:1], 0x68
	s_bfe_u32 s2, ttmp6, 0x40014
	s_lshr_b32 s3, ttmp7, 16
	s_add_co_i32 s2, s2, 1
	s_bfe_u32 s5, ttmp6, 0x40008
	s_mul_i32 s4, s3, s2
	s_getreg_b32 s2, hwreg(HW_REG_IB_STS2, 6, 4)
	s_add_co_i32 s5, s5, s4
	s_cmp_eq_u32 s2, 0
	s_mov_b32 s25, 0
	s_cselect_b32 s24, s3, s5
	s_wait_kmcnt 0x0
	s_cmp_ge_u32 s24, s28
	s_cbranch_scc1 .LBB25_19
; %bb.1:
	s_clause 0x2
	s_load_b32 s29, s[0:1], 0x10
	s_load_b512 s[4:19], s[0:1], 0x20
	s_load_b128 s[20:23], s[0:1], 0x0
	v_bfe_u32 v2, v0, 10, 10
	v_mov_b32_e32 v3, 0
	v_and_b32_e32 v11, 0x3ff, v0
	s_load_b64 s[26:27], s[0:1], 0x60
	s_delay_alu instid0(VALU_DEP_2) | instskip(NEXT) | instid1(VALU_DEP_2)
	v_dual_mov_b32 v1, v3 :: v_dual_lshlrev_b32 v12, 5, v2
	v_lshlrev_b32_e32 v0, 2, v11
	v_cmp_eq_u32_e32 vcc_lo, v2, v11
	s_wait_xcnt 0x0
	v_cmp_lt_u32_e64 s0, v11, v2
	v_cmp_gt_u32_e64 s1, v11, v2
	v_lshl_add_u32 v10, v2, 7, 0x1000
	v_add_nc_u32_e32 v13, 0x800, v0
	v_add_nc_u32_e32 v14, 0xc00, v0
	s_wait_kmcnt 0x0
	s_cmp_neq_f32 s29, 0
	v_mul_u64_e32 v[4:5], s[6:7], v[2:3]
	v_mul_u64_e32 v[6:7], s[12:13], v[2:3]
	;; [unrolled: 1-line block ×3, first 2 shown]
	s_cselect_b32 s6, -1, 0
	s_add_co_i32 s3, s23, -1
	s_bfe_u32 s30, ttmp6, 0x4000c
	s_ashr_i32 s31, s3, 31
	s_add_co_i32 s30, s30, 1
	s_lshr_b32 s31, s31, 27
	s_and_b32 s7, ttmp6, 15
	s_mul_i32 s30, ttmp9, s30
	s_add_co_i32 s3, s3, s31
	s_add_co_i32 s7, s7, s30
	s_and_b32 s30, s3, 0xffffffe0
	s_ashr_i32 s31, s3, 5
	s_sub_co_i32 s23, s23, s30
	s_cmp_eq_u32 s2, 0
	v_cmp_gt_i32_e64 s2, s22, v2
	s_cselect_b32 s7, ttmp9, s7
	v_cmp_gt_i32_e64 s3, s22, v11
	s_cmp_ge_i32 s7, s31
	v_add_lshl_u32 v11, v12, v11, 2
	s_cselect_b32 s30, s23, 32
	s_lshl_b32 s22, s7, 5
	s_and_b32 s7, s2, s3
	s_ashr_i32 s23, s22, 31
	v_cmp_gt_i32_e64 s2, s30, v2
	s_mul_u64 s[12:13], s[12:13], s[22:23]
	s_mul_u64 s[18:19], s[18:19], s[22:23]
	s_lshl_b64 s[12:13], s[12:13], 2
	s_lshl_b64 s[18:19], s[18:19], 2
	s_add_nc_u64 s[10:11], s[10:11], s[12:13]
	s_add_nc_u64 s[12:13], s[16:17], s[18:19]
	v_lshl_add_u64 v[4:5], v[4:5], 2, s[4:5]
	v_lshl_add_u64 v[6:7], v[6:7], 2, s[10:11]
	;; [unrolled: 1-line block ×3, first 2 shown]
	s_and_b32 s2, s3, s2
	s_cmp_eq_u32 s21, 0x84
	v_add_nc_u64_e32 v[4:5], v[4:5], v[0:1]
	s_cselect_b32 s3, -1, 0
	v_add_nc_u64_e32 v[6:7], v[6:7], v[0:1]
	v_add_nc_u64_e32 v[8:9], v[8:9], v[0:1]
	v_dual_mov_b32 v1, 1.0 :: v_dual_add_nc_u32 v2, 0x1000, v11
	s_and_b32 s3, vcc_lo, s3
	v_add_nc_u32_e32 v12, 0x400, v0
	s_cmp_lg_u32 s20, 0x79
	s_cselect_b32 s4, -1, 0
	s_branch .LBB25_4
.LBB25_2:                               ;   in Loop: Header=BB25_4 Depth=1
	s_wait_xcnt 0x0
	s_or_b32 exec_lo, exec_lo, s5
.LBB25_3:                               ;   in Loop: Header=BB25_4 Depth=1
	s_add_co_i32 s24, s24, 0x10000
	s_delay_alu instid0(SALU_CYCLE_1)
	s_cmp_lt_u32 s24, s28
	s_cbranch_scc0 .LBB25_19
.LBB25_4:                               ; =>This Inner Loop Header: Depth=1
	s_and_not1_b32 vcc_lo, exec_lo, s6
	s_cbranch_vccnz .LBB25_3
; %bb.5:                                ;   in Loop: Header=BB25_4 Depth=1
	ds_store_b32 v11, v3
	ds_store_b32 v2, v3
	s_and_saveexec_b32 s5, s7
	s_cbranch_execnz .LBB25_10
; %bb.6:                                ;   in Loop: Header=BB25_4 Depth=1
	s_or_b32 exec_lo, exec_lo, s5
	s_and_saveexec_b32 s5, s2
	s_cbranch_execnz .LBB25_11
.LBB25_7:                               ;   in Loop: Header=BB25_4 Depth=1
	s_or_b32 exec_lo, exec_lo, s5
	s_and_saveexec_b32 s5, s3
	s_cbranch_execnz .LBB25_12
.LBB25_8:                               ;   in Loop: Header=BB25_4 Depth=1
	s_or_b32 exec_lo, exec_lo, s5
	s_delay_alu instid0(SALU_CYCLE_1)
	s_and_b32 vcc_lo, exec_lo, s4
	s_cbranch_vccz .LBB25_13
.LBB25_9:                               ;   in Loop: Header=BB25_4 Depth=1
	s_and_b32 s5, s0, exec_lo
	s_cbranch_execz .LBB25_14
	s_branch .LBB25_15
.LBB25_10:                              ;   in Loop: Header=BB25_4 Depth=1
	s_mul_u64 s[10:11], s[8:9], s[24:25]
	s_delay_alu instid0(SALU_CYCLE_1)
	v_lshl_add_u64 v[16:17], s[10:11], 2, v[4:5]
	global_load_b32 v15, v[16:17], off
	s_wait_loadcnt 0x0
	ds_store_b32 v11, v15
	s_wait_xcnt 0x0
	s_or_b32 exec_lo, exec_lo, s5
	s_and_saveexec_b32 s5, s2
	s_cbranch_execz .LBB25_7
.LBB25_11:                              ;   in Loop: Header=BB25_4 Depth=1
	s_mul_u64 s[10:11], s[14:15], s[24:25]
	s_delay_alu instid0(SALU_CYCLE_1)
	v_lshl_add_u64 v[16:17], s[10:11], 2, v[6:7]
	global_load_b32 v15, v[16:17], off
	s_wait_loadcnt 0x0
	ds_store_b32 v2, v15
	s_wait_xcnt 0x0
	s_or_b32 exec_lo, exec_lo, s5
	s_and_saveexec_b32 s5, s3
	s_cbranch_execz .LBB25_8
.LBB25_12:                              ;   in Loop: Header=BB25_4 Depth=1
	ds_store_b32 v11, v1
	s_or_b32 exec_lo, exec_lo, s5
	s_delay_alu instid0(SALU_CYCLE_1)
	s_and_b32 vcc_lo, exec_lo, s4
	s_cbranch_vccnz .LBB25_9
.LBB25_13:                              ;   in Loop: Header=BB25_4 Depth=1
	s_mov_b32 s5, 0
.LBB25_14:                              ;   in Loop: Header=BB25_4 Depth=1
	s_delay_alu instid0(SALU_CYCLE_1) | instskip(SKIP_1) | instid1(SALU_CYCLE_1)
	s_and_not1_b32 s5, s5, exec_lo
	s_and_b32 s10, s1, exec_lo
	s_or_b32 s5, s5, s10
.LBB25_15:                              ;   in Loop: Header=BB25_4 Depth=1
	s_delay_alu instid0(SALU_CYCLE_1)
	s_and_saveexec_b32 s10, s5
; %bb.16:                               ;   in Loop: Header=BB25_4 Depth=1
	ds_store_b32 v11, v3
; %bb.17:                               ;   in Loop: Header=BB25_4 Depth=1
	s_or_b32 exec_lo, exec_lo, s10
	s_wait_dscnt 0x0
	s_barrier_signal -1
	s_barrier_wait -1
	s_and_saveexec_b32 s5, s2
	s_cbranch_execz .LBB25_2
; %bb.18:                               ;   in Loop: Header=BB25_4 Depth=1
	ds_load_2addr_b32 v[24:25], v0 offset1:32
	ds_load_b128 v[16:19], v10
	ds_load_2addr_b32 v[26:27], v0 offset0:64 offset1:96
	ds_load_b128 v[20:23], v10 offset:16
	ds_load_2addr_b32 v[28:29], v0 offset0:128 offset1:160
	s_mul_u64 s[10:11], s[26:27], s[24:25]
	s_wait_dscnt 0x3
	v_fma_f32 v15, v24, v16, 0
	s_delay_alu instid0(VALU_DEP_1) | instskip(SKIP_3) | instid1(VALU_DEP_1)
	v_fmac_f32_e32 v15, v25, v17
	ds_load_2addr_b32 v[24:25], v0 offset0:192 offset1:224
	s_wait_dscnt 0x3
	v_fmac_f32_e32 v15, v26, v18
	v_fmac_f32_e32 v15, v27, v19
	ds_load_b128 v[16:19], v10 offset:32
	ds_load_2addr_b32 v[26:27], v12 offset1:32
	s_wait_dscnt 0x3
	v_fmac_f32_e32 v15, v28, v20
	s_delay_alu instid0(VALU_DEP_1) | instskip(SKIP_3) | instid1(VALU_DEP_1)
	v_fmac_f32_e32 v15, v29, v21
	ds_load_2addr_b32 v[28:29], v12 offset0:64 offset1:96
	s_wait_dscnt 0x3
	v_fmac_f32_e32 v15, v24, v22
	v_fmac_f32_e32 v15, v25, v23
	ds_load_b128 v[20:23], v10 offset:48
	ds_load_2addr_b32 v[24:25], v12 offset0:128 offset1:160
	ds_load_2addr_b32 v[30:31], v12 offset0:192 offset1:224
	s_wait_dscnt 0x4
	v_fmac_f32_e32 v15, v26, v16
	s_delay_alu instid0(VALU_DEP_1) | instskip(SKIP_1) | instid1(VALU_DEP_1)
	v_fmac_f32_e32 v15, v27, v17
	s_wait_dscnt 0x3
	v_fmac_f32_e32 v15, v28, v18
	s_delay_alu instid0(VALU_DEP_1)
	v_fmac_f32_e32 v15, v29, v19
	ds_load_2addr_b32 v[28:29], v13 offset1:32
	ds_load_b128 v[16:19], v10 offset:64
	ds_load_2addr_b32 v[32:33], v13 offset0:64 offset1:96
	s_wait_dscnt 0x4
	v_fmac_f32_e32 v15, v24, v20
	s_delay_alu instid0(VALU_DEP_1) | instskip(SKIP_4) | instid1(VALU_DEP_1)
	v_fmac_f32_e32 v15, v25, v21
	ds_load_2addr_b32 v[34:35], v13 offset0:128 offset1:160
	ds_load_b128 v[24:27], v10 offset:80
	s_wait_dscnt 0x5
	v_fmac_f32_e32 v15, v30, v22
	v_fmac_f32_e32 v15, v31, v23
	ds_load_2addr_b32 v[30:31], v13 offset0:192 offset1:224
	s_wait_dscnt 0x4
	v_fmac_f32_e32 v15, v28, v16
	s_delay_alu instid0(VALU_DEP_1)
	v_fmac_f32_e32 v15, v29, v17
	ds_load_2addr_b32 v[28:29], v14 offset1:32
	ds_load_b128 v[20:23], v10 offset:96
	s_wait_dscnt 0x3
	v_pk_mul_f32 v[16:17], v[34:35], v[24:25]
	ds_load_2addr_b32 v[24:25], v14 offset0:64 offset1:96
	v_fmac_f32_e32 v15, v32, v18
	s_delay_alu instid0(VALU_DEP_1) | instskip(SKIP_2) | instid1(VALU_DEP_2)
	v_fmac_f32_e32 v15, v33, v19
	s_wait_dscnt 0x3
	v_pk_mul_f32 v[26:27], v[30:31], v[26:27]
	v_add_f32_e32 v15, v15, v16
	s_delay_alu instid0(VALU_DEP_1)
	v_add_f32_e32 v15, v15, v17
	ds_load_2addr_b32 v[30:31], v14 offset0:128 offset1:160
	ds_load_b128 v[16:19], v10 offset:112
	s_wait_dscnt 0x3
	v_pk_mul_f32 v[20:21], v[28:29], v[20:21]
	s_wait_dscnt 0x2
	v_pk_mul_f32 v[22:23], v[24:25], v[22:23]
	v_add_f32_e32 v15, v15, v26
	s_delay_alu instid0(VALU_DEP_1) | instskip(SKIP_2) | instid1(VALU_DEP_1)
	v_add_f32_e32 v15, v15, v27
	ds_load_2addr_b32 v[26:27], v14 offset0:192 offset1:224
	v_add_f32_e32 v15, v15, v20
	v_add_f32_e32 v15, v15, v21
	s_wait_dscnt 0x1
	v_pk_mul_f32 v[16:17], v[30:31], v[16:17]
	s_delay_alu instid0(VALU_DEP_2) | instskip(NEXT) | instid1(VALU_DEP_1)
	v_add_f32_e32 v15, v15, v22
	v_add_f32_e32 v15, v15, v23
	s_wait_dscnt 0x0
	v_pk_mul_f32 v[18:19], v[26:27], v[18:19]
	s_delay_alu instid0(VALU_DEP_2) | instskip(NEXT) | instid1(VALU_DEP_1)
	v_add_f32_e32 v15, v15, v16
	v_add_f32_e32 v15, v15, v17
	v_lshl_add_u64 v[16:17], s[10:11], 2, v[8:9]
	s_delay_alu instid0(VALU_DEP_2) | instskip(NEXT) | instid1(VALU_DEP_1)
	v_add_f32_e32 v15, v15, v18
	v_add_f32_e32 v15, v15, v19
	s_delay_alu instid0(VALU_DEP_1)
	v_mul_f32_e32 v15, s29, v15
	global_store_b32 v[16:17], v15, off
	s_branch .LBB25_2
.LBB25_19:
	s_endpgm
	.section	.rodata,"a",@progbits
	.p2align	6, 0x0
	.amdhsa_kernel _ZL23rocblas_trmm_lNx_kernelILi32EffKffEv13rocblas_fill_17rocblas_diagonal_iiT1_lPT2_llS5_llPT3_lli
		.amdhsa_group_segment_fixed_size 8192
		.amdhsa_private_segment_fixed_size 0
		.amdhsa_kernarg_size 108
		.amdhsa_user_sgpr_count 2
		.amdhsa_user_sgpr_dispatch_ptr 0
		.amdhsa_user_sgpr_queue_ptr 0
		.amdhsa_user_sgpr_kernarg_segment_ptr 1
		.amdhsa_user_sgpr_dispatch_id 0
		.amdhsa_user_sgpr_kernarg_preload_length 0
		.amdhsa_user_sgpr_kernarg_preload_offset 0
		.amdhsa_user_sgpr_private_segment_size 0
		.amdhsa_wavefront_size32 1
		.amdhsa_uses_dynamic_stack 0
		.amdhsa_enable_private_segment 0
		.amdhsa_system_sgpr_workgroup_id_x 1
		.amdhsa_system_sgpr_workgroup_id_y 0
		.amdhsa_system_sgpr_workgroup_id_z 1
		.amdhsa_system_sgpr_workgroup_info 0
		.amdhsa_system_vgpr_workitem_id 1
		.amdhsa_next_free_vgpr 36
		.amdhsa_next_free_sgpr 32
		.amdhsa_named_barrier_count 0
		.amdhsa_reserve_vcc 1
		.amdhsa_float_round_mode_32 0
		.amdhsa_float_round_mode_16_64 0
		.amdhsa_float_denorm_mode_32 3
		.amdhsa_float_denorm_mode_16_64 3
		.amdhsa_fp16_overflow 0
		.amdhsa_memory_ordered 1
		.amdhsa_forward_progress 1
		.amdhsa_inst_pref_size 10
		.amdhsa_round_robin_scheduling 0
		.amdhsa_exception_fp_ieee_invalid_op 0
		.amdhsa_exception_fp_denorm_src 0
		.amdhsa_exception_fp_ieee_div_zero 0
		.amdhsa_exception_fp_ieee_overflow 0
		.amdhsa_exception_fp_ieee_underflow 0
		.amdhsa_exception_fp_ieee_inexact 0
		.amdhsa_exception_int_div_zero 0
	.end_amdhsa_kernel
	.section	.text._ZL23rocblas_trmm_lNx_kernelILi32EffKffEv13rocblas_fill_17rocblas_diagonal_iiT1_lPT2_llS5_llPT3_lli,"axG",@progbits,_ZL23rocblas_trmm_lNx_kernelILi32EffKffEv13rocblas_fill_17rocblas_diagonal_iiT1_lPT2_llS5_llPT3_lli,comdat
.Lfunc_end25:
	.size	_ZL23rocblas_trmm_lNx_kernelILi32EffKffEv13rocblas_fill_17rocblas_diagonal_iiT1_lPT2_llS5_llPT3_lli, .Lfunc_end25-_ZL23rocblas_trmm_lNx_kernelILi32EffKffEv13rocblas_fill_17rocblas_diagonal_iiT1_lPT2_llS5_llPT3_lli
                                        ; -- End function
	.set _ZL23rocblas_trmm_lNx_kernelILi32EffKffEv13rocblas_fill_17rocblas_diagonal_iiT1_lPT2_llS5_llPT3_lli.num_vgpr, 36
	.set _ZL23rocblas_trmm_lNx_kernelILi32EffKffEv13rocblas_fill_17rocblas_diagonal_iiT1_lPT2_llS5_llPT3_lli.num_agpr, 0
	.set _ZL23rocblas_trmm_lNx_kernelILi32EffKffEv13rocblas_fill_17rocblas_diagonal_iiT1_lPT2_llS5_llPT3_lli.numbered_sgpr, 32
	.set _ZL23rocblas_trmm_lNx_kernelILi32EffKffEv13rocblas_fill_17rocblas_diagonal_iiT1_lPT2_llS5_llPT3_lli.num_named_barrier, 0
	.set _ZL23rocblas_trmm_lNx_kernelILi32EffKffEv13rocblas_fill_17rocblas_diagonal_iiT1_lPT2_llS5_llPT3_lli.private_seg_size, 0
	.set _ZL23rocblas_trmm_lNx_kernelILi32EffKffEv13rocblas_fill_17rocblas_diagonal_iiT1_lPT2_llS5_llPT3_lli.uses_vcc, 1
	.set _ZL23rocblas_trmm_lNx_kernelILi32EffKffEv13rocblas_fill_17rocblas_diagonal_iiT1_lPT2_llS5_llPT3_lli.uses_flat_scratch, 0
	.set _ZL23rocblas_trmm_lNx_kernelILi32EffKffEv13rocblas_fill_17rocblas_diagonal_iiT1_lPT2_llS5_llPT3_lli.has_dyn_sized_stack, 0
	.set _ZL23rocblas_trmm_lNx_kernelILi32EffKffEv13rocblas_fill_17rocblas_diagonal_iiT1_lPT2_llS5_llPT3_lli.has_recursion, 0
	.set _ZL23rocblas_trmm_lNx_kernelILi32EffKffEv13rocblas_fill_17rocblas_diagonal_iiT1_lPT2_llS5_llPT3_lli.has_indirect_call, 0
	.section	.AMDGPU.csdata,"",@progbits
; Kernel info:
; codeLenInByte = 1276
; TotalNumSgprs: 34
; NumVgprs: 36
; ScratchSize: 0
; MemoryBound: 0
; FloatMode: 240
; IeeeMode: 1
; LDSByteSize: 8192 bytes/workgroup (compile time only)
; SGPRBlocks: 0
; VGPRBlocks: 2
; NumSGPRsForWavesPerEU: 34
; NumVGPRsForWavesPerEU: 36
; NamedBarCnt: 0
; Occupancy: 16
; WaveLimiterHint : 0
; COMPUTE_PGM_RSRC2:SCRATCH_EN: 0
; COMPUTE_PGM_RSRC2:USER_SGPR: 2
; COMPUTE_PGM_RSRC2:TRAP_HANDLER: 0
; COMPUTE_PGM_RSRC2:TGID_X_EN: 1
; COMPUTE_PGM_RSRC2:TGID_Y_EN: 0
; COMPUTE_PGM_RSRC2:TGID_Z_EN: 1
; COMPUTE_PGM_RSRC2:TIDIG_COMP_CNT: 1
	.section	.text._ZL23rocblas_trmm_lTx_kernelILi32ELb0EfPKfS0_fEv13rocblas_fill_17rocblas_diagonal_iiT2_lPT3_llS6_llPT4_lli,"axG",@progbits,_ZL23rocblas_trmm_lTx_kernelILi32ELb0EfPKfS0_fEv13rocblas_fill_17rocblas_diagonal_iiT2_lPT3_llS6_llPT4_lli,comdat
	.globl	_ZL23rocblas_trmm_lTx_kernelILi32ELb0EfPKfS0_fEv13rocblas_fill_17rocblas_diagonal_iiT2_lPT3_llS6_llPT4_lli ; -- Begin function _ZL23rocblas_trmm_lTx_kernelILi32ELb0EfPKfS0_fEv13rocblas_fill_17rocblas_diagonal_iiT2_lPT3_llS6_llPT4_lli
	.p2align	8
	.type	_ZL23rocblas_trmm_lTx_kernelILi32ELb0EfPKfS0_fEv13rocblas_fill_17rocblas_diagonal_iiT2_lPT3_llS6_llPT4_lli,@function
_ZL23rocblas_trmm_lTx_kernelILi32ELb0EfPKfS0_fEv13rocblas_fill_17rocblas_diagonal_iiT2_lPT3_llS6_llPT4_lli: ; @_ZL23rocblas_trmm_lTx_kernelILi32ELb0EfPKfS0_fEv13rocblas_fill_17rocblas_diagonal_iiT2_lPT3_llS6_llPT4_lli
; %bb.0:
	s_load_b32 s33, s[0:1], 0x68
	s_bfe_u32 s2, ttmp6, 0x40014
	s_lshr_b32 s3, ttmp7, 16
	s_add_co_i32 s2, s2, 1
	s_bfe_u32 s5, ttmp6, 0x40008
	s_mul_i32 s4, s3, s2
	s_getreg_b32 s2, hwreg(HW_REG_IB_STS2, 6, 4)
	s_add_co_i32 s5, s5, s4
	s_cmp_eq_u32 s2, 0
	s_mov_b32 s29, 0
	s_cselect_b32 s28, s3, s5
	s_wait_kmcnt 0x0
	s_cmp_ge_u32 s28, s33
	s_cbranch_scc1 .LBB26_19
; %bb.1:
	s_clause 0x3
	s_load_b128 s[20:23], s[0:1], 0x0
	s_load_b512 s[4:19], s[0:1], 0x10
	s_load_b128 s[24:27], s[0:1], 0x50
	s_load_b64 s[30:31], s[0:1], 0x60
	v_bfe_u32 v2, v0, 10, 10
	v_mov_b32_e32 v3, 0
	s_wait_xcnt 0x0
	s_bfe_u32 s0, ttmp6, 0x4000c
	s_and_b32 s3, ttmp6, 15
	s_add_co_i32 s0, s0, 1
	v_lshlrev_b32_e32 v12, 2, v2
	s_mul_i32 s34, ttmp9, s0
	v_and_b32_e32 v11, 0x3ff, v0
	s_add_co_i32 s3, s3, s34
	v_dual_lshlrev_b32 v13, 5, v2 :: v_dual_mov_b32 v1, v3
	v_lshl_add_u32 v10, v2, 7, 0x1000
	s_delay_alu instid0(VALU_DEP_3)
	v_dual_lshlrev_b32 v0, 2, v11 :: v_dual_lshlrev_b32 v14, 7, v11
	v_cmp_eq_u32_e32 vcc_lo, v2, v11
	v_cmp_lt_u32_e64 s0, v11, v2
	s_wait_kmcnt 0x0
	s_add_co_i32 s35, s23, -1
	v_mul_u64_e32 v[4:5], s[10:11], v[2:3]
	v_mul_u64_e32 v[6:7], s[16:17], v[2:3]
	v_mul_u64_e32 v[8:9], s[26:27], v[2:3]
	s_ashr_i32 s10, s35, 31
	v_cmp_gt_u32_e64 s1, v11, v2
	s_lshr_b32 s10, s10, 27
	v_add_nc_u32_e32 v15, 0xc00, v0
	s_add_co_i32 s10, s35, s10
	s_delay_alu instid0(SALU_CYCLE_1)
	s_and_b32 s11, s10, 0xffffffe0
	s_ashr_i32 s10, s10, 5
	s_sub_co_i32 s11, s23, s11
	s_cmp_eq_u32 s2, 0
	v_cmp_gt_i32_e64 s2, s22, v2
	s_cselect_b32 s23, ttmp9, s3
	v_cmp_gt_i32_e64 s3, s22, v11
	s_cmp_ge_i32 s23, s10
	v_add_lshl_u32 v11, v13, v11, 2
	s_cselect_b32 s11, s11, 32
	s_lshl_b32 s22, s23, 5
	s_and_b32 s10, s2, s3
	s_ashr_i32 s23, s22, 31
	v_cmp_gt_i32_e64 s2, s11, v2
	s_mul_u64 s[16:17], s[16:17], s[22:23]
	s_mul_u64 s[22:23], s[26:27], s[22:23]
	s_lshl_b64 s[16:17], s[16:17], 2
	s_lshl_b64 s[22:23], s[22:23], 2
	s_add_nc_u64 s[14:15], s[14:15], s[16:17]
	s_add_nc_u64 s[16:17], s[24:25], s[22:23]
	s_and_b32 s2, s3, s2
	s_cmp_eq_u32 s21, 0x84
	v_add_nc_u32_e32 v2, 0x1000, v11
	v_lshl_add_u64 v[4:5], v[4:5], 2, s[8:9]
	v_lshl_add_u64 v[6:7], v[6:7], 2, s[14:15]
	;; [unrolled: 1-line block ×3, first 2 shown]
	s_cselect_b32 s3, -1, 0
	v_add_nc_u32_e32 v13, 0x400, v0
	v_add_nc_u64_e32 v[4:5], v[4:5], v[0:1]
	v_add_nc_u64_e32 v[6:7], v[6:7], v[0:1]
	;; [unrolled: 1-line block ×3, first 2 shown]
	s_and_b32 s3, vcc_lo, s3
	v_dual_mov_b32 v12, 1.0 :: v_dual_add_nc_u32 v1, v12, v14
	v_add_nc_u32_e32 v14, 0x800, v0
	s_cmp_lg_u32 s20, 0x7a
	s_cselect_b32 s8, -1, 0
	s_branch .LBB26_4
.LBB26_2:                               ;   in Loop: Header=BB26_4 Depth=1
	s_wait_xcnt 0x0
	s_or_b32 exec_lo, exec_lo, s9
.LBB26_3:                               ;   in Loop: Header=BB26_4 Depth=1
	s_add_co_i32 s28, s28, 0x10000
	s_delay_alu instid0(SALU_CYCLE_1)
	s_cmp_lt_u32 s28, s33
	s_cbranch_scc0 .LBB26_19
.LBB26_4:                               ; =>This Inner Loop Header: Depth=1
	s_wait_xcnt 0x0
	s_mul_u64 s[14:15], s[6:7], s[28:29]
	s_delay_alu instid0(SALU_CYCLE_1) | instskip(NEXT) | instid1(SALU_CYCLE_1)
	s_lshl_b64 s[14:15], s[14:15], 2
	s_add_nc_u64 s[14:15], s[4:5], s[14:15]
	global_load_b32 v16, v3, s[14:15]
	s_wait_loadcnt 0x0
	v_cmp_eq_f32_e32 vcc_lo, 0, v16
	s_cbranch_vccnz .LBB26_3
; %bb.5:                                ;   in Loop: Header=BB26_4 Depth=1
	ds_store_b32 v11, v3
	ds_store_b32 v2, v3
	s_wait_dscnt 0x0
	s_barrier_signal -1
	s_barrier_wait -1
	s_wait_xcnt 0x0
	s_and_saveexec_b32 s9, s10
	s_cbranch_execnz .LBB26_11
; %bb.6:                                ;   in Loop: Header=BB26_4 Depth=1
	s_or_b32 exec_lo, exec_lo, s9
	s_and_saveexec_b32 s9, s2
	s_cbranch_execnz .LBB26_12
.LBB26_7:                               ;   in Loop: Header=BB26_4 Depth=1
	s_or_b32 exec_lo, exec_lo, s9
	s_and_saveexec_b32 s9, s3
.LBB26_8:                               ;   in Loop: Header=BB26_4 Depth=1
	ds_store_b32 v11, v12
.LBB26_9:                               ;   in Loop: Header=BB26_4 Depth=1
	s_or_b32 exec_lo, exec_lo, s9
	s_delay_alu instid0(SALU_CYCLE_1)
	s_and_b32 vcc_lo, exec_lo, s8
	s_wait_dscnt 0x0
	s_barrier_signal -1
	s_barrier_wait -1
	s_cbranch_vccz .LBB26_13
; %bb.10:                               ;   in Loop: Header=BB26_4 Depth=1
	s_and_b32 s9, s0, exec_lo
	s_cbranch_execz .LBB26_14
	s_branch .LBB26_15
.LBB26_11:                              ;   in Loop: Header=BB26_4 Depth=1
	s_mul_u64 s[14:15], s[12:13], s[28:29]
	s_delay_alu instid0(SALU_CYCLE_1)
	v_lshl_add_u64 v[18:19], s[14:15], 2, v[4:5]
	global_load_b32 v17, v[18:19], off
	s_wait_loadcnt 0x0
	ds_store_b32 v1, v17
	s_wait_xcnt 0x0
	s_or_b32 exec_lo, exec_lo, s9
	s_and_saveexec_b32 s9, s2
	s_cbranch_execz .LBB26_7
.LBB26_12:                              ;   in Loop: Header=BB26_4 Depth=1
	s_mul_u64 s[14:15], s[18:19], s[28:29]
	s_delay_alu instid0(SALU_CYCLE_1)
	v_lshl_add_u64 v[18:19], s[14:15], 2, v[6:7]
	global_load_b32 v17, v[18:19], off
	s_wait_loadcnt 0x0
	ds_store_b32 v2, v17
	s_wait_xcnt 0x0
	s_or_b32 exec_lo, exec_lo, s9
	s_and_saveexec_b32 s9, s3
	s_cbranch_execnz .LBB26_8
	s_branch .LBB26_9
.LBB26_13:                              ;   in Loop: Header=BB26_4 Depth=1
	s_mov_b32 s9, 0
.LBB26_14:                              ;   in Loop: Header=BB26_4 Depth=1
	s_delay_alu instid0(SALU_CYCLE_1) | instskip(SKIP_1) | instid1(SALU_CYCLE_1)
	s_and_not1_b32 s9, s9, exec_lo
	s_and_b32 s11, s1, exec_lo
	s_or_b32 s9, s9, s11
.LBB26_15:                              ;   in Loop: Header=BB26_4 Depth=1
	s_delay_alu instid0(SALU_CYCLE_1)
	s_and_saveexec_b32 s11, s9
; %bb.16:                               ;   in Loop: Header=BB26_4 Depth=1
	ds_store_b32 v11, v3
; %bb.17:                               ;   in Loop: Header=BB26_4 Depth=1
	s_or_b32 exec_lo, exec_lo, s11
	s_wait_dscnt 0x0
	s_barrier_signal -1
	s_barrier_wait -1
	s_and_saveexec_b32 s9, s2
	s_cbranch_execz .LBB26_2
; %bb.18:                               ;   in Loop: Header=BB26_4 Depth=1
	ds_load_2addr_b32 v[26:27], v0 offset1:32
	ds_load_b128 v[18:21], v10
	ds_load_2addr_b32 v[28:29], v0 offset0:64 offset1:96
	ds_load_b128 v[22:25], v10 offset:16
	ds_load_2addr_b32 v[30:31], v0 offset0:128 offset1:160
	s_mul_u64 s[14:15], s[30:31], s[28:29]
	s_wait_dscnt 0x3
	v_fma_f32 v17, v26, v18, 0
	s_delay_alu instid0(VALU_DEP_1) | instskip(SKIP_3) | instid1(VALU_DEP_1)
	v_fmac_f32_e32 v17, v27, v19
	ds_load_2addr_b32 v[26:27], v0 offset0:192 offset1:224
	s_wait_dscnt 0x3
	v_fmac_f32_e32 v17, v28, v20
	v_fmac_f32_e32 v17, v29, v21
	ds_load_b128 v[18:21], v10 offset:32
	ds_load_2addr_b32 v[28:29], v13 offset1:32
	s_wait_dscnt 0x3
	v_fmac_f32_e32 v17, v30, v22
	s_delay_alu instid0(VALU_DEP_1) | instskip(SKIP_3) | instid1(VALU_DEP_1)
	v_fmac_f32_e32 v17, v31, v23
	ds_load_2addr_b32 v[30:31], v13 offset0:64 offset1:96
	s_wait_dscnt 0x3
	v_fmac_f32_e32 v17, v26, v24
	v_fmac_f32_e32 v17, v27, v25
	ds_load_b128 v[22:25], v10 offset:48
	ds_load_2addr_b32 v[26:27], v13 offset0:128 offset1:160
	ds_load_2addr_b32 v[32:33], v13 offset0:192 offset1:224
	s_wait_dscnt 0x4
	v_fmac_f32_e32 v17, v28, v18
	s_delay_alu instid0(VALU_DEP_1) | instskip(SKIP_1) | instid1(VALU_DEP_1)
	v_fmac_f32_e32 v17, v29, v19
	s_wait_dscnt 0x3
	v_fmac_f32_e32 v17, v30, v20
	s_delay_alu instid0(VALU_DEP_1)
	v_fmac_f32_e32 v17, v31, v21
	ds_load_2addr_b32 v[30:31], v14 offset1:32
	ds_load_b128 v[18:21], v10 offset:64
	ds_load_2addr_b32 v[34:35], v14 offset0:64 offset1:96
	s_wait_dscnt 0x4
	v_fmac_f32_e32 v17, v26, v22
	s_delay_alu instid0(VALU_DEP_1) | instskip(SKIP_4) | instid1(VALU_DEP_1)
	v_fmac_f32_e32 v17, v27, v23
	ds_load_2addr_b32 v[36:37], v14 offset0:128 offset1:160
	ds_load_b128 v[26:29], v10 offset:80
	s_wait_dscnt 0x5
	v_fmac_f32_e32 v17, v32, v24
	v_fmac_f32_e32 v17, v33, v25
	ds_load_2addr_b32 v[32:33], v14 offset0:192 offset1:224
	s_wait_dscnt 0x4
	v_fmac_f32_e32 v17, v30, v18
	s_delay_alu instid0(VALU_DEP_1)
	v_fmac_f32_e32 v17, v31, v19
	ds_load_2addr_b32 v[30:31], v15 offset1:32
	ds_load_b128 v[22:25], v10 offset:96
	s_wait_dscnt 0x3
	v_pk_mul_f32 v[18:19], v[36:37], v[26:27]
	ds_load_2addr_b32 v[26:27], v15 offset0:64 offset1:96
	v_fmac_f32_e32 v17, v34, v20
	s_delay_alu instid0(VALU_DEP_1) | instskip(SKIP_2) | instid1(VALU_DEP_2)
	v_fmac_f32_e32 v17, v35, v21
	s_wait_dscnt 0x3
	v_pk_mul_f32 v[28:29], v[32:33], v[28:29]
	v_add_f32_e32 v17, v17, v18
	s_delay_alu instid0(VALU_DEP_1)
	v_add_f32_e32 v17, v17, v19
	ds_load_2addr_b32 v[32:33], v15 offset0:128 offset1:160
	ds_load_b128 v[18:21], v10 offset:112
	s_wait_dscnt 0x3
	v_pk_mul_f32 v[22:23], v[30:31], v[22:23]
	s_wait_dscnt 0x2
	v_pk_mul_f32 v[24:25], v[26:27], v[24:25]
	v_add_f32_e32 v17, v17, v28
	s_delay_alu instid0(VALU_DEP_1) | instskip(SKIP_2) | instid1(VALU_DEP_1)
	v_add_f32_e32 v17, v17, v29
	ds_load_2addr_b32 v[28:29], v15 offset0:192 offset1:224
	v_add_f32_e32 v17, v17, v22
	v_add_f32_e32 v17, v17, v23
	s_wait_dscnt 0x1
	v_pk_mul_f32 v[18:19], v[32:33], v[18:19]
	s_delay_alu instid0(VALU_DEP_2) | instskip(NEXT) | instid1(VALU_DEP_1)
	v_add_f32_e32 v17, v17, v24
	v_add_f32_e32 v17, v17, v25
	s_wait_dscnt 0x0
	v_pk_mul_f32 v[20:21], v[28:29], v[20:21]
	s_delay_alu instid0(VALU_DEP_2) | instskip(NEXT) | instid1(VALU_DEP_1)
	v_add_f32_e32 v17, v17, v18
	v_add_f32_e32 v17, v17, v19
	s_delay_alu instid0(VALU_DEP_1) | instskip(NEXT) | instid1(VALU_DEP_1)
	v_add_f32_e32 v17, v17, v20
	v_add_f32_e32 v17, v17, v21
	s_delay_alu instid0(VALU_DEP_1)
	v_mul_f32_e32 v18, v16, v17
	v_lshl_add_u64 v[16:17], s[14:15], 2, v[8:9]
	global_store_b32 v[16:17], v18, off
	s_branch .LBB26_2
.LBB26_19:
	s_endpgm
	.section	.rodata,"a",@progbits
	.p2align	6, 0x0
	.amdhsa_kernel _ZL23rocblas_trmm_lTx_kernelILi32ELb0EfPKfS0_fEv13rocblas_fill_17rocblas_diagonal_iiT2_lPT3_llS6_llPT4_lli
		.amdhsa_group_segment_fixed_size 8192
		.amdhsa_private_segment_fixed_size 0
		.amdhsa_kernarg_size 108
		.amdhsa_user_sgpr_count 2
		.amdhsa_user_sgpr_dispatch_ptr 0
		.amdhsa_user_sgpr_queue_ptr 0
		.amdhsa_user_sgpr_kernarg_segment_ptr 1
		.amdhsa_user_sgpr_dispatch_id 0
		.amdhsa_user_sgpr_kernarg_preload_length 0
		.amdhsa_user_sgpr_kernarg_preload_offset 0
		.amdhsa_user_sgpr_private_segment_size 0
		.amdhsa_wavefront_size32 1
		.amdhsa_uses_dynamic_stack 0
		.amdhsa_enable_private_segment 0
		.amdhsa_system_sgpr_workgroup_id_x 1
		.amdhsa_system_sgpr_workgroup_id_y 0
		.amdhsa_system_sgpr_workgroup_id_z 1
		.amdhsa_system_sgpr_workgroup_info 0
		.amdhsa_system_vgpr_workitem_id 1
		.amdhsa_next_free_vgpr 38
		.amdhsa_next_free_sgpr 36
		.amdhsa_named_barrier_count 0
		.amdhsa_reserve_vcc 1
		.amdhsa_float_round_mode_32 0
		.amdhsa_float_round_mode_16_64 0
		.amdhsa_float_denorm_mode_32 3
		.amdhsa_float_denorm_mode_16_64 3
		.amdhsa_fp16_overflow 0
		.amdhsa_memory_ordered 1
		.amdhsa_forward_progress 1
		.amdhsa_inst_pref_size 11
		.amdhsa_round_robin_scheduling 0
		.amdhsa_exception_fp_ieee_invalid_op 0
		.amdhsa_exception_fp_denorm_src 0
		.amdhsa_exception_fp_ieee_div_zero 0
		.amdhsa_exception_fp_ieee_overflow 0
		.amdhsa_exception_fp_ieee_underflow 0
		.amdhsa_exception_fp_ieee_inexact 0
		.amdhsa_exception_int_div_zero 0
	.end_amdhsa_kernel
	.section	.text._ZL23rocblas_trmm_lTx_kernelILi32ELb0EfPKfS0_fEv13rocblas_fill_17rocblas_diagonal_iiT2_lPT3_llS6_llPT4_lli,"axG",@progbits,_ZL23rocblas_trmm_lTx_kernelILi32ELb0EfPKfS0_fEv13rocblas_fill_17rocblas_diagonal_iiT2_lPT3_llS6_llPT4_lli,comdat
.Lfunc_end26:
	.size	_ZL23rocblas_trmm_lTx_kernelILi32ELb0EfPKfS0_fEv13rocblas_fill_17rocblas_diagonal_iiT2_lPT3_llS6_llPT4_lli, .Lfunc_end26-_ZL23rocblas_trmm_lTx_kernelILi32ELb0EfPKfS0_fEv13rocblas_fill_17rocblas_diagonal_iiT2_lPT3_llS6_llPT4_lli
                                        ; -- End function
	.set _ZL23rocblas_trmm_lTx_kernelILi32ELb0EfPKfS0_fEv13rocblas_fill_17rocblas_diagonal_iiT2_lPT3_llS6_llPT4_lli.num_vgpr, 38
	.set _ZL23rocblas_trmm_lTx_kernelILi32ELb0EfPKfS0_fEv13rocblas_fill_17rocblas_diagonal_iiT2_lPT3_llS6_llPT4_lli.num_agpr, 0
	.set _ZL23rocblas_trmm_lTx_kernelILi32ELb0EfPKfS0_fEv13rocblas_fill_17rocblas_diagonal_iiT2_lPT3_llS6_llPT4_lli.numbered_sgpr, 36
	.set _ZL23rocblas_trmm_lTx_kernelILi32ELb0EfPKfS0_fEv13rocblas_fill_17rocblas_diagonal_iiT2_lPT3_llS6_llPT4_lli.num_named_barrier, 0
	.set _ZL23rocblas_trmm_lTx_kernelILi32ELb0EfPKfS0_fEv13rocblas_fill_17rocblas_diagonal_iiT2_lPT3_llS6_llPT4_lli.private_seg_size, 0
	.set _ZL23rocblas_trmm_lTx_kernelILi32ELb0EfPKfS0_fEv13rocblas_fill_17rocblas_diagonal_iiT2_lPT3_llS6_llPT4_lli.uses_vcc, 1
	.set _ZL23rocblas_trmm_lTx_kernelILi32ELb0EfPKfS0_fEv13rocblas_fill_17rocblas_diagonal_iiT2_lPT3_llS6_llPT4_lli.uses_flat_scratch, 0
	.set _ZL23rocblas_trmm_lTx_kernelILi32ELb0EfPKfS0_fEv13rocblas_fill_17rocblas_diagonal_iiT2_lPT3_llS6_llPT4_lli.has_dyn_sized_stack, 0
	.set _ZL23rocblas_trmm_lTx_kernelILi32ELb0EfPKfS0_fEv13rocblas_fill_17rocblas_diagonal_iiT2_lPT3_llS6_llPT4_lli.has_recursion, 0
	.set _ZL23rocblas_trmm_lTx_kernelILi32ELb0EfPKfS0_fEv13rocblas_fill_17rocblas_diagonal_iiT2_lPT3_llS6_llPT4_lli.has_indirect_call, 0
	.section	.AMDGPU.csdata,"",@progbits
; Kernel info:
; codeLenInByte = 1340
; TotalNumSgprs: 38
; NumVgprs: 38
; ScratchSize: 0
; MemoryBound: 0
; FloatMode: 240
; IeeeMode: 1
; LDSByteSize: 8192 bytes/workgroup (compile time only)
; SGPRBlocks: 0
; VGPRBlocks: 2
; NumSGPRsForWavesPerEU: 38
; NumVGPRsForWavesPerEU: 38
; NamedBarCnt: 0
; Occupancy: 16
; WaveLimiterHint : 0
; COMPUTE_PGM_RSRC2:SCRATCH_EN: 0
; COMPUTE_PGM_RSRC2:USER_SGPR: 2
; COMPUTE_PGM_RSRC2:TRAP_HANDLER: 0
; COMPUTE_PGM_RSRC2:TGID_X_EN: 1
; COMPUTE_PGM_RSRC2:TGID_Y_EN: 0
; COMPUTE_PGM_RSRC2:TGID_Z_EN: 1
; COMPUTE_PGM_RSRC2:TIDIG_COMP_CNT: 1
	.section	.text._ZL23rocblas_trmm_lTx_kernelILi32ELb0EffKffEv13rocblas_fill_17rocblas_diagonal_iiT2_lPT3_llS5_llPT4_lli,"axG",@progbits,_ZL23rocblas_trmm_lTx_kernelILi32ELb0EffKffEv13rocblas_fill_17rocblas_diagonal_iiT2_lPT3_llS5_llPT4_lli,comdat
	.globl	_ZL23rocblas_trmm_lTx_kernelILi32ELb0EffKffEv13rocblas_fill_17rocblas_diagonal_iiT2_lPT3_llS5_llPT4_lli ; -- Begin function _ZL23rocblas_trmm_lTx_kernelILi32ELb0EffKffEv13rocblas_fill_17rocblas_diagonal_iiT2_lPT3_llS5_llPT4_lli
	.p2align	8
	.type	_ZL23rocblas_trmm_lTx_kernelILi32ELb0EffKffEv13rocblas_fill_17rocblas_diagonal_iiT2_lPT3_llS5_llPT4_lli,@function
_ZL23rocblas_trmm_lTx_kernelILi32ELb0EffKffEv13rocblas_fill_17rocblas_diagonal_iiT2_lPT3_llS5_llPT4_lli: ; @_ZL23rocblas_trmm_lTx_kernelILi32ELb0EffKffEv13rocblas_fill_17rocblas_diagonal_iiT2_lPT3_llS5_llPT4_lli
; %bb.0:
	s_load_b32 s3, s[0:1], 0x68
	s_bfe_u32 s2, ttmp6, 0x40014
	s_lshr_b32 s4, ttmp7, 16
	s_add_co_i32 s2, s2, 1
	s_bfe_u32 s6, ttmp6, 0x40008
	s_mul_i32 s5, s4, s2
	s_getreg_b32 s2, hwreg(HW_REG_IB_STS2, 6, 4)
	s_add_co_i32 s6, s6, s5
	s_cmp_eq_u32 s2, 0
	s_mov_b32 s25, 0
	s_cselect_b32 s24, s4, s6
	s_wait_kmcnt 0x0
	s_cmp_ge_u32 s24, s3
	s_cbranch_scc1 .LBB27_19
; %bb.1:
	s_clause 0x2
	s_load_b32 s28, s[0:1], 0x10
	s_load_b512 s[4:19], s[0:1], 0x20
	s_load_b128 s[20:23], s[0:1], 0x0
	v_bfe_u32 v2, v0, 10, 10
	v_and_b32_e32 v12, 0x3ff, v0
	v_mov_b32_e32 v3, 0
	s_load_b64 s[26:27], s[0:1], 0x60
	s_delay_alu instid0(VALU_DEP_2) | instskip(NEXT) | instid1(VALU_DEP_2)
	v_dual_lshlrev_b32 v4, 5, v2 :: v_dual_lshlrev_b32 v0, 2, v12
	v_dual_lshlrev_b32 v13, 2, v2 :: v_dual_mov_b32 v1, v3
	v_lshlrev_b32_e32 v14, 7, v12
	s_delay_alu instid0(VALU_DEP_3)
	v_add_lshl_u32 v10, v4, v12, 2
	v_cmp_eq_u32_e32 vcc_lo, v2, v12
	s_wait_xcnt 0x0
	v_cmp_lt_u32_e64 s0, v12, v2
	v_add_nc_u32_e32 v15, 0xc00, v0
	v_add_nc_u32_e32 v11, 0x1000, v10
	s_wait_kmcnt 0x0
	s_cmp_neq_f32 s28, 0
	v_mul_u64_e32 v[4:5], s[6:7], v[2:3]
	v_mul_u64_e32 v[6:7], s[12:13], v[2:3]
	;; [unrolled: 1-line block ×3, first 2 shown]
	s_cselect_b32 s6, -1, 0
	s_add_co_i32 s1, s23, -1
	s_bfe_u32 s29, ttmp6, 0x4000c
	s_ashr_i32 s30, s1, 31
	s_add_co_i32 s29, s29, 1
	s_lshr_b32 s30, s30, 27
	s_and_b32 s7, ttmp6, 15
	s_mul_i32 s29, ttmp9, s29
	s_add_co_i32 s1, s1, s30
	s_add_co_i32 s7, s7, s29
	s_and_b32 s29, s1, 0xffffffe0
	s_ashr_i32 s30, s1, 5
	s_sub_co_i32 s23, s23, s29
	s_cmp_eq_u32 s2, 0
	v_cmp_gt_i32_e64 s1, s22, v2
	s_cselect_b32 s7, ttmp9, s7
	v_cmp_gt_i32_e64 s2, s22, v12
	s_cmp_ge_i32 s7, s30
	s_cselect_b32 s29, s23, 32
	s_lshl_b32 s22, s7, 5
	s_and_b32 s7, s1, s2
	s_ashr_i32 s23, s22, 31
	v_cmp_gt_i32_e64 s1, s29, v2
	s_mul_u64 s[12:13], s[12:13], s[22:23]
	s_mul_u64 s[18:19], s[18:19], s[22:23]
	s_lshl_b64 s[12:13], s[12:13], 2
	s_lshl_b64 s[18:19], s[18:19], 2
	s_add_nc_u64 s[10:11], s[10:11], s[12:13]
	s_add_nc_u64 s[12:13], s[16:17], s[18:19]
	v_lshl_add_u64 v[4:5], v[4:5], 2, s[4:5]
	v_lshl_add_u64 v[6:7], v[6:7], 2, s[10:11]
	;; [unrolled: 1-line block ×3, first 2 shown]
	s_and_b32 s2, s2, s1
	s_cmp_eq_u32 s21, 0x84
	v_add_nc_u64_e32 v[4:5], v[4:5], v[0:1]
	s_cselect_b32 s1, -1, 0
	v_add_nc_u64_e32 v[6:7], v[6:7], v[0:1]
	v_add_nc_u64_e32 v[8:9], v[8:9], v[0:1]
	s_and_b32 s4, vcc_lo, s1
	v_cmp_gt_u32_e64 s1, v12, v2
	v_lshl_add_u32 v2, v2, 7, 0x1000
	v_dual_mov_b32 v12, 1.0 :: v_dual_add_nc_u32 v1, v13, v14
	v_add_nc_u32_e32 v13, 0x400, v0
	v_add_nc_u32_e32 v14, 0x800, v0
	s_cmp_lg_u32 s20, 0x7a
	s_cselect_b32 s5, -1, 0
	s_branch .LBB27_4
.LBB27_2:                               ;   in Loop: Header=BB27_4 Depth=1
	s_wait_xcnt 0x0
	s_or_b32 exec_lo, exec_lo, s10
.LBB27_3:                               ;   in Loop: Header=BB27_4 Depth=1
	s_add_co_i32 s24, s24, 0x10000
	s_delay_alu instid0(SALU_CYCLE_1)
	s_cmp_lt_u32 s24, s3
	s_cbranch_scc0 .LBB27_19
.LBB27_4:                               ; =>This Inner Loop Header: Depth=1
	s_and_not1_b32 vcc_lo, exec_lo, s6
	s_cbranch_vccnz .LBB27_3
; %bb.5:                                ;   in Loop: Header=BB27_4 Depth=1
	ds_store_b32 v10, v3
	ds_store_b32 v11, v3
	s_wait_dscnt 0x0
	s_barrier_signal -1
	s_barrier_wait -1
	s_and_saveexec_b32 s10, s7
	s_cbranch_execnz .LBB27_11
; %bb.6:                                ;   in Loop: Header=BB27_4 Depth=1
	s_or_b32 exec_lo, exec_lo, s10
	s_and_saveexec_b32 s10, s2
	s_cbranch_execnz .LBB27_12
.LBB27_7:                               ;   in Loop: Header=BB27_4 Depth=1
	s_or_b32 exec_lo, exec_lo, s10
	s_and_saveexec_b32 s10, s4
.LBB27_8:                               ;   in Loop: Header=BB27_4 Depth=1
	ds_store_b32 v10, v12
.LBB27_9:                               ;   in Loop: Header=BB27_4 Depth=1
	s_or_b32 exec_lo, exec_lo, s10
	s_delay_alu instid0(SALU_CYCLE_1)
	s_and_b32 vcc_lo, exec_lo, s5
	s_wait_dscnt 0x0
	s_barrier_signal -1
	s_barrier_wait -1
	s_cbranch_vccz .LBB27_13
; %bb.10:                               ;   in Loop: Header=BB27_4 Depth=1
	s_and_b32 s10, s0, exec_lo
	s_cbranch_execz .LBB27_14
	s_branch .LBB27_15
.LBB27_11:                              ;   in Loop: Header=BB27_4 Depth=1
	s_mul_u64 s[12:13], s[8:9], s[24:25]
	s_delay_alu instid0(SALU_CYCLE_1)
	v_lshl_add_u64 v[16:17], s[12:13], 2, v[4:5]
	global_load_b32 v16, v[16:17], off
	s_wait_loadcnt 0x0
	ds_store_b32 v1, v16
	s_wait_xcnt 0x0
	s_or_b32 exec_lo, exec_lo, s10
	s_and_saveexec_b32 s10, s2
	s_cbranch_execz .LBB27_7
.LBB27_12:                              ;   in Loop: Header=BB27_4 Depth=1
	s_mul_u64 s[12:13], s[14:15], s[24:25]
	s_delay_alu instid0(SALU_CYCLE_1)
	v_lshl_add_u64 v[16:17], s[12:13], 2, v[6:7]
	global_load_b32 v16, v[16:17], off
	s_wait_loadcnt 0x0
	ds_store_b32 v11, v16
	s_wait_xcnt 0x0
	s_or_b32 exec_lo, exec_lo, s10
	s_and_saveexec_b32 s10, s4
	s_cbranch_execnz .LBB27_8
	s_branch .LBB27_9
.LBB27_13:                              ;   in Loop: Header=BB27_4 Depth=1
	s_mov_b32 s10, 0
.LBB27_14:                              ;   in Loop: Header=BB27_4 Depth=1
	s_delay_alu instid0(SALU_CYCLE_1) | instskip(SKIP_1) | instid1(SALU_CYCLE_1)
	s_and_not1_b32 s10, s10, exec_lo
	s_and_b32 s11, s1, exec_lo
	s_or_b32 s10, s10, s11
.LBB27_15:                              ;   in Loop: Header=BB27_4 Depth=1
	s_delay_alu instid0(SALU_CYCLE_1)
	s_and_saveexec_b32 s11, s10
; %bb.16:                               ;   in Loop: Header=BB27_4 Depth=1
	ds_store_b32 v10, v3
; %bb.17:                               ;   in Loop: Header=BB27_4 Depth=1
	s_or_b32 exec_lo, exec_lo, s11
	s_wait_dscnt 0x0
	s_barrier_signal -1
	s_barrier_wait -1
	s_and_saveexec_b32 s10, s2
	s_cbranch_execz .LBB27_2
; %bb.18:                               ;   in Loop: Header=BB27_4 Depth=1
	ds_load_2addr_b32 v[24:25], v0 offset1:32
	ds_load_b128 v[16:19], v2
	ds_load_2addr_b32 v[26:27], v0 offset0:64 offset1:96
	ds_load_b128 v[20:23], v2 offset:16
	ds_load_2addr_b32 v[28:29], v0 offset0:128 offset1:160
	s_mul_u64 s[12:13], s[26:27], s[24:25]
	s_wait_dscnt 0x3
	v_fma_f32 v36, v24, v16, 0
	s_delay_alu instid0(VALU_DEP_1) | instskip(SKIP_3) | instid1(VALU_DEP_1)
	v_fmac_f32_e32 v36, v25, v17
	ds_load_2addr_b32 v[24:25], v0 offset0:192 offset1:224
	s_wait_dscnt 0x3
	v_fmac_f32_e32 v36, v26, v18
	v_fmac_f32_e32 v36, v27, v19
	ds_load_b128 v[16:19], v2 offset:32
	ds_load_2addr_b32 v[26:27], v13 offset1:32
	s_wait_dscnt 0x3
	v_fmac_f32_e32 v36, v28, v20
	s_delay_alu instid0(VALU_DEP_1) | instskip(SKIP_3) | instid1(VALU_DEP_1)
	v_fmac_f32_e32 v36, v29, v21
	ds_load_2addr_b32 v[28:29], v13 offset0:64 offset1:96
	s_wait_dscnt 0x3
	v_fmac_f32_e32 v36, v24, v22
	v_fmac_f32_e32 v36, v25, v23
	ds_load_b128 v[20:23], v2 offset:48
	ds_load_2addr_b32 v[24:25], v13 offset0:128 offset1:160
	ds_load_2addr_b32 v[30:31], v13 offset0:192 offset1:224
	s_wait_dscnt 0x4
	v_fmac_f32_e32 v36, v26, v16
	s_delay_alu instid0(VALU_DEP_1) | instskip(SKIP_1) | instid1(VALU_DEP_1)
	v_fmac_f32_e32 v36, v27, v17
	s_wait_dscnt 0x3
	v_fmac_f32_e32 v36, v28, v18
	s_delay_alu instid0(VALU_DEP_1)
	v_fmac_f32_e32 v36, v29, v19
	ds_load_2addr_b32 v[28:29], v14 offset1:32
	ds_load_b128 v[16:19], v2 offset:64
	ds_load_2addr_b32 v[32:33], v14 offset0:64 offset1:96
	s_wait_dscnt 0x4
	v_fmac_f32_e32 v36, v24, v20
	s_delay_alu instid0(VALU_DEP_1) | instskip(SKIP_4) | instid1(VALU_DEP_1)
	v_fmac_f32_e32 v36, v25, v21
	ds_load_2addr_b32 v[34:35], v14 offset0:128 offset1:160
	ds_load_b128 v[24:27], v2 offset:80
	s_wait_dscnt 0x5
	v_fmac_f32_e32 v36, v30, v22
	v_fmac_f32_e32 v36, v31, v23
	ds_load_2addr_b32 v[30:31], v14 offset0:192 offset1:224
	s_wait_dscnt 0x4
	v_fmac_f32_e32 v36, v28, v16
	s_delay_alu instid0(VALU_DEP_1)
	v_fmac_f32_e32 v36, v29, v17
	ds_load_2addr_b32 v[28:29], v15 offset1:32
	ds_load_b128 v[20:23], v2 offset:96
	s_wait_dscnt 0x3
	v_pk_mul_f32 v[16:17], v[34:35], v[24:25]
	ds_load_2addr_b32 v[24:25], v15 offset0:64 offset1:96
	v_fmac_f32_e32 v36, v32, v18
	s_delay_alu instid0(VALU_DEP_1) | instskip(SKIP_2) | instid1(VALU_DEP_2)
	v_fmac_f32_e32 v36, v33, v19
	s_wait_dscnt 0x3
	v_pk_mul_f32 v[26:27], v[30:31], v[26:27]
	v_add_f32_e32 v16, v36, v16
	s_delay_alu instid0(VALU_DEP_1)
	v_add_f32_e32 v16, v16, v17
	s_wait_dscnt 0x1
	v_pk_mul_f32 v[20:21], v[28:29], v[20:21]
	s_wait_dscnt 0x0
	v_pk_mul_f32 v[22:23], v[24:25], v[22:23]
	v_add_f32_e32 v26, v16, v26
	ds_load_2addr_b32 v[30:31], v15 offset0:128 offset1:160
	ds_load_b128 v[16:19], v2 offset:112
	v_add_f32_e32 v26, v26, v27
	s_delay_alu instid0(VALU_DEP_1) | instskip(SKIP_2) | instid1(VALU_DEP_1)
	v_add_f32_e32 v20, v26, v20
	ds_load_2addr_b32 v[26:27], v15 offset0:192 offset1:224
	v_add_f32_e32 v20, v20, v21
	v_add_f32_e32 v20, v20, v22
	s_wait_dscnt 0x1
	v_pk_mul_f32 v[16:17], v[30:31], v[16:17]
	s_delay_alu instid0(VALU_DEP_2) | instskip(NEXT) | instid1(VALU_DEP_1)
	v_add_f32_e32 v20, v20, v23
	v_add_f32_e32 v16, v20, v16
	s_wait_dscnt 0x0
	v_pk_mul_f32 v[18:19], v[26:27], v[18:19]
	s_delay_alu instid0(VALU_DEP_2) | instskip(NEXT) | instid1(VALU_DEP_1)
	v_add_f32_e32 v16, v16, v17
	v_add_f32_e32 v16, v16, v18
	s_delay_alu instid0(VALU_DEP_1) | instskip(NEXT) | instid1(VALU_DEP_1)
	v_add_f32_e32 v16, v16, v19
	v_mul_f32_e32 v18, s28, v16
	v_lshl_add_u64 v[16:17], s[12:13], 2, v[8:9]
	global_store_b32 v[16:17], v18, off
	s_branch .LBB27_2
.LBB27_19:
	s_endpgm
	.section	.rodata,"a",@progbits
	.p2align	6, 0x0
	.amdhsa_kernel _ZL23rocblas_trmm_lTx_kernelILi32ELb0EffKffEv13rocblas_fill_17rocblas_diagonal_iiT2_lPT3_llS5_llPT4_lli
		.amdhsa_group_segment_fixed_size 8192
		.amdhsa_private_segment_fixed_size 0
		.amdhsa_kernarg_size 108
		.amdhsa_user_sgpr_count 2
		.amdhsa_user_sgpr_dispatch_ptr 0
		.amdhsa_user_sgpr_queue_ptr 0
		.amdhsa_user_sgpr_kernarg_segment_ptr 1
		.amdhsa_user_sgpr_dispatch_id 0
		.amdhsa_user_sgpr_kernarg_preload_length 0
		.amdhsa_user_sgpr_kernarg_preload_offset 0
		.amdhsa_user_sgpr_private_segment_size 0
		.amdhsa_wavefront_size32 1
		.amdhsa_uses_dynamic_stack 0
		.amdhsa_enable_private_segment 0
		.amdhsa_system_sgpr_workgroup_id_x 1
		.amdhsa_system_sgpr_workgroup_id_y 0
		.amdhsa_system_sgpr_workgroup_id_z 1
		.amdhsa_system_sgpr_workgroup_info 0
		.amdhsa_system_vgpr_workitem_id 1
		.amdhsa_next_free_vgpr 37
		.amdhsa_next_free_sgpr 31
		.amdhsa_named_barrier_count 0
		.amdhsa_reserve_vcc 1
		.amdhsa_float_round_mode_32 0
		.amdhsa_float_round_mode_16_64 0
		.amdhsa_float_denorm_mode_32 3
		.amdhsa_float_denorm_mode_16_64 3
		.amdhsa_fp16_overflow 0
		.amdhsa_memory_ordered 1
		.amdhsa_forward_progress 1
		.amdhsa_inst_pref_size 11
		.amdhsa_round_robin_scheduling 0
		.amdhsa_exception_fp_ieee_invalid_op 0
		.amdhsa_exception_fp_denorm_src 0
		.amdhsa_exception_fp_ieee_div_zero 0
		.amdhsa_exception_fp_ieee_overflow 0
		.amdhsa_exception_fp_ieee_underflow 0
		.amdhsa_exception_fp_ieee_inexact 0
		.amdhsa_exception_int_div_zero 0
	.end_amdhsa_kernel
	.section	.text._ZL23rocblas_trmm_lTx_kernelILi32ELb0EffKffEv13rocblas_fill_17rocblas_diagonal_iiT2_lPT3_llS5_llPT4_lli,"axG",@progbits,_ZL23rocblas_trmm_lTx_kernelILi32ELb0EffKffEv13rocblas_fill_17rocblas_diagonal_iiT2_lPT3_llS5_llPT4_lli,comdat
.Lfunc_end27:
	.size	_ZL23rocblas_trmm_lTx_kernelILi32ELb0EffKffEv13rocblas_fill_17rocblas_diagonal_iiT2_lPT3_llS5_llPT4_lli, .Lfunc_end27-_ZL23rocblas_trmm_lTx_kernelILi32ELb0EffKffEv13rocblas_fill_17rocblas_diagonal_iiT2_lPT3_llS5_llPT4_lli
                                        ; -- End function
	.set _ZL23rocblas_trmm_lTx_kernelILi32ELb0EffKffEv13rocblas_fill_17rocblas_diagonal_iiT2_lPT3_llS5_llPT4_lli.num_vgpr, 37
	.set _ZL23rocblas_trmm_lTx_kernelILi32ELb0EffKffEv13rocblas_fill_17rocblas_diagonal_iiT2_lPT3_llS5_llPT4_lli.num_agpr, 0
	.set _ZL23rocblas_trmm_lTx_kernelILi32ELb0EffKffEv13rocblas_fill_17rocblas_diagonal_iiT2_lPT3_llS5_llPT4_lli.numbered_sgpr, 31
	.set _ZL23rocblas_trmm_lTx_kernelILi32ELb0EffKffEv13rocblas_fill_17rocblas_diagonal_iiT2_lPT3_llS5_llPT4_lli.num_named_barrier, 0
	.set _ZL23rocblas_trmm_lTx_kernelILi32ELb0EffKffEv13rocblas_fill_17rocblas_diagonal_iiT2_lPT3_llS5_llPT4_lli.private_seg_size, 0
	.set _ZL23rocblas_trmm_lTx_kernelILi32ELb0EffKffEv13rocblas_fill_17rocblas_diagonal_iiT2_lPT3_llS5_llPT4_lli.uses_vcc, 1
	.set _ZL23rocblas_trmm_lTx_kernelILi32ELb0EffKffEv13rocblas_fill_17rocblas_diagonal_iiT2_lPT3_llS5_llPT4_lli.uses_flat_scratch, 0
	.set _ZL23rocblas_trmm_lTx_kernelILi32ELb0EffKffEv13rocblas_fill_17rocblas_diagonal_iiT2_lPT3_llS5_llPT4_lli.has_dyn_sized_stack, 0
	.set _ZL23rocblas_trmm_lTx_kernelILi32ELb0EffKffEv13rocblas_fill_17rocblas_diagonal_iiT2_lPT3_llS5_llPT4_lli.has_recursion, 0
	.set _ZL23rocblas_trmm_lTx_kernelILi32ELb0EffKffEv13rocblas_fill_17rocblas_diagonal_iiT2_lPT3_llS5_llPT4_lli.has_indirect_call, 0
	.section	.AMDGPU.csdata,"",@progbits
; Kernel info:
; codeLenInByte = 1304
; TotalNumSgprs: 33
; NumVgprs: 37
; ScratchSize: 0
; MemoryBound: 0
; FloatMode: 240
; IeeeMode: 1
; LDSByteSize: 8192 bytes/workgroup (compile time only)
; SGPRBlocks: 0
; VGPRBlocks: 2
; NumSGPRsForWavesPerEU: 33
; NumVGPRsForWavesPerEU: 37
; NamedBarCnt: 0
; Occupancy: 16
; WaveLimiterHint : 0
; COMPUTE_PGM_RSRC2:SCRATCH_EN: 0
; COMPUTE_PGM_RSRC2:USER_SGPR: 2
; COMPUTE_PGM_RSRC2:TRAP_HANDLER: 0
; COMPUTE_PGM_RSRC2:TGID_X_EN: 1
; COMPUTE_PGM_RSRC2:TGID_Y_EN: 0
; COMPUTE_PGM_RSRC2:TGID_Z_EN: 1
; COMPUTE_PGM_RSRC2:TIDIG_COMP_CNT: 1
	.section	.text._ZL23rocblas_trmm_lTx_kernelILi32ELb1EfPKfS0_fEv13rocblas_fill_17rocblas_diagonal_iiT2_lPT3_llS6_llPT4_lli,"axG",@progbits,_ZL23rocblas_trmm_lTx_kernelILi32ELb1EfPKfS0_fEv13rocblas_fill_17rocblas_diagonal_iiT2_lPT3_llS6_llPT4_lli,comdat
	.globl	_ZL23rocblas_trmm_lTx_kernelILi32ELb1EfPKfS0_fEv13rocblas_fill_17rocblas_diagonal_iiT2_lPT3_llS6_llPT4_lli ; -- Begin function _ZL23rocblas_trmm_lTx_kernelILi32ELb1EfPKfS0_fEv13rocblas_fill_17rocblas_diagonal_iiT2_lPT3_llS6_llPT4_lli
	.p2align	8
	.type	_ZL23rocblas_trmm_lTx_kernelILi32ELb1EfPKfS0_fEv13rocblas_fill_17rocblas_diagonal_iiT2_lPT3_llS6_llPT4_lli,@function
_ZL23rocblas_trmm_lTx_kernelILi32ELb1EfPKfS0_fEv13rocblas_fill_17rocblas_diagonal_iiT2_lPT3_llS6_llPT4_lli: ; @_ZL23rocblas_trmm_lTx_kernelILi32ELb1EfPKfS0_fEv13rocblas_fill_17rocblas_diagonal_iiT2_lPT3_llS6_llPT4_lli
; %bb.0:
	s_load_b32 s33, s[0:1], 0x68
	s_bfe_u32 s2, ttmp6, 0x40014
	s_lshr_b32 s3, ttmp7, 16
	s_add_co_i32 s2, s2, 1
	s_bfe_u32 s5, ttmp6, 0x40008
	s_mul_i32 s4, s3, s2
	s_getreg_b32 s2, hwreg(HW_REG_IB_STS2, 6, 4)
	s_add_co_i32 s5, s5, s4
	s_cmp_eq_u32 s2, 0
	s_mov_b32 s29, 0
	s_cselect_b32 s28, s3, s5
	s_wait_kmcnt 0x0
	s_cmp_ge_u32 s28, s33
	s_cbranch_scc1 .LBB28_19
; %bb.1:
	s_clause 0x3
	s_load_b128 s[20:23], s[0:1], 0x0
	s_load_b512 s[4:19], s[0:1], 0x10
	s_load_b128 s[24:27], s[0:1], 0x50
	s_load_b64 s[30:31], s[0:1], 0x60
	v_bfe_u32 v2, v0, 10, 10
	v_mov_b32_e32 v3, 0
	s_wait_xcnt 0x0
	s_bfe_u32 s0, ttmp6, 0x4000c
	s_and_b32 s3, ttmp6, 15
	s_add_co_i32 s0, s0, 1
	v_lshlrev_b32_e32 v12, 2, v2
	s_mul_i32 s34, ttmp9, s0
	v_and_b32_e32 v11, 0x3ff, v0
	s_add_co_i32 s3, s3, s34
	v_dual_lshlrev_b32 v13, 5, v2 :: v_dual_mov_b32 v1, v3
	v_lshl_add_u32 v10, v2, 7, 0x1000
	s_delay_alu instid0(VALU_DEP_3)
	v_dual_lshlrev_b32 v0, 2, v11 :: v_dual_lshlrev_b32 v14, 7, v11
	v_cmp_eq_u32_e32 vcc_lo, v2, v11
	v_cmp_lt_u32_e64 s0, v11, v2
	s_wait_kmcnt 0x0
	s_add_co_i32 s35, s23, -1
	v_mul_u64_e32 v[4:5], s[10:11], v[2:3]
	v_mul_u64_e32 v[6:7], s[16:17], v[2:3]
	;; [unrolled: 1-line block ×3, first 2 shown]
	s_ashr_i32 s10, s35, 31
	v_cmp_gt_u32_e64 s1, v11, v2
	s_lshr_b32 s10, s10, 27
	v_add_nc_u32_e32 v15, 0xc00, v0
	s_add_co_i32 s10, s35, s10
	s_delay_alu instid0(SALU_CYCLE_1)
	s_and_b32 s11, s10, 0xffffffe0
	s_ashr_i32 s10, s10, 5
	s_sub_co_i32 s11, s23, s11
	s_cmp_eq_u32 s2, 0
	v_cmp_gt_i32_e64 s2, s22, v2
	s_cselect_b32 s23, ttmp9, s3
	v_cmp_gt_i32_e64 s3, s22, v11
	s_cmp_ge_i32 s23, s10
	v_add_lshl_u32 v11, v13, v11, 2
	s_cselect_b32 s11, s11, 32
	s_lshl_b32 s22, s23, 5
	s_and_b32 s10, s2, s3
	s_ashr_i32 s23, s22, 31
	v_cmp_gt_i32_e64 s2, s11, v2
	s_mul_u64 s[16:17], s[16:17], s[22:23]
	s_mul_u64 s[22:23], s[26:27], s[22:23]
	s_lshl_b64 s[16:17], s[16:17], 2
	s_lshl_b64 s[22:23], s[22:23], 2
	s_add_nc_u64 s[14:15], s[14:15], s[16:17]
	s_add_nc_u64 s[16:17], s[24:25], s[22:23]
	s_and_b32 s2, s3, s2
	s_cmp_eq_u32 s21, 0x84
	v_add_nc_u32_e32 v2, 0x1000, v11
	v_lshl_add_u64 v[4:5], v[4:5], 2, s[8:9]
	v_lshl_add_u64 v[6:7], v[6:7], 2, s[14:15]
	;; [unrolled: 1-line block ×3, first 2 shown]
	s_cselect_b32 s3, -1, 0
	v_add_nc_u32_e32 v13, 0x400, v0
	v_add_nc_u64_e32 v[4:5], v[4:5], v[0:1]
	v_add_nc_u64_e32 v[6:7], v[6:7], v[0:1]
	;; [unrolled: 1-line block ×3, first 2 shown]
	s_and_b32 s3, vcc_lo, s3
	v_dual_mov_b32 v12, 1.0 :: v_dual_add_nc_u32 v1, v12, v14
	v_add_nc_u32_e32 v14, 0x800, v0
	s_cmp_lg_u32 s20, 0x7a
	s_cselect_b32 s8, -1, 0
	s_branch .LBB28_4
.LBB28_2:                               ;   in Loop: Header=BB28_4 Depth=1
	s_wait_xcnt 0x0
	s_or_b32 exec_lo, exec_lo, s9
.LBB28_3:                               ;   in Loop: Header=BB28_4 Depth=1
	s_add_co_i32 s28, s28, 0x10000
	s_delay_alu instid0(SALU_CYCLE_1)
	s_cmp_lt_u32 s28, s33
	s_cbranch_scc0 .LBB28_19
.LBB28_4:                               ; =>This Inner Loop Header: Depth=1
	s_wait_xcnt 0x0
	s_mul_u64 s[14:15], s[6:7], s[28:29]
	s_delay_alu instid0(SALU_CYCLE_1) | instskip(NEXT) | instid1(SALU_CYCLE_1)
	s_lshl_b64 s[14:15], s[14:15], 2
	s_add_nc_u64 s[14:15], s[4:5], s[14:15]
	global_load_b32 v16, v3, s[14:15]
	s_wait_loadcnt 0x0
	v_cmp_eq_f32_e32 vcc_lo, 0, v16
	s_cbranch_vccnz .LBB28_3
; %bb.5:                                ;   in Loop: Header=BB28_4 Depth=1
	ds_store_b32 v11, v3
	ds_store_b32 v2, v3
	s_wait_dscnt 0x0
	s_barrier_signal -1
	s_barrier_wait -1
	s_wait_xcnt 0x0
	s_and_saveexec_b32 s9, s10
	s_cbranch_execnz .LBB28_11
; %bb.6:                                ;   in Loop: Header=BB28_4 Depth=1
	s_or_b32 exec_lo, exec_lo, s9
	s_and_saveexec_b32 s9, s2
	s_cbranch_execnz .LBB28_12
.LBB28_7:                               ;   in Loop: Header=BB28_4 Depth=1
	s_or_b32 exec_lo, exec_lo, s9
	s_and_saveexec_b32 s9, s3
.LBB28_8:                               ;   in Loop: Header=BB28_4 Depth=1
	ds_store_b32 v11, v12
.LBB28_9:                               ;   in Loop: Header=BB28_4 Depth=1
	s_or_b32 exec_lo, exec_lo, s9
	s_delay_alu instid0(SALU_CYCLE_1)
	s_and_b32 vcc_lo, exec_lo, s8
	s_wait_dscnt 0x0
	s_barrier_signal -1
	s_barrier_wait -1
	s_cbranch_vccz .LBB28_13
; %bb.10:                               ;   in Loop: Header=BB28_4 Depth=1
	s_and_b32 s9, s0, exec_lo
	s_cbranch_execz .LBB28_14
	s_branch .LBB28_15
.LBB28_11:                              ;   in Loop: Header=BB28_4 Depth=1
	s_mul_u64 s[14:15], s[12:13], s[28:29]
	s_delay_alu instid0(SALU_CYCLE_1)
	v_lshl_add_u64 v[18:19], s[14:15], 2, v[4:5]
	global_load_b32 v17, v[18:19], off
	s_wait_loadcnt 0x0
	ds_store_b32 v1, v17
	s_wait_xcnt 0x0
	s_or_b32 exec_lo, exec_lo, s9
	s_and_saveexec_b32 s9, s2
	s_cbranch_execz .LBB28_7
.LBB28_12:                              ;   in Loop: Header=BB28_4 Depth=1
	s_mul_u64 s[14:15], s[18:19], s[28:29]
	s_delay_alu instid0(SALU_CYCLE_1)
	v_lshl_add_u64 v[18:19], s[14:15], 2, v[6:7]
	global_load_b32 v17, v[18:19], off
	s_wait_loadcnt 0x0
	ds_store_b32 v2, v17
	s_wait_xcnt 0x0
	s_or_b32 exec_lo, exec_lo, s9
	s_and_saveexec_b32 s9, s3
	s_cbranch_execnz .LBB28_8
	s_branch .LBB28_9
.LBB28_13:                              ;   in Loop: Header=BB28_4 Depth=1
	s_mov_b32 s9, 0
.LBB28_14:                              ;   in Loop: Header=BB28_4 Depth=1
	s_delay_alu instid0(SALU_CYCLE_1) | instskip(SKIP_1) | instid1(SALU_CYCLE_1)
	s_and_not1_b32 s9, s9, exec_lo
	s_and_b32 s11, s1, exec_lo
	s_or_b32 s9, s9, s11
.LBB28_15:                              ;   in Loop: Header=BB28_4 Depth=1
	s_delay_alu instid0(SALU_CYCLE_1)
	s_and_saveexec_b32 s11, s9
; %bb.16:                               ;   in Loop: Header=BB28_4 Depth=1
	ds_store_b32 v11, v3
; %bb.17:                               ;   in Loop: Header=BB28_4 Depth=1
	s_or_b32 exec_lo, exec_lo, s11
	s_wait_dscnt 0x0
	s_barrier_signal -1
	s_barrier_wait -1
	s_and_saveexec_b32 s9, s2
	s_cbranch_execz .LBB28_2
; %bb.18:                               ;   in Loop: Header=BB28_4 Depth=1
	ds_load_2addr_b32 v[26:27], v0 offset1:32
	ds_load_b128 v[18:21], v10
	ds_load_2addr_b32 v[28:29], v0 offset0:64 offset1:96
	ds_load_b128 v[22:25], v10 offset:16
	ds_load_2addr_b32 v[30:31], v0 offset0:128 offset1:160
	s_mul_u64 s[14:15], s[30:31], s[28:29]
	s_wait_dscnt 0x3
	v_fma_f32 v17, v26, v18, 0
	s_delay_alu instid0(VALU_DEP_1) | instskip(SKIP_3) | instid1(VALU_DEP_1)
	v_fmac_f32_e32 v17, v27, v19
	ds_load_2addr_b32 v[26:27], v0 offset0:192 offset1:224
	s_wait_dscnt 0x3
	v_fmac_f32_e32 v17, v28, v20
	v_fmac_f32_e32 v17, v29, v21
	ds_load_b128 v[18:21], v10 offset:32
	ds_load_2addr_b32 v[28:29], v13 offset1:32
	s_wait_dscnt 0x3
	v_fmac_f32_e32 v17, v30, v22
	s_delay_alu instid0(VALU_DEP_1) | instskip(SKIP_3) | instid1(VALU_DEP_1)
	v_fmac_f32_e32 v17, v31, v23
	ds_load_2addr_b32 v[30:31], v13 offset0:64 offset1:96
	s_wait_dscnt 0x3
	v_fmac_f32_e32 v17, v26, v24
	v_fmac_f32_e32 v17, v27, v25
	ds_load_b128 v[22:25], v10 offset:48
	ds_load_2addr_b32 v[26:27], v13 offset0:128 offset1:160
	ds_load_2addr_b32 v[32:33], v13 offset0:192 offset1:224
	s_wait_dscnt 0x4
	v_fmac_f32_e32 v17, v28, v18
	s_delay_alu instid0(VALU_DEP_1) | instskip(SKIP_1) | instid1(VALU_DEP_1)
	v_fmac_f32_e32 v17, v29, v19
	s_wait_dscnt 0x3
	v_fmac_f32_e32 v17, v30, v20
	s_delay_alu instid0(VALU_DEP_1)
	v_fmac_f32_e32 v17, v31, v21
	ds_load_2addr_b32 v[30:31], v14 offset1:32
	ds_load_b128 v[18:21], v10 offset:64
	ds_load_2addr_b32 v[34:35], v14 offset0:64 offset1:96
	s_wait_dscnt 0x4
	v_fmac_f32_e32 v17, v26, v22
	s_delay_alu instid0(VALU_DEP_1) | instskip(SKIP_4) | instid1(VALU_DEP_1)
	v_fmac_f32_e32 v17, v27, v23
	ds_load_2addr_b32 v[36:37], v14 offset0:128 offset1:160
	ds_load_b128 v[26:29], v10 offset:80
	s_wait_dscnt 0x5
	v_fmac_f32_e32 v17, v32, v24
	v_fmac_f32_e32 v17, v33, v25
	ds_load_2addr_b32 v[32:33], v14 offset0:192 offset1:224
	s_wait_dscnt 0x4
	v_fmac_f32_e32 v17, v30, v18
	s_delay_alu instid0(VALU_DEP_1)
	v_fmac_f32_e32 v17, v31, v19
	ds_load_2addr_b32 v[30:31], v15 offset1:32
	ds_load_b128 v[22:25], v10 offset:96
	s_wait_dscnt 0x3
	v_pk_mul_f32 v[18:19], v[36:37], v[26:27]
	ds_load_2addr_b32 v[26:27], v15 offset0:64 offset1:96
	v_fmac_f32_e32 v17, v34, v20
	s_delay_alu instid0(VALU_DEP_1) | instskip(SKIP_2) | instid1(VALU_DEP_2)
	v_fmac_f32_e32 v17, v35, v21
	s_wait_dscnt 0x3
	v_pk_mul_f32 v[28:29], v[32:33], v[28:29]
	v_add_f32_e32 v17, v17, v18
	s_delay_alu instid0(VALU_DEP_1)
	v_add_f32_e32 v17, v17, v19
	ds_load_2addr_b32 v[32:33], v15 offset0:128 offset1:160
	ds_load_b128 v[18:21], v10 offset:112
	s_wait_dscnt 0x3
	v_pk_mul_f32 v[22:23], v[30:31], v[22:23]
	s_wait_dscnt 0x2
	v_pk_mul_f32 v[24:25], v[26:27], v[24:25]
	v_add_f32_e32 v17, v17, v28
	s_delay_alu instid0(VALU_DEP_1) | instskip(SKIP_2) | instid1(VALU_DEP_1)
	v_add_f32_e32 v17, v17, v29
	ds_load_2addr_b32 v[28:29], v15 offset0:192 offset1:224
	v_add_f32_e32 v17, v17, v22
	v_add_f32_e32 v17, v17, v23
	s_wait_dscnt 0x1
	v_pk_mul_f32 v[18:19], v[32:33], v[18:19]
	s_delay_alu instid0(VALU_DEP_2) | instskip(NEXT) | instid1(VALU_DEP_1)
	v_add_f32_e32 v17, v17, v24
	v_add_f32_e32 v17, v17, v25
	s_wait_dscnt 0x0
	v_pk_mul_f32 v[20:21], v[28:29], v[20:21]
	s_delay_alu instid0(VALU_DEP_2) | instskip(NEXT) | instid1(VALU_DEP_1)
	v_add_f32_e32 v17, v17, v18
	v_add_f32_e32 v17, v17, v19
	s_delay_alu instid0(VALU_DEP_1) | instskip(NEXT) | instid1(VALU_DEP_1)
	v_add_f32_e32 v17, v17, v20
	v_add_f32_e32 v17, v17, v21
	s_delay_alu instid0(VALU_DEP_1)
	v_mul_f32_e32 v18, v16, v17
	v_lshl_add_u64 v[16:17], s[14:15], 2, v[8:9]
	global_store_b32 v[16:17], v18, off
	s_branch .LBB28_2
.LBB28_19:
	s_endpgm
	.section	.rodata,"a",@progbits
	.p2align	6, 0x0
	.amdhsa_kernel _ZL23rocblas_trmm_lTx_kernelILi32ELb1EfPKfS0_fEv13rocblas_fill_17rocblas_diagonal_iiT2_lPT3_llS6_llPT4_lli
		.amdhsa_group_segment_fixed_size 8192
		.amdhsa_private_segment_fixed_size 0
		.amdhsa_kernarg_size 108
		.amdhsa_user_sgpr_count 2
		.amdhsa_user_sgpr_dispatch_ptr 0
		.amdhsa_user_sgpr_queue_ptr 0
		.amdhsa_user_sgpr_kernarg_segment_ptr 1
		.amdhsa_user_sgpr_dispatch_id 0
		.amdhsa_user_sgpr_kernarg_preload_length 0
		.amdhsa_user_sgpr_kernarg_preload_offset 0
		.amdhsa_user_sgpr_private_segment_size 0
		.amdhsa_wavefront_size32 1
		.amdhsa_uses_dynamic_stack 0
		.amdhsa_enable_private_segment 0
		.amdhsa_system_sgpr_workgroup_id_x 1
		.amdhsa_system_sgpr_workgroup_id_y 0
		.amdhsa_system_sgpr_workgroup_id_z 1
		.amdhsa_system_sgpr_workgroup_info 0
		.amdhsa_system_vgpr_workitem_id 1
		.amdhsa_next_free_vgpr 38
		.amdhsa_next_free_sgpr 36
		.amdhsa_named_barrier_count 0
		.amdhsa_reserve_vcc 1
		.amdhsa_float_round_mode_32 0
		.amdhsa_float_round_mode_16_64 0
		.amdhsa_float_denorm_mode_32 3
		.amdhsa_float_denorm_mode_16_64 3
		.amdhsa_fp16_overflow 0
		.amdhsa_memory_ordered 1
		.amdhsa_forward_progress 1
		.amdhsa_inst_pref_size 11
		.amdhsa_round_robin_scheduling 0
		.amdhsa_exception_fp_ieee_invalid_op 0
		.amdhsa_exception_fp_denorm_src 0
		.amdhsa_exception_fp_ieee_div_zero 0
		.amdhsa_exception_fp_ieee_overflow 0
		.amdhsa_exception_fp_ieee_underflow 0
		.amdhsa_exception_fp_ieee_inexact 0
		.amdhsa_exception_int_div_zero 0
	.end_amdhsa_kernel
	.section	.text._ZL23rocblas_trmm_lTx_kernelILi32ELb1EfPKfS0_fEv13rocblas_fill_17rocblas_diagonal_iiT2_lPT3_llS6_llPT4_lli,"axG",@progbits,_ZL23rocblas_trmm_lTx_kernelILi32ELb1EfPKfS0_fEv13rocblas_fill_17rocblas_diagonal_iiT2_lPT3_llS6_llPT4_lli,comdat
.Lfunc_end28:
	.size	_ZL23rocblas_trmm_lTx_kernelILi32ELb1EfPKfS0_fEv13rocblas_fill_17rocblas_diagonal_iiT2_lPT3_llS6_llPT4_lli, .Lfunc_end28-_ZL23rocblas_trmm_lTx_kernelILi32ELb1EfPKfS0_fEv13rocblas_fill_17rocblas_diagonal_iiT2_lPT3_llS6_llPT4_lli
                                        ; -- End function
	.set _ZL23rocblas_trmm_lTx_kernelILi32ELb1EfPKfS0_fEv13rocblas_fill_17rocblas_diagonal_iiT2_lPT3_llS6_llPT4_lli.num_vgpr, 38
	.set _ZL23rocblas_trmm_lTx_kernelILi32ELb1EfPKfS0_fEv13rocblas_fill_17rocblas_diagonal_iiT2_lPT3_llS6_llPT4_lli.num_agpr, 0
	.set _ZL23rocblas_trmm_lTx_kernelILi32ELb1EfPKfS0_fEv13rocblas_fill_17rocblas_diagonal_iiT2_lPT3_llS6_llPT4_lli.numbered_sgpr, 36
	.set _ZL23rocblas_trmm_lTx_kernelILi32ELb1EfPKfS0_fEv13rocblas_fill_17rocblas_diagonal_iiT2_lPT3_llS6_llPT4_lli.num_named_barrier, 0
	.set _ZL23rocblas_trmm_lTx_kernelILi32ELb1EfPKfS0_fEv13rocblas_fill_17rocblas_diagonal_iiT2_lPT3_llS6_llPT4_lli.private_seg_size, 0
	.set _ZL23rocblas_trmm_lTx_kernelILi32ELb1EfPKfS0_fEv13rocblas_fill_17rocblas_diagonal_iiT2_lPT3_llS6_llPT4_lli.uses_vcc, 1
	.set _ZL23rocblas_trmm_lTx_kernelILi32ELb1EfPKfS0_fEv13rocblas_fill_17rocblas_diagonal_iiT2_lPT3_llS6_llPT4_lli.uses_flat_scratch, 0
	.set _ZL23rocblas_trmm_lTx_kernelILi32ELb1EfPKfS0_fEv13rocblas_fill_17rocblas_diagonal_iiT2_lPT3_llS6_llPT4_lli.has_dyn_sized_stack, 0
	.set _ZL23rocblas_trmm_lTx_kernelILi32ELb1EfPKfS0_fEv13rocblas_fill_17rocblas_diagonal_iiT2_lPT3_llS6_llPT4_lli.has_recursion, 0
	.set _ZL23rocblas_trmm_lTx_kernelILi32ELb1EfPKfS0_fEv13rocblas_fill_17rocblas_diagonal_iiT2_lPT3_llS6_llPT4_lli.has_indirect_call, 0
	.section	.AMDGPU.csdata,"",@progbits
; Kernel info:
; codeLenInByte = 1340
; TotalNumSgprs: 38
; NumVgprs: 38
; ScratchSize: 0
; MemoryBound: 0
; FloatMode: 240
; IeeeMode: 1
; LDSByteSize: 8192 bytes/workgroup (compile time only)
; SGPRBlocks: 0
; VGPRBlocks: 2
; NumSGPRsForWavesPerEU: 38
; NumVGPRsForWavesPerEU: 38
; NamedBarCnt: 0
; Occupancy: 16
; WaveLimiterHint : 0
; COMPUTE_PGM_RSRC2:SCRATCH_EN: 0
; COMPUTE_PGM_RSRC2:USER_SGPR: 2
; COMPUTE_PGM_RSRC2:TRAP_HANDLER: 0
; COMPUTE_PGM_RSRC2:TGID_X_EN: 1
; COMPUTE_PGM_RSRC2:TGID_Y_EN: 0
; COMPUTE_PGM_RSRC2:TGID_Z_EN: 1
; COMPUTE_PGM_RSRC2:TIDIG_COMP_CNT: 1
	.section	.text._ZL23rocblas_trmm_lTx_kernelILi32ELb1EffKffEv13rocblas_fill_17rocblas_diagonal_iiT2_lPT3_llS5_llPT4_lli,"axG",@progbits,_ZL23rocblas_trmm_lTx_kernelILi32ELb1EffKffEv13rocblas_fill_17rocblas_diagonal_iiT2_lPT3_llS5_llPT4_lli,comdat
	.globl	_ZL23rocblas_trmm_lTx_kernelILi32ELb1EffKffEv13rocblas_fill_17rocblas_diagonal_iiT2_lPT3_llS5_llPT4_lli ; -- Begin function _ZL23rocblas_trmm_lTx_kernelILi32ELb1EffKffEv13rocblas_fill_17rocblas_diagonal_iiT2_lPT3_llS5_llPT4_lli
	.p2align	8
	.type	_ZL23rocblas_trmm_lTx_kernelILi32ELb1EffKffEv13rocblas_fill_17rocblas_diagonal_iiT2_lPT3_llS5_llPT4_lli,@function
_ZL23rocblas_trmm_lTx_kernelILi32ELb1EffKffEv13rocblas_fill_17rocblas_diagonal_iiT2_lPT3_llS5_llPT4_lli: ; @_ZL23rocblas_trmm_lTx_kernelILi32ELb1EffKffEv13rocblas_fill_17rocblas_diagonal_iiT2_lPT3_llS5_llPT4_lli
; %bb.0:
	s_load_b32 s3, s[0:1], 0x68
	s_bfe_u32 s2, ttmp6, 0x40014
	s_lshr_b32 s4, ttmp7, 16
	s_add_co_i32 s2, s2, 1
	s_bfe_u32 s6, ttmp6, 0x40008
	s_mul_i32 s5, s4, s2
	s_getreg_b32 s2, hwreg(HW_REG_IB_STS2, 6, 4)
	s_add_co_i32 s6, s6, s5
	s_cmp_eq_u32 s2, 0
	s_mov_b32 s25, 0
	s_cselect_b32 s24, s4, s6
	s_wait_kmcnt 0x0
	s_cmp_ge_u32 s24, s3
	s_cbranch_scc1 .LBB29_19
; %bb.1:
	s_clause 0x2
	s_load_b32 s28, s[0:1], 0x10
	s_load_b512 s[4:19], s[0:1], 0x20
	s_load_b128 s[20:23], s[0:1], 0x0
	v_bfe_u32 v2, v0, 10, 10
	v_and_b32_e32 v12, 0x3ff, v0
	v_mov_b32_e32 v3, 0
	s_load_b64 s[26:27], s[0:1], 0x60
	s_delay_alu instid0(VALU_DEP_2) | instskip(NEXT) | instid1(VALU_DEP_2)
	v_dual_lshlrev_b32 v4, 5, v2 :: v_dual_lshlrev_b32 v0, 2, v12
	v_dual_lshlrev_b32 v13, 2, v2 :: v_dual_mov_b32 v1, v3
	v_lshlrev_b32_e32 v14, 7, v12
	s_delay_alu instid0(VALU_DEP_3)
	v_add_lshl_u32 v10, v4, v12, 2
	v_cmp_eq_u32_e32 vcc_lo, v2, v12
	s_wait_xcnt 0x0
	v_cmp_lt_u32_e64 s0, v12, v2
	v_add_nc_u32_e32 v15, 0xc00, v0
	v_add_nc_u32_e32 v11, 0x1000, v10
	s_wait_kmcnt 0x0
	s_cmp_neq_f32 s28, 0
	v_mul_u64_e32 v[4:5], s[6:7], v[2:3]
	v_mul_u64_e32 v[6:7], s[12:13], v[2:3]
	;; [unrolled: 1-line block ×3, first 2 shown]
	s_cselect_b32 s6, -1, 0
	s_add_co_i32 s1, s23, -1
	s_bfe_u32 s29, ttmp6, 0x4000c
	s_ashr_i32 s30, s1, 31
	s_add_co_i32 s29, s29, 1
	s_lshr_b32 s30, s30, 27
	s_and_b32 s7, ttmp6, 15
	s_mul_i32 s29, ttmp9, s29
	s_add_co_i32 s1, s1, s30
	s_add_co_i32 s7, s7, s29
	s_and_b32 s29, s1, 0xffffffe0
	s_ashr_i32 s30, s1, 5
	s_sub_co_i32 s23, s23, s29
	s_cmp_eq_u32 s2, 0
	v_cmp_gt_i32_e64 s1, s22, v2
	s_cselect_b32 s7, ttmp9, s7
	v_cmp_gt_i32_e64 s2, s22, v12
	s_cmp_ge_i32 s7, s30
	s_cselect_b32 s29, s23, 32
	s_lshl_b32 s22, s7, 5
	s_and_b32 s7, s1, s2
	s_ashr_i32 s23, s22, 31
	v_cmp_gt_i32_e64 s1, s29, v2
	s_mul_u64 s[12:13], s[12:13], s[22:23]
	s_mul_u64 s[18:19], s[18:19], s[22:23]
	s_lshl_b64 s[12:13], s[12:13], 2
	s_lshl_b64 s[18:19], s[18:19], 2
	s_add_nc_u64 s[10:11], s[10:11], s[12:13]
	s_add_nc_u64 s[12:13], s[16:17], s[18:19]
	v_lshl_add_u64 v[4:5], v[4:5], 2, s[4:5]
	v_lshl_add_u64 v[6:7], v[6:7], 2, s[10:11]
	;; [unrolled: 1-line block ×3, first 2 shown]
	s_and_b32 s2, s2, s1
	s_cmp_eq_u32 s21, 0x84
	v_add_nc_u64_e32 v[4:5], v[4:5], v[0:1]
	s_cselect_b32 s1, -1, 0
	v_add_nc_u64_e32 v[6:7], v[6:7], v[0:1]
	v_add_nc_u64_e32 v[8:9], v[8:9], v[0:1]
	s_and_b32 s4, vcc_lo, s1
	v_cmp_gt_u32_e64 s1, v12, v2
	v_lshl_add_u32 v2, v2, 7, 0x1000
	v_dual_mov_b32 v12, 1.0 :: v_dual_add_nc_u32 v1, v13, v14
	v_add_nc_u32_e32 v13, 0x400, v0
	v_add_nc_u32_e32 v14, 0x800, v0
	s_cmp_lg_u32 s20, 0x7a
	s_cselect_b32 s5, -1, 0
	s_branch .LBB29_4
.LBB29_2:                               ;   in Loop: Header=BB29_4 Depth=1
	s_wait_xcnt 0x0
	s_or_b32 exec_lo, exec_lo, s10
.LBB29_3:                               ;   in Loop: Header=BB29_4 Depth=1
	s_add_co_i32 s24, s24, 0x10000
	s_delay_alu instid0(SALU_CYCLE_1)
	s_cmp_lt_u32 s24, s3
	s_cbranch_scc0 .LBB29_19
.LBB29_4:                               ; =>This Inner Loop Header: Depth=1
	s_and_not1_b32 vcc_lo, exec_lo, s6
	s_cbranch_vccnz .LBB29_3
; %bb.5:                                ;   in Loop: Header=BB29_4 Depth=1
	ds_store_b32 v10, v3
	ds_store_b32 v11, v3
	s_wait_dscnt 0x0
	s_barrier_signal -1
	s_barrier_wait -1
	s_and_saveexec_b32 s10, s7
	s_cbranch_execnz .LBB29_11
; %bb.6:                                ;   in Loop: Header=BB29_4 Depth=1
	s_or_b32 exec_lo, exec_lo, s10
	s_and_saveexec_b32 s10, s2
	s_cbranch_execnz .LBB29_12
.LBB29_7:                               ;   in Loop: Header=BB29_4 Depth=1
	s_or_b32 exec_lo, exec_lo, s10
	s_and_saveexec_b32 s10, s4
.LBB29_8:                               ;   in Loop: Header=BB29_4 Depth=1
	ds_store_b32 v10, v12
.LBB29_9:                               ;   in Loop: Header=BB29_4 Depth=1
	s_or_b32 exec_lo, exec_lo, s10
	s_delay_alu instid0(SALU_CYCLE_1)
	s_and_b32 vcc_lo, exec_lo, s5
	s_wait_dscnt 0x0
	s_barrier_signal -1
	s_barrier_wait -1
	s_cbranch_vccz .LBB29_13
; %bb.10:                               ;   in Loop: Header=BB29_4 Depth=1
	s_and_b32 s10, s0, exec_lo
	s_cbranch_execz .LBB29_14
	s_branch .LBB29_15
.LBB29_11:                              ;   in Loop: Header=BB29_4 Depth=1
	s_mul_u64 s[12:13], s[8:9], s[24:25]
	s_delay_alu instid0(SALU_CYCLE_1)
	v_lshl_add_u64 v[16:17], s[12:13], 2, v[4:5]
	global_load_b32 v16, v[16:17], off
	s_wait_loadcnt 0x0
	ds_store_b32 v1, v16
	s_wait_xcnt 0x0
	s_or_b32 exec_lo, exec_lo, s10
	s_and_saveexec_b32 s10, s2
	s_cbranch_execz .LBB29_7
.LBB29_12:                              ;   in Loop: Header=BB29_4 Depth=1
	s_mul_u64 s[12:13], s[14:15], s[24:25]
	s_delay_alu instid0(SALU_CYCLE_1)
	v_lshl_add_u64 v[16:17], s[12:13], 2, v[6:7]
	global_load_b32 v16, v[16:17], off
	s_wait_loadcnt 0x0
	ds_store_b32 v11, v16
	s_wait_xcnt 0x0
	s_or_b32 exec_lo, exec_lo, s10
	s_and_saveexec_b32 s10, s4
	s_cbranch_execnz .LBB29_8
	s_branch .LBB29_9
.LBB29_13:                              ;   in Loop: Header=BB29_4 Depth=1
	s_mov_b32 s10, 0
.LBB29_14:                              ;   in Loop: Header=BB29_4 Depth=1
	s_delay_alu instid0(SALU_CYCLE_1) | instskip(SKIP_1) | instid1(SALU_CYCLE_1)
	s_and_not1_b32 s10, s10, exec_lo
	s_and_b32 s11, s1, exec_lo
	s_or_b32 s10, s10, s11
.LBB29_15:                              ;   in Loop: Header=BB29_4 Depth=1
	s_delay_alu instid0(SALU_CYCLE_1)
	s_and_saveexec_b32 s11, s10
; %bb.16:                               ;   in Loop: Header=BB29_4 Depth=1
	ds_store_b32 v10, v3
; %bb.17:                               ;   in Loop: Header=BB29_4 Depth=1
	s_or_b32 exec_lo, exec_lo, s11
	s_wait_dscnt 0x0
	s_barrier_signal -1
	s_barrier_wait -1
	s_and_saveexec_b32 s10, s2
	s_cbranch_execz .LBB29_2
; %bb.18:                               ;   in Loop: Header=BB29_4 Depth=1
	ds_load_2addr_b32 v[24:25], v0 offset1:32
	ds_load_b128 v[16:19], v2
	ds_load_2addr_b32 v[26:27], v0 offset0:64 offset1:96
	ds_load_b128 v[20:23], v2 offset:16
	ds_load_2addr_b32 v[28:29], v0 offset0:128 offset1:160
	s_mul_u64 s[12:13], s[26:27], s[24:25]
	s_wait_dscnt 0x3
	v_fma_f32 v36, v24, v16, 0
	s_delay_alu instid0(VALU_DEP_1) | instskip(SKIP_3) | instid1(VALU_DEP_1)
	v_fmac_f32_e32 v36, v25, v17
	ds_load_2addr_b32 v[24:25], v0 offset0:192 offset1:224
	s_wait_dscnt 0x3
	v_fmac_f32_e32 v36, v26, v18
	v_fmac_f32_e32 v36, v27, v19
	ds_load_b128 v[16:19], v2 offset:32
	ds_load_2addr_b32 v[26:27], v13 offset1:32
	s_wait_dscnt 0x3
	v_fmac_f32_e32 v36, v28, v20
	s_delay_alu instid0(VALU_DEP_1) | instskip(SKIP_3) | instid1(VALU_DEP_1)
	v_fmac_f32_e32 v36, v29, v21
	ds_load_2addr_b32 v[28:29], v13 offset0:64 offset1:96
	s_wait_dscnt 0x3
	v_fmac_f32_e32 v36, v24, v22
	v_fmac_f32_e32 v36, v25, v23
	ds_load_b128 v[20:23], v2 offset:48
	ds_load_2addr_b32 v[24:25], v13 offset0:128 offset1:160
	ds_load_2addr_b32 v[30:31], v13 offset0:192 offset1:224
	s_wait_dscnt 0x4
	v_fmac_f32_e32 v36, v26, v16
	s_delay_alu instid0(VALU_DEP_1) | instskip(SKIP_1) | instid1(VALU_DEP_1)
	v_fmac_f32_e32 v36, v27, v17
	s_wait_dscnt 0x3
	v_fmac_f32_e32 v36, v28, v18
	s_delay_alu instid0(VALU_DEP_1)
	v_fmac_f32_e32 v36, v29, v19
	ds_load_2addr_b32 v[28:29], v14 offset1:32
	ds_load_b128 v[16:19], v2 offset:64
	ds_load_2addr_b32 v[32:33], v14 offset0:64 offset1:96
	s_wait_dscnt 0x4
	v_fmac_f32_e32 v36, v24, v20
	s_delay_alu instid0(VALU_DEP_1) | instskip(SKIP_4) | instid1(VALU_DEP_1)
	v_fmac_f32_e32 v36, v25, v21
	ds_load_2addr_b32 v[34:35], v14 offset0:128 offset1:160
	ds_load_b128 v[24:27], v2 offset:80
	s_wait_dscnt 0x5
	v_fmac_f32_e32 v36, v30, v22
	v_fmac_f32_e32 v36, v31, v23
	ds_load_2addr_b32 v[30:31], v14 offset0:192 offset1:224
	s_wait_dscnt 0x4
	v_fmac_f32_e32 v36, v28, v16
	s_delay_alu instid0(VALU_DEP_1)
	v_fmac_f32_e32 v36, v29, v17
	ds_load_2addr_b32 v[28:29], v15 offset1:32
	ds_load_b128 v[20:23], v2 offset:96
	s_wait_dscnt 0x3
	v_pk_mul_f32 v[16:17], v[34:35], v[24:25]
	ds_load_2addr_b32 v[24:25], v15 offset0:64 offset1:96
	v_fmac_f32_e32 v36, v32, v18
	s_delay_alu instid0(VALU_DEP_1) | instskip(SKIP_2) | instid1(VALU_DEP_2)
	v_fmac_f32_e32 v36, v33, v19
	s_wait_dscnt 0x3
	v_pk_mul_f32 v[26:27], v[30:31], v[26:27]
	v_add_f32_e32 v16, v36, v16
	s_delay_alu instid0(VALU_DEP_1)
	v_add_f32_e32 v16, v16, v17
	s_wait_dscnt 0x1
	v_pk_mul_f32 v[20:21], v[28:29], v[20:21]
	s_wait_dscnt 0x0
	v_pk_mul_f32 v[22:23], v[24:25], v[22:23]
	v_add_f32_e32 v26, v16, v26
	ds_load_2addr_b32 v[30:31], v15 offset0:128 offset1:160
	ds_load_b128 v[16:19], v2 offset:112
	v_add_f32_e32 v26, v26, v27
	s_delay_alu instid0(VALU_DEP_1) | instskip(SKIP_2) | instid1(VALU_DEP_1)
	v_add_f32_e32 v20, v26, v20
	ds_load_2addr_b32 v[26:27], v15 offset0:192 offset1:224
	v_add_f32_e32 v20, v20, v21
	v_add_f32_e32 v20, v20, v22
	s_wait_dscnt 0x1
	v_pk_mul_f32 v[16:17], v[30:31], v[16:17]
	s_delay_alu instid0(VALU_DEP_2) | instskip(NEXT) | instid1(VALU_DEP_1)
	v_add_f32_e32 v20, v20, v23
	v_add_f32_e32 v16, v20, v16
	s_wait_dscnt 0x0
	v_pk_mul_f32 v[18:19], v[26:27], v[18:19]
	s_delay_alu instid0(VALU_DEP_2) | instskip(NEXT) | instid1(VALU_DEP_1)
	v_add_f32_e32 v16, v16, v17
	v_add_f32_e32 v16, v16, v18
	s_delay_alu instid0(VALU_DEP_1) | instskip(NEXT) | instid1(VALU_DEP_1)
	v_add_f32_e32 v16, v16, v19
	v_mul_f32_e32 v18, s28, v16
	v_lshl_add_u64 v[16:17], s[12:13], 2, v[8:9]
	global_store_b32 v[16:17], v18, off
	s_branch .LBB29_2
.LBB29_19:
	s_endpgm
	.section	.rodata,"a",@progbits
	.p2align	6, 0x0
	.amdhsa_kernel _ZL23rocblas_trmm_lTx_kernelILi32ELb1EffKffEv13rocblas_fill_17rocblas_diagonal_iiT2_lPT3_llS5_llPT4_lli
		.amdhsa_group_segment_fixed_size 8192
		.amdhsa_private_segment_fixed_size 0
		.amdhsa_kernarg_size 108
		.amdhsa_user_sgpr_count 2
		.amdhsa_user_sgpr_dispatch_ptr 0
		.amdhsa_user_sgpr_queue_ptr 0
		.amdhsa_user_sgpr_kernarg_segment_ptr 1
		.amdhsa_user_sgpr_dispatch_id 0
		.amdhsa_user_sgpr_kernarg_preload_length 0
		.amdhsa_user_sgpr_kernarg_preload_offset 0
		.amdhsa_user_sgpr_private_segment_size 0
		.amdhsa_wavefront_size32 1
		.amdhsa_uses_dynamic_stack 0
		.amdhsa_enable_private_segment 0
		.amdhsa_system_sgpr_workgroup_id_x 1
		.amdhsa_system_sgpr_workgroup_id_y 0
		.amdhsa_system_sgpr_workgroup_id_z 1
		.amdhsa_system_sgpr_workgroup_info 0
		.amdhsa_system_vgpr_workitem_id 1
		.amdhsa_next_free_vgpr 37
		.amdhsa_next_free_sgpr 31
		.amdhsa_named_barrier_count 0
		.amdhsa_reserve_vcc 1
		.amdhsa_float_round_mode_32 0
		.amdhsa_float_round_mode_16_64 0
		.amdhsa_float_denorm_mode_32 3
		.amdhsa_float_denorm_mode_16_64 3
		.amdhsa_fp16_overflow 0
		.amdhsa_memory_ordered 1
		.amdhsa_forward_progress 1
		.amdhsa_inst_pref_size 11
		.amdhsa_round_robin_scheduling 0
		.amdhsa_exception_fp_ieee_invalid_op 0
		.amdhsa_exception_fp_denorm_src 0
		.amdhsa_exception_fp_ieee_div_zero 0
		.amdhsa_exception_fp_ieee_overflow 0
		.amdhsa_exception_fp_ieee_underflow 0
		.amdhsa_exception_fp_ieee_inexact 0
		.amdhsa_exception_int_div_zero 0
	.end_amdhsa_kernel
	.section	.text._ZL23rocblas_trmm_lTx_kernelILi32ELb1EffKffEv13rocblas_fill_17rocblas_diagonal_iiT2_lPT3_llS5_llPT4_lli,"axG",@progbits,_ZL23rocblas_trmm_lTx_kernelILi32ELb1EffKffEv13rocblas_fill_17rocblas_diagonal_iiT2_lPT3_llS5_llPT4_lli,comdat
.Lfunc_end29:
	.size	_ZL23rocblas_trmm_lTx_kernelILi32ELb1EffKffEv13rocblas_fill_17rocblas_diagonal_iiT2_lPT3_llS5_llPT4_lli, .Lfunc_end29-_ZL23rocblas_trmm_lTx_kernelILi32ELb1EffKffEv13rocblas_fill_17rocblas_diagonal_iiT2_lPT3_llS5_llPT4_lli
                                        ; -- End function
	.set _ZL23rocblas_trmm_lTx_kernelILi32ELb1EffKffEv13rocblas_fill_17rocblas_diagonal_iiT2_lPT3_llS5_llPT4_lli.num_vgpr, 37
	.set _ZL23rocblas_trmm_lTx_kernelILi32ELb1EffKffEv13rocblas_fill_17rocblas_diagonal_iiT2_lPT3_llS5_llPT4_lli.num_agpr, 0
	.set _ZL23rocblas_trmm_lTx_kernelILi32ELb1EffKffEv13rocblas_fill_17rocblas_diagonal_iiT2_lPT3_llS5_llPT4_lli.numbered_sgpr, 31
	.set _ZL23rocblas_trmm_lTx_kernelILi32ELb1EffKffEv13rocblas_fill_17rocblas_diagonal_iiT2_lPT3_llS5_llPT4_lli.num_named_barrier, 0
	.set _ZL23rocblas_trmm_lTx_kernelILi32ELb1EffKffEv13rocblas_fill_17rocblas_diagonal_iiT2_lPT3_llS5_llPT4_lli.private_seg_size, 0
	.set _ZL23rocblas_trmm_lTx_kernelILi32ELb1EffKffEv13rocblas_fill_17rocblas_diagonal_iiT2_lPT3_llS5_llPT4_lli.uses_vcc, 1
	.set _ZL23rocblas_trmm_lTx_kernelILi32ELb1EffKffEv13rocblas_fill_17rocblas_diagonal_iiT2_lPT3_llS5_llPT4_lli.uses_flat_scratch, 0
	.set _ZL23rocblas_trmm_lTx_kernelILi32ELb1EffKffEv13rocblas_fill_17rocblas_diagonal_iiT2_lPT3_llS5_llPT4_lli.has_dyn_sized_stack, 0
	.set _ZL23rocblas_trmm_lTx_kernelILi32ELb1EffKffEv13rocblas_fill_17rocblas_diagonal_iiT2_lPT3_llS5_llPT4_lli.has_recursion, 0
	.set _ZL23rocblas_trmm_lTx_kernelILi32ELb1EffKffEv13rocblas_fill_17rocblas_diagonal_iiT2_lPT3_llS5_llPT4_lli.has_indirect_call, 0
	.section	.AMDGPU.csdata,"",@progbits
; Kernel info:
; codeLenInByte = 1304
; TotalNumSgprs: 33
; NumVgprs: 37
; ScratchSize: 0
; MemoryBound: 0
; FloatMode: 240
; IeeeMode: 1
; LDSByteSize: 8192 bytes/workgroup (compile time only)
; SGPRBlocks: 0
; VGPRBlocks: 2
; NumSGPRsForWavesPerEU: 33
; NumVGPRsForWavesPerEU: 37
; NamedBarCnt: 0
; Occupancy: 16
; WaveLimiterHint : 0
; COMPUTE_PGM_RSRC2:SCRATCH_EN: 0
; COMPUTE_PGM_RSRC2:USER_SGPR: 2
; COMPUTE_PGM_RSRC2:TRAP_HANDLER: 0
; COMPUTE_PGM_RSRC2:TGID_X_EN: 1
; COMPUTE_PGM_RSRC2:TGID_Y_EN: 0
; COMPUTE_PGM_RSRC2:TGID_Z_EN: 1
; COMPUTE_PGM_RSRC2:TIDIG_COMP_CNT: 1
	.section	.text._ZL23rocblas_trmm_rNx_kernelILi32EfPKfS0_fEv13rocblas_fill_17rocblas_diagonal_iiT1_lPT2_llS6_llPT3_lli,"axG",@progbits,_ZL23rocblas_trmm_rNx_kernelILi32EfPKfS0_fEv13rocblas_fill_17rocblas_diagonal_iiT1_lPT2_llS6_llPT3_lli,comdat
	.globl	_ZL23rocblas_trmm_rNx_kernelILi32EfPKfS0_fEv13rocblas_fill_17rocblas_diagonal_iiT1_lPT2_llS6_llPT3_lli ; -- Begin function _ZL23rocblas_trmm_rNx_kernelILi32EfPKfS0_fEv13rocblas_fill_17rocblas_diagonal_iiT1_lPT2_llS6_llPT3_lli
	.p2align	8
	.type	_ZL23rocblas_trmm_rNx_kernelILi32EfPKfS0_fEv13rocblas_fill_17rocblas_diagonal_iiT1_lPT2_llS6_llPT3_lli,@function
_ZL23rocblas_trmm_rNx_kernelILi32EfPKfS0_fEv13rocblas_fill_17rocblas_diagonal_iiT1_lPT2_llS6_llPT3_lli: ; @_ZL23rocblas_trmm_rNx_kernelILi32EfPKfS0_fEv13rocblas_fill_17rocblas_diagonal_iiT1_lPT2_llS6_llPT3_lli
; %bb.0:
	s_load_b32 s5, s[0:1], 0x68
	s_bfe_u32 s2, ttmp6, 0x40014
	s_lshr_b32 s3, ttmp7, 16
	s_add_co_i32 s2, s2, 1
	s_bfe_u32 s6, ttmp6, 0x40008
	s_mul_i32 s4, s3, s2
	s_getreg_b32 s2, hwreg(HW_REG_IB_STS2, 6, 4)
	s_add_co_i32 s6, s6, s4
	s_cmp_eq_u32 s2, 0
	s_mov_b32 s7, 0
	s_cselect_b32 s6, s3, s6
	s_wait_kmcnt 0x0
	s_cmp_ge_u32 s6, s5
	s_cbranch_scc1 .LBB30_19
; %bb.1:
	s_clause 0x3
	s_load_b128 s[24:27], s[0:1], 0x0
	s_load_b512 s[8:23], s[0:1], 0x10
	s_load_b128 s[28:31], s[0:1], 0x50
	s_load_b64 s[34:35], s[0:1], 0x60
	v_bfe_u32 v2, v0, 10, 10
	v_dual_mov_b32 v3, 0 :: v_dual_mov_b32 v8, 1.0
	s_wait_xcnt 0x0
	s_bfe_u32 s0, ttmp6, 0x4000c
	s_and_b32 s3, ttmp6, 15
	s_add_co_i32 s0, s0, 1
	v_and_b32_e32 v0, 0x3ff, v0
	s_mul_i32 s4, ttmp9, s0
	v_dual_lshlrev_b32 v11, 5, v2 :: v_dual_mov_b32 v1, v3
	s_add_co_i32 s3, s3, s4
	s_delay_alu instid0(VALU_DEP_2)
	v_cmp_eq_u32_e32 vcc_lo, v2, v0
	v_cmp_lt_u32_e64 s0, v0, v2
	v_cmp_gt_u32_e64 s1, v0, v2
	v_lshlrev_b64_e32 v[14:15], 2, v[0:1]
	v_lshl_add_u32 v9, v0, 2, 0x1000
	s_wait_kmcnt 0x0
	s_add_co_i32 s33, s26, -1
	v_mul_u64_e32 v[4:5], s[14:15], v[2:3]
	v_mul_u64_e32 v[6:7], s[20:21], v[2:3]
	;; [unrolled: 1-line block ×3, first 2 shown]
	s_ashr_i32 s14, s33, 31
	v_add_lshl_u32 v11, v11, v0, 2
	s_lshr_b32 s14, s14, 27
	v_lshlrev_b32_e32 v10, 7, v2
	s_add_co_i32 s14, s33, s14
	s_delay_alu instid0(SALU_CYCLE_1)
	s_and_b32 s4, s14, 0xffffffe0
	s_ashr_i32 s14, s14, 5
	s_sub_co_i32 s4, s26, s4
	s_cmp_eq_u32 s2, 0
	v_cmp_gt_i32_e64 s2, s27, v2
	s_cselect_b32 s3, ttmp9, s3
	v_add_nc_u32_e32 v2, 0x1000, v11
	s_cmp_ge_i32 s3, s14
	s_cselect_b32 s4, s4, 32
	s_lshl_b32 s14, s3, 5
	v_cmp_gt_i32_e64 s3, s27, v0
	s_ashr_i32 s15, s14, 31
	v_cmp_gt_i32_e64 s4, s4, v0
	s_lshl_b64 s[14:15], s[14:15], 2
	s_delay_alu instid0(SALU_CYCLE_1)
	s_add_nc_u64 s[18:19], s[18:19], s[14:15]
	s_add_nc_u64 s[14:15], s[28:29], s[14:15]
	s_and_b32 s3, s2, s3
	s_and_b32 s2, s2, s4
	s_cmp_eq_u32 s25, 0x84
	s_cselect_b32 s4, -1, 0
	v_lshl_add_u64 v[0:1], v[4:5], 2, s[12:13]
	v_lshl_add_u64 v[4:5], v[6:7], 2, s[18:19]
	v_lshl_add_u64 v[6:7], v[12:13], 2, s[14:15]
	s_and_b32 s4, vcc_lo, s4
	v_add_nc_u32_e32 v12, 0x400, v9
	v_add_nc_u64_e32 v[0:1], v[0:1], v[14:15]
	v_add_nc_u64_e32 v[4:5], v[4:5], v[14:15]
	;; [unrolled: 1-line block ×3, first 2 shown]
	v_add_nc_u32_e32 v13, 0x800, v9
	v_add_nc_u32_e32 v14, 0xc00, v9
	s_cmp_lg_u32 s24, 0x79
	s_cselect_b32 s12, -1, 0
	s_branch .LBB30_4
.LBB30_2:                               ;   in Loop: Header=BB30_4 Depth=1
	s_wait_xcnt 0x0
	s_or_b32 exec_lo, exec_lo, s13
.LBB30_3:                               ;   in Loop: Header=BB30_4 Depth=1
	s_add_co_i32 s6, s6, 0x10000
	s_delay_alu instid0(SALU_CYCLE_1)
	s_cmp_lt_u32 s6, s5
	s_cbranch_scc0 .LBB30_19
.LBB30_4:                               ; =>This Inner Loop Header: Depth=1
	s_wait_xcnt 0x0
	s_mul_u64 s[14:15], s[10:11], s[6:7]
	s_delay_alu instid0(SALU_CYCLE_1) | instskip(NEXT) | instid1(SALU_CYCLE_1)
	s_lshl_b64 s[14:15], s[14:15], 2
	s_add_nc_u64 s[14:15], s[8:9], s[14:15]
	global_load_b32 v15, v3, s[14:15]
	s_wait_loadcnt 0x0
	v_cmp_eq_f32_e32 vcc_lo, 0, v15
	s_cbranch_vccnz .LBB30_3
; %bb.5:                                ;   in Loop: Header=BB30_4 Depth=1
	ds_store_b32 v11, v3
	ds_store_b32 v2, v3
	s_wait_xcnt 0x0
	s_and_saveexec_b32 s13, s3
	s_cbranch_execnz .LBB30_10
; %bb.6:                                ;   in Loop: Header=BB30_4 Depth=1
	s_or_b32 exec_lo, exec_lo, s13
	s_and_saveexec_b32 s13, s2
	s_cbranch_execnz .LBB30_11
.LBB30_7:                               ;   in Loop: Header=BB30_4 Depth=1
	s_or_b32 exec_lo, exec_lo, s13
	s_and_saveexec_b32 s13, s4
	s_cbranch_execnz .LBB30_12
.LBB30_8:                               ;   in Loop: Header=BB30_4 Depth=1
	s_or_b32 exec_lo, exec_lo, s13
	s_delay_alu instid0(SALU_CYCLE_1)
	s_and_b32 vcc_lo, exec_lo, s12
	s_cbranch_vccz .LBB30_13
.LBB30_9:                               ;   in Loop: Header=BB30_4 Depth=1
	s_and_b32 s13, s0, exec_lo
	s_cbranch_execz .LBB30_14
	s_branch .LBB30_15
.LBB30_10:                              ;   in Loop: Header=BB30_4 Depth=1
	s_mul_u64 s[14:15], s[16:17], s[6:7]
	s_delay_alu instid0(SALU_CYCLE_1)
	v_lshl_add_u64 v[16:17], s[14:15], 2, v[0:1]
	global_load_b32 v16, v[16:17], off
	s_wait_loadcnt 0x0
	ds_store_b32 v11, v16
	s_wait_xcnt 0x0
	s_or_b32 exec_lo, exec_lo, s13
	s_and_saveexec_b32 s13, s2
	s_cbranch_execz .LBB30_7
.LBB30_11:                              ;   in Loop: Header=BB30_4 Depth=1
	s_mul_u64 s[14:15], s[22:23], s[6:7]
	s_delay_alu instid0(SALU_CYCLE_1)
	v_lshl_add_u64 v[16:17], s[14:15], 2, v[4:5]
	global_load_b32 v16, v[16:17], off
	s_wait_loadcnt 0x0
	ds_store_b32 v2, v16
	s_wait_xcnt 0x0
	s_or_b32 exec_lo, exec_lo, s13
	s_and_saveexec_b32 s13, s4
	s_cbranch_execz .LBB30_8
.LBB30_12:                              ;   in Loop: Header=BB30_4 Depth=1
	ds_store_b32 v11, v8
	s_or_b32 exec_lo, exec_lo, s13
	s_delay_alu instid0(SALU_CYCLE_1)
	s_and_b32 vcc_lo, exec_lo, s12
	s_cbranch_vccnz .LBB30_9
.LBB30_13:                              ;   in Loop: Header=BB30_4 Depth=1
	s_mov_b32 s13, 0
.LBB30_14:                              ;   in Loop: Header=BB30_4 Depth=1
	s_delay_alu instid0(SALU_CYCLE_1) | instskip(SKIP_1) | instid1(SALU_CYCLE_1)
	s_and_not1_b32 s13, s13, exec_lo
	s_and_b32 s14, s1, exec_lo
	s_or_b32 s13, s13, s14
.LBB30_15:                              ;   in Loop: Header=BB30_4 Depth=1
	s_delay_alu instid0(SALU_CYCLE_1)
	s_and_saveexec_b32 s14, s13
; %bb.16:                               ;   in Loop: Header=BB30_4 Depth=1
	ds_store_b32 v11, v3
; %bb.17:                               ;   in Loop: Header=BB30_4 Depth=1
	s_or_b32 exec_lo, exec_lo, s14
	s_wait_dscnt 0x0
	s_barrier_signal -1
	s_barrier_wait -1
	s_and_saveexec_b32 s13, s2
	s_cbranch_execz .LBB30_2
; %bb.18:                               ;   in Loop: Header=BB30_4 Depth=1
	ds_load_2addr_b32 v[24:25], v9 offset1:32
	ds_load_b128 v[16:19], v10
	ds_load_2addr_b32 v[26:27], v9 offset0:64 offset1:96
	ds_load_b128 v[20:23], v10 offset:16
	ds_load_2addr_b32 v[28:29], v9 offset0:128 offset1:160
	s_mul_u64 s[14:15], s[34:35], s[6:7]
	s_wait_dscnt 0x3
	v_fma_f32 v36, v24, v16, 0
	s_delay_alu instid0(VALU_DEP_1) | instskip(SKIP_3) | instid1(VALU_DEP_1)
	v_fmac_f32_e32 v36, v25, v17
	ds_load_2addr_b32 v[24:25], v9 offset0:192 offset1:224
	s_wait_dscnt 0x3
	v_fmac_f32_e32 v36, v26, v18
	v_fmac_f32_e32 v36, v27, v19
	ds_load_b128 v[16:19], v10 offset:32
	ds_load_2addr_b32 v[26:27], v12 offset1:32
	s_wait_dscnt 0x3
	v_fmac_f32_e32 v36, v28, v20
	s_delay_alu instid0(VALU_DEP_1) | instskip(SKIP_3) | instid1(VALU_DEP_1)
	v_fmac_f32_e32 v36, v29, v21
	ds_load_2addr_b32 v[28:29], v12 offset0:64 offset1:96
	s_wait_dscnt 0x3
	v_fmac_f32_e32 v36, v24, v22
	v_fmac_f32_e32 v36, v25, v23
	ds_load_b128 v[20:23], v10 offset:48
	ds_load_2addr_b32 v[24:25], v12 offset0:128 offset1:160
	ds_load_2addr_b32 v[30:31], v12 offset0:192 offset1:224
	s_wait_dscnt 0x4
	v_fmac_f32_e32 v36, v26, v16
	s_delay_alu instid0(VALU_DEP_1) | instskip(SKIP_1) | instid1(VALU_DEP_1)
	v_fmac_f32_e32 v36, v27, v17
	s_wait_dscnt 0x3
	v_fmac_f32_e32 v36, v28, v18
	s_delay_alu instid0(VALU_DEP_1)
	v_fmac_f32_e32 v36, v29, v19
	ds_load_2addr_b32 v[28:29], v13 offset1:32
	ds_load_b128 v[16:19], v10 offset:64
	ds_load_2addr_b32 v[32:33], v13 offset0:64 offset1:96
	s_wait_dscnt 0x4
	v_fmac_f32_e32 v36, v24, v20
	s_delay_alu instid0(VALU_DEP_1) | instskip(SKIP_4) | instid1(VALU_DEP_1)
	v_fmac_f32_e32 v36, v25, v21
	ds_load_2addr_b32 v[34:35], v13 offset0:128 offset1:160
	ds_load_b128 v[24:27], v10 offset:80
	s_wait_dscnt 0x5
	v_fmac_f32_e32 v36, v30, v22
	v_fmac_f32_e32 v36, v31, v23
	ds_load_2addr_b32 v[30:31], v13 offset0:192 offset1:224
	s_wait_dscnt 0x4
	v_fmac_f32_e32 v36, v28, v16
	s_delay_alu instid0(VALU_DEP_1)
	v_fmac_f32_e32 v36, v29, v17
	ds_load_2addr_b32 v[28:29], v14 offset1:32
	ds_load_b128 v[20:23], v10 offset:96
	s_wait_dscnt 0x3
	v_pk_mul_f32 v[16:17], v[34:35], v[24:25]
	ds_load_2addr_b32 v[24:25], v14 offset0:64 offset1:96
	v_fmac_f32_e32 v36, v32, v18
	s_delay_alu instid0(VALU_DEP_1) | instskip(SKIP_2) | instid1(VALU_DEP_2)
	v_fmac_f32_e32 v36, v33, v19
	s_wait_dscnt 0x3
	v_pk_mul_f32 v[26:27], v[30:31], v[26:27]
	v_add_f32_e32 v16, v36, v16
	s_delay_alu instid0(VALU_DEP_1)
	v_add_f32_e32 v16, v16, v17
	s_wait_dscnt 0x1
	v_pk_mul_f32 v[20:21], v[28:29], v[20:21]
	s_wait_dscnt 0x0
	v_pk_mul_f32 v[22:23], v[24:25], v[22:23]
	v_add_f32_e32 v26, v16, v26
	ds_load_2addr_b32 v[30:31], v14 offset0:128 offset1:160
	ds_load_b128 v[16:19], v10 offset:112
	v_add_f32_e32 v26, v26, v27
	s_delay_alu instid0(VALU_DEP_1) | instskip(SKIP_2) | instid1(VALU_DEP_1)
	v_add_f32_e32 v20, v26, v20
	ds_load_2addr_b32 v[26:27], v14 offset0:192 offset1:224
	v_add_f32_e32 v20, v20, v21
	v_add_f32_e32 v20, v20, v22
	s_wait_dscnt 0x1
	v_pk_mul_f32 v[16:17], v[30:31], v[16:17]
	s_delay_alu instid0(VALU_DEP_2) | instskip(NEXT) | instid1(VALU_DEP_1)
	v_add_f32_e32 v20, v20, v23
	v_add_f32_e32 v16, v20, v16
	s_wait_dscnt 0x0
	v_pk_mul_f32 v[18:19], v[26:27], v[18:19]
	s_delay_alu instid0(VALU_DEP_2) | instskip(NEXT) | instid1(VALU_DEP_1)
	v_add_f32_e32 v16, v16, v17
	v_add_f32_e32 v16, v16, v18
	s_delay_alu instid0(VALU_DEP_1) | instskip(NEXT) | instid1(VALU_DEP_1)
	v_add_f32_e32 v16, v16, v19
	v_mul_f32_e32 v15, v15, v16
	v_lshl_add_u64 v[16:17], s[14:15], 2, v[6:7]
	global_store_b32 v[16:17], v15, off
	s_branch .LBB30_2
.LBB30_19:
	s_endpgm
	.section	.rodata,"a",@progbits
	.p2align	6, 0x0
	.amdhsa_kernel _ZL23rocblas_trmm_rNx_kernelILi32EfPKfS0_fEv13rocblas_fill_17rocblas_diagonal_iiT1_lPT2_llS6_llPT3_lli
		.amdhsa_group_segment_fixed_size 8192
		.amdhsa_private_segment_fixed_size 0
		.amdhsa_kernarg_size 108
		.amdhsa_user_sgpr_count 2
		.amdhsa_user_sgpr_dispatch_ptr 0
		.amdhsa_user_sgpr_queue_ptr 0
		.amdhsa_user_sgpr_kernarg_segment_ptr 1
		.amdhsa_user_sgpr_dispatch_id 0
		.amdhsa_user_sgpr_kernarg_preload_length 0
		.amdhsa_user_sgpr_kernarg_preload_offset 0
		.amdhsa_user_sgpr_private_segment_size 0
		.amdhsa_wavefront_size32 1
		.amdhsa_uses_dynamic_stack 0
		.amdhsa_enable_private_segment 0
		.amdhsa_system_sgpr_workgroup_id_x 1
		.amdhsa_system_sgpr_workgroup_id_y 0
		.amdhsa_system_sgpr_workgroup_id_z 1
		.amdhsa_system_sgpr_workgroup_info 0
		.amdhsa_system_vgpr_workitem_id 1
		.amdhsa_next_free_vgpr 37
		.amdhsa_next_free_sgpr 36
		.amdhsa_named_barrier_count 0
		.amdhsa_reserve_vcc 1
		.amdhsa_float_round_mode_32 0
		.amdhsa_float_round_mode_16_64 0
		.amdhsa_float_denorm_mode_32 3
		.amdhsa_float_denorm_mode_16_64 3
		.amdhsa_fp16_overflow 0
		.amdhsa_memory_ordered 1
		.amdhsa_forward_progress 1
		.amdhsa_inst_pref_size 11
		.amdhsa_round_robin_scheduling 0
		.amdhsa_exception_fp_ieee_invalid_op 0
		.amdhsa_exception_fp_denorm_src 0
		.amdhsa_exception_fp_ieee_div_zero 0
		.amdhsa_exception_fp_ieee_overflow 0
		.amdhsa_exception_fp_ieee_underflow 0
		.amdhsa_exception_fp_ieee_inexact 0
		.amdhsa_exception_int_div_zero 0
	.end_amdhsa_kernel
	.section	.text._ZL23rocblas_trmm_rNx_kernelILi32EfPKfS0_fEv13rocblas_fill_17rocblas_diagonal_iiT1_lPT2_llS6_llPT3_lli,"axG",@progbits,_ZL23rocblas_trmm_rNx_kernelILi32EfPKfS0_fEv13rocblas_fill_17rocblas_diagonal_iiT1_lPT2_llS6_llPT3_lli,comdat
.Lfunc_end30:
	.size	_ZL23rocblas_trmm_rNx_kernelILi32EfPKfS0_fEv13rocblas_fill_17rocblas_diagonal_iiT1_lPT2_llS6_llPT3_lli, .Lfunc_end30-_ZL23rocblas_trmm_rNx_kernelILi32EfPKfS0_fEv13rocblas_fill_17rocblas_diagonal_iiT1_lPT2_llS6_llPT3_lli
                                        ; -- End function
	.set _ZL23rocblas_trmm_rNx_kernelILi32EfPKfS0_fEv13rocblas_fill_17rocblas_diagonal_iiT1_lPT2_llS6_llPT3_lli.num_vgpr, 37
	.set _ZL23rocblas_trmm_rNx_kernelILi32EfPKfS0_fEv13rocblas_fill_17rocblas_diagonal_iiT1_lPT2_llS6_llPT3_lli.num_agpr, 0
	.set _ZL23rocblas_trmm_rNx_kernelILi32EfPKfS0_fEv13rocblas_fill_17rocblas_diagonal_iiT1_lPT2_llS6_llPT3_lli.numbered_sgpr, 36
	.set _ZL23rocblas_trmm_rNx_kernelILi32EfPKfS0_fEv13rocblas_fill_17rocblas_diagonal_iiT1_lPT2_llS6_llPT3_lli.num_named_barrier, 0
	.set _ZL23rocblas_trmm_rNx_kernelILi32EfPKfS0_fEv13rocblas_fill_17rocblas_diagonal_iiT1_lPT2_llS6_llPT3_lli.private_seg_size, 0
	.set _ZL23rocblas_trmm_rNx_kernelILi32EfPKfS0_fEv13rocblas_fill_17rocblas_diagonal_iiT1_lPT2_llS6_llPT3_lli.uses_vcc, 1
	.set _ZL23rocblas_trmm_rNx_kernelILi32EfPKfS0_fEv13rocblas_fill_17rocblas_diagonal_iiT1_lPT2_llS6_llPT3_lli.uses_flat_scratch, 0
	.set _ZL23rocblas_trmm_rNx_kernelILi32EfPKfS0_fEv13rocblas_fill_17rocblas_diagonal_iiT1_lPT2_llS6_llPT3_lli.has_dyn_sized_stack, 0
	.set _ZL23rocblas_trmm_rNx_kernelILi32EfPKfS0_fEv13rocblas_fill_17rocblas_diagonal_iiT1_lPT2_llS6_llPT3_lli.has_recursion, 0
	.set _ZL23rocblas_trmm_rNx_kernelILi32EfPKfS0_fEv13rocblas_fill_17rocblas_diagonal_iiT1_lPT2_llS6_llPT3_lli.has_indirect_call, 0
	.section	.AMDGPU.csdata,"",@progbits
; Kernel info:
; codeLenInByte = 1308
; TotalNumSgprs: 38
; NumVgprs: 37
; ScratchSize: 0
; MemoryBound: 0
; FloatMode: 240
; IeeeMode: 1
; LDSByteSize: 8192 bytes/workgroup (compile time only)
; SGPRBlocks: 0
; VGPRBlocks: 2
; NumSGPRsForWavesPerEU: 38
; NumVGPRsForWavesPerEU: 37
; NamedBarCnt: 0
; Occupancy: 16
; WaveLimiterHint : 0
; COMPUTE_PGM_RSRC2:SCRATCH_EN: 0
; COMPUTE_PGM_RSRC2:USER_SGPR: 2
; COMPUTE_PGM_RSRC2:TRAP_HANDLER: 0
; COMPUTE_PGM_RSRC2:TGID_X_EN: 1
; COMPUTE_PGM_RSRC2:TGID_Y_EN: 0
; COMPUTE_PGM_RSRC2:TGID_Z_EN: 1
; COMPUTE_PGM_RSRC2:TIDIG_COMP_CNT: 1
	.section	.text._ZL23rocblas_trmm_rNx_kernelILi32EffKffEv13rocblas_fill_17rocblas_diagonal_iiT1_lPT2_llS5_llPT3_lli,"axG",@progbits,_ZL23rocblas_trmm_rNx_kernelILi32EffKffEv13rocblas_fill_17rocblas_diagonal_iiT1_lPT2_llS5_llPT3_lli,comdat
	.globl	_ZL23rocblas_trmm_rNx_kernelILi32EffKffEv13rocblas_fill_17rocblas_diagonal_iiT1_lPT2_llS5_llPT3_lli ; -- Begin function _ZL23rocblas_trmm_rNx_kernelILi32EffKffEv13rocblas_fill_17rocblas_diagonal_iiT1_lPT2_llS5_llPT3_lli
	.p2align	8
	.type	_ZL23rocblas_trmm_rNx_kernelILi32EffKffEv13rocblas_fill_17rocblas_diagonal_iiT1_lPT2_llS5_llPT3_lli,@function
_ZL23rocblas_trmm_rNx_kernelILi32EffKffEv13rocblas_fill_17rocblas_diagonal_iiT1_lPT2_llS5_llPT3_lli: ; @_ZL23rocblas_trmm_rNx_kernelILi32EffKffEv13rocblas_fill_17rocblas_diagonal_iiT1_lPT2_llS5_llPT3_lli
; %bb.0:
	s_load_b32 s5, s[0:1], 0x68
	s_bfe_u32 s2, ttmp6, 0x40014
	s_lshr_b32 s3, ttmp7, 16
	s_add_co_i32 s2, s2, 1
	s_bfe_u32 s6, ttmp6, 0x40008
	s_mul_i32 s4, s3, s2
	s_getreg_b32 s2, hwreg(HW_REG_IB_STS2, 6, 4)
	s_add_co_i32 s6, s6, s4
	s_cmp_eq_u32 s2, 0
	s_mov_b32 s7, 0
	s_cselect_b32 s6, s3, s6
	s_wait_kmcnt 0x0
	s_cmp_ge_u32 s6, s5
	s_cbranch_scc1 .LBB31_19
; %bb.1:
	s_clause 0x2
	s_load_b32 s30, s[0:1], 0x10
	s_load_b512 s[8:23], s[0:1], 0x20
	s_load_b128 s[24:27], s[0:1], 0x0
	v_bfe_u32 v2, v0, 10, 10
	v_mov_b32_e32 v3, 0
	v_and_b32_e32 v0, 0x3ff, v0
	s_load_b64 s[28:29], s[0:1], 0x60
	s_delay_alu instid0(VALU_DEP_3) | instskip(NEXT) | instid1(VALU_DEP_3)
	v_dual_mov_b32 v11, 1.0 :: v_dual_lshlrev_b32 v10, 5, v2
	v_dual_mov_b32 v1, v3 :: v_dual_lshlrev_b32 v9, 7, v2
	s_delay_alu instid0(VALU_DEP_3)
	v_cmp_eq_u32_e32 vcc_lo, v2, v0
	s_wait_xcnt 0x0
	v_cmp_lt_u32_e64 s0, v0, v2
	v_cmp_gt_u32_e64 s1, v0, v2
	v_lshlrev_b64_e32 v[14:15], 2, v[0:1]
	v_lshl_add_u32 v8, v0, 2, 0x1000
	v_add_lshl_u32 v10, v10, v0, 2
	s_wait_kmcnt 0x0
	s_cmp_neq_f32 s30, 0
	v_mul_u64_e32 v[4:5], s[10:11], v[2:3]
	v_mul_u64_e32 v[6:7], s[16:17], v[2:3]
	;; [unrolled: 1-line block ×3, first 2 shown]
	s_cselect_b32 s10, -1, 0
	s_add_co_i32 s3, s26, -1
	s_bfe_u32 s11, ttmp6, 0x4000c
	s_ashr_i32 s16, s3, 31
	s_add_co_i32 s11, s11, 1
	s_lshr_b32 s16, s16, 27
	s_and_b32 s4, ttmp6, 15
	s_mul_i32 s11, ttmp9, s11
	s_add_co_i32 s3, s3, s16
	s_add_co_i32 s4, s4, s11
	s_and_b32 s11, s3, 0xffffffe0
	s_ashr_i32 s3, s3, 5
	s_sub_co_i32 s11, s26, s11
	s_cmp_eq_u32 s2, 0
	v_cmp_gt_i32_e64 s2, s27, v2
	s_cselect_b32 s4, ttmp9, s4
	v_add_nc_u32_e32 v2, 0x1000, v10
	s_cmp_ge_i32 s4, s3
	v_cmp_gt_i32_e64 s3, s27, v0
	s_cselect_b32 s11, s11, 32
	s_lshl_b32 s16, s4, 5
	v_cmp_gt_i32_e64 s4, s11, v0
	s_ashr_i32 s17, s16, 31
	s_and_b32 s3, s2, s3
	s_lshl_b64 s[16:17], s[16:17], 2
	s_delay_alu instid0(SALU_CYCLE_1)
	s_add_nc_u64 s[14:15], s[14:15], s[16:17]
	s_add_nc_u64 s[16:17], s[20:21], s[16:17]
	s_and_b32 s2, s2, s4
	v_lshl_add_u64 v[0:1], v[4:5], 2, s[8:9]
	v_lshl_add_u64 v[4:5], v[6:7], 2, s[14:15]
	;; [unrolled: 1-line block ×3, first 2 shown]
	s_cmp_eq_u32 s25, 0x84
	v_add_nc_u32_e32 v12, 0x400, v8
	s_cselect_b32 s4, -1, 0
	v_add_nc_u64_e32 v[0:1], v[0:1], v[14:15]
	v_add_nc_u64_e32 v[4:5], v[4:5], v[14:15]
	v_add_nc_u64_e32 v[6:7], v[6:7], v[14:15]
	s_and_b32 s4, vcc_lo, s4
	v_add_nc_u32_e32 v13, 0x800, v8
	v_add_nc_u32_e32 v14, 0xc00, v8
	s_cmp_lg_u32 s24, 0x79
	s_cselect_b32 s8, -1, 0
	s_branch .LBB31_4
.LBB31_2:                               ;   in Loop: Header=BB31_4 Depth=1
	s_wait_xcnt 0x0
	s_or_b32 exec_lo, exec_lo, s9
.LBB31_3:                               ;   in Loop: Header=BB31_4 Depth=1
	s_add_co_i32 s6, s6, 0x10000
	s_delay_alu instid0(SALU_CYCLE_1)
	s_cmp_lt_u32 s6, s5
	s_cbranch_scc0 .LBB31_19
.LBB31_4:                               ; =>This Inner Loop Header: Depth=1
	s_and_not1_b32 vcc_lo, exec_lo, s10
	s_cbranch_vccnz .LBB31_3
; %bb.5:                                ;   in Loop: Header=BB31_4 Depth=1
	ds_store_b32 v10, v3
	ds_store_b32 v2, v3
	s_and_saveexec_b32 s9, s3
	s_cbranch_execnz .LBB31_10
; %bb.6:                                ;   in Loop: Header=BB31_4 Depth=1
	s_or_b32 exec_lo, exec_lo, s9
	s_and_saveexec_b32 s9, s2
	s_cbranch_execnz .LBB31_11
.LBB31_7:                               ;   in Loop: Header=BB31_4 Depth=1
	s_or_b32 exec_lo, exec_lo, s9
	s_and_saveexec_b32 s9, s4
	s_cbranch_execnz .LBB31_12
.LBB31_8:                               ;   in Loop: Header=BB31_4 Depth=1
	s_or_b32 exec_lo, exec_lo, s9
	s_delay_alu instid0(SALU_CYCLE_1)
	s_and_b32 vcc_lo, exec_lo, s8
	s_cbranch_vccz .LBB31_13
.LBB31_9:                               ;   in Loop: Header=BB31_4 Depth=1
	s_and_b32 s9, s0, exec_lo
	s_cbranch_execz .LBB31_14
	s_branch .LBB31_15
.LBB31_10:                              ;   in Loop: Header=BB31_4 Depth=1
	s_mul_u64 s[14:15], s[12:13], s[6:7]
	s_delay_alu instid0(SALU_CYCLE_1)
	v_lshl_add_u64 v[16:17], s[14:15], 2, v[0:1]
	global_load_b32 v15, v[16:17], off
	s_wait_loadcnt 0x0
	ds_store_b32 v10, v15
	s_wait_xcnt 0x0
	s_or_b32 exec_lo, exec_lo, s9
	s_and_saveexec_b32 s9, s2
	s_cbranch_execz .LBB31_7
.LBB31_11:                              ;   in Loop: Header=BB31_4 Depth=1
	s_mul_u64 s[14:15], s[18:19], s[6:7]
	s_delay_alu instid0(SALU_CYCLE_1)
	v_lshl_add_u64 v[16:17], s[14:15], 2, v[4:5]
	global_load_b32 v15, v[16:17], off
	s_wait_loadcnt 0x0
	ds_store_b32 v2, v15
	s_wait_xcnt 0x0
	s_or_b32 exec_lo, exec_lo, s9
	s_and_saveexec_b32 s9, s4
	s_cbranch_execz .LBB31_8
.LBB31_12:                              ;   in Loop: Header=BB31_4 Depth=1
	ds_store_b32 v10, v11
	s_or_b32 exec_lo, exec_lo, s9
	s_delay_alu instid0(SALU_CYCLE_1)
	s_and_b32 vcc_lo, exec_lo, s8
	s_cbranch_vccnz .LBB31_9
.LBB31_13:                              ;   in Loop: Header=BB31_4 Depth=1
	s_mov_b32 s9, 0
.LBB31_14:                              ;   in Loop: Header=BB31_4 Depth=1
	s_delay_alu instid0(SALU_CYCLE_1) | instskip(SKIP_1) | instid1(SALU_CYCLE_1)
	s_and_not1_b32 s9, s9, exec_lo
	s_and_b32 s11, s1, exec_lo
	s_or_b32 s9, s9, s11
.LBB31_15:                              ;   in Loop: Header=BB31_4 Depth=1
	s_delay_alu instid0(SALU_CYCLE_1)
	s_and_saveexec_b32 s11, s9
; %bb.16:                               ;   in Loop: Header=BB31_4 Depth=1
	ds_store_b32 v10, v3
; %bb.17:                               ;   in Loop: Header=BB31_4 Depth=1
	s_or_b32 exec_lo, exec_lo, s11
	s_wait_dscnt 0x0
	s_barrier_signal -1
	s_barrier_wait -1
	s_and_saveexec_b32 s9, s2
	s_cbranch_execz .LBB31_2
; %bb.18:                               ;   in Loop: Header=BB31_4 Depth=1
	ds_load_2addr_b32 v[24:25], v8 offset1:32
	ds_load_b128 v[16:19], v9
	ds_load_2addr_b32 v[26:27], v8 offset0:64 offset1:96
	ds_load_b128 v[20:23], v9 offset:16
	ds_load_2addr_b32 v[28:29], v8 offset0:128 offset1:160
	s_mul_u64 s[14:15], s[28:29], s[6:7]
	s_wait_dscnt 0x3
	v_fma_f32 v15, v24, v16, 0
	s_delay_alu instid0(VALU_DEP_1) | instskip(SKIP_3) | instid1(VALU_DEP_1)
	v_fmac_f32_e32 v15, v25, v17
	ds_load_2addr_b32 v[24:25], v8 offset0:192 offset1:224
	s_wait_dscnt 0x3
	v_fmac_f32_e32 v15, v26, v18
	v_fmac_f32_e32 v15, v27, v19
	ds_load_b128 v[16:19], v9 offset:32
	ds_load_2addr_b32 v[26:27], v12 offset1:32
	s_wait_dscnt 0x3
	v_fmac_f32_e32 v15, v28, v20
	s_delay_alu instid0(VALU_DEP_1) | instskip(SKIP_3) | instid1(VALU_DEP_1)
	v_fmac_f32_e32 v15, v29, v21
	ds_load_2addr_b32 v[28:29], v12 offset0:64 offset1:96
	s_wait_dscnt 0x3
	v_fmac_f32_e32 v15, v24, v22
	v_fmac_f32_e32 v15, v25, v23
	ds_load_b128 v[20:23], v9 offset:48
	ds_load_2addr_b32 v[24:25], v12 offset0:128 offset1:160
	ds_load_2addr_b32 v[30:31], v12 offset0:192 offset1:224
	s_wait_dscnt 0x4
	v_fmac_f32_e32 v15, v26, v16
	s_delay_alu instid0(VALU_DEP_1) | instskip(SKIP_1) | instid1(VALU_DEP_1)
	v_fmac_f32_e32 v15, v27, v17
	s_wait_dscnt 0x3
	v_fmac_f32_e32 v15, v28, v18
	s_delay_alu instid0(VALU_DEP_1)
	v_fmac_f32_e32 v15, v29, v19
	ds_load_2addr_b32 v[28:29], v13 offset1:32
	ds_load_b128 v[16:19], v9 offset:64
	ds_load_2addr_b32 v[32:33], v13 offset0:64 offset1:96
	s_wait_dscnt 0x4
	v_fmac_f32_e32 v15, v24, v20
	s_delay_alu instid0(VALU_DEP_1) | instskip(SKIP_4) | instid1(VALU_DEP_1)
	v_fmac_f32_e32 v15, v25, v21
	ds_load_2addr_b32 v[34:35], v13 offset0:128 offset1:160
	ds_load_b128 v[24:27], v9 offset:80
	s_wait_dscnt 0x5
	v_fmac_f32_e32 v15, v30, v22
	v_fmac_f32_e32 v15, v31, v23
	ds_load_2addr_b32 v[30:31], v13 offset0:192 offset1:224
	s_wait_dscnt 0x4
	v_fmac_f32_e32 v15, v28, v16
	s_delay_alu instid0(VALU_DEP_1)
	v_fmac_f32_e32 v15, v29, v17
	ds_load_2addr_b32 v[28:29], v14 offset1:32
	ds_load_b128 v[20:23], v9 offset:96
	s_wait_dscnt 0x3
	v_pk_mul_f32 v[16:17], v[34:35], v[24:25]
	ds_load_2addr_b32 v[24:25], v14 offset0:64 offset1:96
	v_fmac_f32_e32 v15, v32, v18
	s_delay_alu instid0(VALU_DEP_1) | instskip(SKIP_2) | instid1(VALU_DEP_2)
	v_fmac_f32_e32 v15, v33, v19
	s_wait_dscnt 0x3
	v_pk_mul_f32 v[26:27], v[30:31], v[26:27]
	v_add_f32_e32 v15, v15, v16
	s_delay_alu instid0(VALU_DEP_1)
	v_add_f32_e32 v15, v15, v17
	ds_load_2addr_b32 v[30:31], v14 offset0:128 offset1:160
	ds_load_b128 v[16:19], v9 offset:112
	s_wait_dscnt 0x3
	v_pk_mul_f32 v[20:21], v[28:29], v[20:21]
	s_wait_dscnt 0x2
	v_pk_mul_f32 v[22:23], v[24:25], v[22:23]
	v_add_f32_e32 v15, v15, v26
	s_delay_alu instid0(VALU_DEP_1) | instskip(SKIP_2) | instid1(VALU_DEP_1)
	v_add_f32_e32 v15, v15, v27
	ds_load_2addr_b32 v[26:27], v14 offset0:192 offset1:224
	v_add_f32_e32 v15, v15, v20
	v_add_f32_e32 v15, v15, v21
	s_wait_dscnt 0x1
	v_pk_mul_f32 v[16:17], v[30:31], v[16:17]
	s_delay_alu instid0(VALU_DEP_2) | instskip(NEXT) | instid1(VALU_DEP_1)
	v_add_f32_e32 v15, v15, v22
	v_add_f32_e32 v15, v15, v23
	s_wait_dscnt 0x0
	v_pk_mul_f32 v[18:19], v[26:27], v[18:19]
	s_delay_alu instid0(VALU_DEP_2) | instskip(NEXT) | instid1(VALU_DEP_1)
	v_add_f32_e32 v15, v15, v16
	v_add_f32_e32 v15, v15, v17
	v_lshl_add_u64 v[16:17], s[14:15], 2, v[6:7]
	s_delay_alu instid0(VALU_DEP_2) | instskip(NEXT) | instid1(VALU_DEP_1)
	v_add_f32_e32 v15, v15, v18
	v_add_f32_e32 v15, v15, v19
	s_delay_alu instid0(VALU_DEP_1)
	v_mul_f32_e32 v15, s30, v15
	global_store_b32 v[16:17], v15, off
	s_branch .LBB31_2
.LBB31_19:
	s_endpgm
	.section	.rodata,"a",@progbits
	.p2align	6, 0x0
	.amdhsa_kernel _ZL23rocblas_trmm_rNx_kernelILi32EffKffEv13rocblas_fill_17rocblas_diagonal_iiT1_lPT2_llS5_llPT3_lli
		.amdhsa_group_segment_fixed_size 8192
		.amdhsa_private_segment_fixed_size 0
		.amdhsa_kernarg_size 108
		.amdhsa_user_sgpr_count 2
		.amdhsa_user_sgpr_dispatch_ptr 0
		.amdhsa_user_sgpr_queue_ptr 0
		.amdhsa_user_sgpr_kernarg_segment_ptr 1
		.amdhsa_user_sgpr_dispatch_id 0
		.amdhsa_user_sgpr_kernarg_preload_length 0
		.amdhsa_user_sgpr_kernarg_preload_offset 0
		.amdhsa_user_sgpr_private_segment_size 0
		.amdhsa_wavefront_size32 1
		.amdhsa_uses_dynamic_stack 0
		.amdhsa_enable_private_segment 0
		.amdhsa_system_sgpr_workgroup_id_x 1
		.amdhsa_system_sgpr_workgroup_id_y 0
		.amdhsa_system_sgpr_workgroup_id_z 1
		.amdhsa_system_sgpr_workgroup_info 0
		.amdhsa_system_vgpr_workitem_id 1
		.amdhsa_next_free_vgpr 36
		.amdhsa_next_free_sgpr 31
		.amdhsa_named_barrier_count 0
		.amdhsa_reserve_vcc 1
		.amdhsa_float_round_mode_32 0
		.amdhsa_float_round_mode_16_64 0
		.amdhsa_float_denorm_mode_32 3
		.amdhsa_float_denorm_mode_16_64 3
		.amdhsa_fp16_overflow 0
		.amdhsa_memory_ordered 1
		.amdhsa_forward_progress 1
		.amdhsa_inst_pref_size 10
		.amdhsa_round_robin_scheduling 0
		.amdhsa_exception_fp_ieee_invalid_op 0
		.amdhsa_exception_fp_denorm_src 0
		.amdhsa_exception_fp_ieee_div_zero 0
		.amdhsa_exception_fp_ieee_overflow 0
		.amdhsa_exception_fp_ieee_underflow 0
		.amdhsa_exception_fp_ieee_inexact 0
		.amdhsa_exception_int_div_zero 0
	.end_amdhsa_kernel
	.section	.text._ZL23rocblas_trmm_rNx_kernelILi32EffKffEv13rocblas_fill_17rocblas_diagonal_iiT1_lPT2_llS5_llPT3_lli,"axG",@progbits,_ZL23rocblas_trmm_rNx_kernelILi32EffKffEv13rocblas_fill_17rocblas_diagonal_iiT1_lPT2_llS5_llPT3_lli,comdat
.Lfunc_end31:
	.size	_ZL23rocblas_trmm_rNx_kernelILi32EffKffEv13rocblas_fill_17rocblas_diagonal_iiT1_lPT2_llS5_llPT3_lli, .Lfunc_end31-_ZL23rocblas_trmm_rNx_kernelILi32EffKffEv13rocblas_fill_17rocblas_diagonal_iiT1_lPT2_llS5_llPT3_lli
                                        ; -- End function
	.set _ZL23rocblas_trmm_rNx_kernelILi32EffKffEv13rocblas_fill_17rocblas_diagonal_iiT1_lPT2_llS5_llPT3_lli.num_vgpr, 36
	.set _ZL23rocblas_trmm_rNx_kernelILi32EffKffEv13rocblas_fill_17rocblas_diagonal_iiT1_lPT2_llS5_llPT3_lli.num_agpr, 0
	.set _ZL23rocblas_trmm_rNx_kernelILi32EffKffEv13rocblas_fill_17rocblas_diagonal_iiT1_lPT2_llS5_llPT3_lli.numbered_sgpr, 31
	.set _ZL23rocblas_trmm_rNx_kernelILi32EffKffEv13rocblas_fill_17rocblas_diagonal_iiT1_lPT2_llS5_llPT3_lli.num_named_barrier, 0
	.set _ZL23rocblas_trmm_rNx_kernelILi32EffKffEv13rocblas_fill_17rocblas_diagonal_iiT1_lPT2_llS5_llPT3_lli.private_seg_size, 0
	.set _ZL23rocblas_trmm_rNx_kernelILi32EffKffEv13rocblas_fill_17rocblas_diagonal_iiT1_lPT2_llS5_llPT3_lli.uses_vcc, 1
	.set _ZL23rocblas_trmm_rNx_kernelILi32EffKffEv13rocblas_fill_17rocblas_diagonal_iiT1_lPT2_llS5_llPT3_lli.uses_flat_scratch, 0
	.set _ZL23rocblas_trmm_rNx_kernelILi32EffKffEv13rocblas_fill_17rocblas_diagonal_iiT1_lPT2_llS5_llPT3_lli.has_dyn_sized_stack, 0
	.set _ZL23rocblas_trmm_rNx_kernelILi32EffKffEv13rocblas_fill_17rocblas_diagonal_iiT1_lPT2_llS5_llPT3_lli.has_recursion, 0
	.set _ZL23rocblas_trmm_rNx_kernelILi32EffKffEv13rocblas_fill_17rocblas_diagonal_iiT1_lPT2_llS5_llPT3_lli.has_indirect_call, 0
	.section	.AMDGPU.csdata,"",@progbits
; Kernel info:
; codeLenInByte = 1280
; TotalNumSgprs: 33
; NumVgprs: 36
; ScratchSize: 0
; MemoryBound: 0
; FloatMode: 240
; IeeeMode: 1
; LDSByteSize: 8192 bytes/workgroup (compile time only)
; SGPRBlocks: 0
; VGPRBlocks: 2
; NumSGPRsForWavesPerEU: 33
; NumVGPRsForWavesPerEU: 36
; NamedBarCnt: 0
; Occupancy: 16
; WaveLimiterHint : 0
; COMPUTE_PGM_RSRC2:SCRATCH_EN: 0
; COMPUTE_PGM_RSRC2:USER_SGPR: 2
; COMPUTE_PGM_RSRC2:TRAP_HANDLER: 0
; COMPUTE_PGM_RSRC2:TGID_X_EN: 1
; COMPUTE_PGM_RSRC2:TGID_Y_EN: 0
; COMPUTE_PGM_RSRC2:TGID_Z_EN: 1
; COMPUTE_PGM_RSRC2:TIDIG_COMP_CNT: 1
	.section	.text._ZL23rocblas_trmm_rTx_kernelILi32ELb0EfPKfS0_fEv13rocblas_fill_17rocblas_diagonal_iiT2_lPT3_llS6_llPT4_lli,"axG",@progbits,_ZL23rocblas_trmm_rTx_kernelILi32ELb0EfPKfS0_fEv13rocblas_fill_17rocblas_diagonal_iiT2_lPT3_llS6_llPT4_lli,comdat
	.globl	_ZL23rocblas_trmm_rTx_kernelILi32ELb0EfPKfS0_fEv13rocblas_fill_17rocblas_diagonal_iiT2_lPT3_llS6_llPT4_lli ; -- Begin function _ZL23rocblas_trmm_rTx_kernelILi32ELb0EfPKfS0_fEv13rocblas_fill_17rocblas_diagonal_iiT2_lPT3_llS6_llPT4_lli
	.p2align	8
	.type	_ZL23rocblas_trmm_rTx_kernelILi32ELb0EfPKfS0_fEv13rocblas_fill_17rocblas_diagonal_iiT2_lPT3_llS6_llPT4_lli,@function
_ZL23rocblas_trmm_rTx_kernelILi32ELb0EfPKfS0_fEv13rocblas_fill_17rocblas_diagonal_iiT2_lPT3_llS6_llPT4_lli: ; @_ZL23rocblas_trmm_rTx_kernelILi32ELb0EfPKfS0_fEv13rocblas_fill_17rocblas_diagonal_iiT2_lPT3_llS6_llPT4_lli
; %bb.0:
	s_load_b32 s5, s[0:1], 0x68
	s_bfe_u32 s2, ttmp6, 0x40014
	s_lshr_b32 s3, ttmp7, 16
	s_add_co_i32 s2, s2, 1
	s_bfe_u32 s6, ttmp6, 0x40008
	s_mul_i32 s4, s3, s2
	s_getreg_b32 s2, hwreg(HW_REG_IB_STS2, 6, 4)
	s_add_co_i32 s6, s6, s4
	s_cmp_eq_u32 s2, 0
	s_mov_b32 s7, 0
	s_cselect_b32 s6, s3, s6
	s_wait_kmcnt 0x0
	s_cmp_ge_u32 s6, s5
	s_cbranch_scc1 .LBB32_19
; %bb.1:
	s_clause 0x3
	s_load_b128 s[24:27], s[0:1], 0x0
	s_load_b512 s[8:23], s[0:1], 0x10
	s_load_b128 s[28:31], s[0:1], 0x50
	s_load_b64 s[34:35], s[0:1], 0x60
	v_bfe_u32 v2, v0, 10, 10
	v_dual_mov_b32 v3, 0 :: v_dual_mov_b32 v8, 1.0
	s_wait_xcnt 0x0
	s_bfe_u32 s0, ttmp6, 0x4000c
	s_and_b32 s3, ttmp6, 15
	s_add_co_i32 s0, s0, 1
	v_and_b32_e32 v0, 0x3ff, v0
	s_mul_i32 s4, ttmp9, s0
	v_dual_lshlrev_b32 v11, 5, v2 :: v_dual_mov_b32 v1, v3
	s_add_co_i32 s3, s3, s4
	s_delay_alu instid0(VALU_DEP_2)
	v_cmp_eq_u32_e32 vcc_lo, v2, v0
	v_cmp_lt_u32_e64 s0, v0, v2
	v_cmp_gt_u32_e64 s1, v0, v2
	v_lshlrev_b64_e32 v[16:17], 2, v[0:1]
	v_lshl_add_u32 v9, v0, 2, 0x1000
	s_wait_kmcnt 0x0
	s_add_co_i32 s33, s26, -1
	v_mul_u64_e32 v[4:5], s[14:15], v[2:3]
	v_mul_u64_e32 v[6:7], s[20:21], v[2:3]
	;; [unrolled: 1-line block ×3, first 2 shown]
	s_ashr_i32 s14, s33, 31
	v_add_lshl_u32 v11, v11, v0, 2
	s_lshr_b32 s14, s14, 27
	v_lshlrev_b32_e32 v10, 2, v2
	s_add_co_i32 s4, s33, s14
	v_add_nc_u32_e32 v12, 0x400, v9
	s_and_b32 s14, s4, 0xffffffe0
	s_ashr_i32 s4, s4, 5
	s_sub_co_i32 s14, s26, s14
	s_cmp_eq_u32 s2, 0
	v_cmp_gt_i32_e64 s2, s27, v2
	s_cselect_b32 s3, ttmp9, s3
	v_add_nc_u32_e32 v2, 0x400, v10
	s_cmp_ge_i32 s3, s4
	v_add_nc_u32_e32 v13, 0x1000, v11
	s_cselect_b32 s4, s14, 32
	s_lshl_b32 s14, s3, 5
	v_cmp_gt_i32_e64 s3, s27, v0
	s_ashr_i32 s15, s14, 31
	v_cmp_gt_i32_e64 s4, s4, v0
	s_lshl_b64 s[14:15], s[14:15], 2
	s_delay_alu instid0(SALU_CYCLE_1)
	s_add_nc_u64 s[18:19], s[18:19], s[14:15]
	s_add_nc_u64 s[14:15], s[28:29], s[14:15]
	s_and_b32 s3, s2, s3
	s_and_b32 s2, s2, s4
	s_cmp_eq_u32 s25, 0x84
	s_cselect_b32 s4, -1, 0
	v_lshl_add_u64 v[0:1], v[4:5], 2, s[12:13]
	v_lshl_add_u64 v[4:5], v[6:7], 2, s[18:19]
	;; [unrolled: 1-line block ×3, first 2 shown]
	s_and_b32 s4, vcc_lo, s4
	v_add_nc_u32_e32 v14, 0x800, v9
	v_add_nc_u64_e32 v[0:1], v[0:1], v[16:17]
	v_add_nc_u64_e32 v[4:5], v[4:5], v[16:17]
	v_add_nc_u64_e32 v[6:7], v[6:7], v[16:17]
	v_add_nc_u32_e32 v15, 0x800, v10
	v_add_nc_u32_e32 v16, 0xc00, v9
	v_add_nc_u32_e32 v17, 0xc00, v10
	s_cmp_lg_u32 s24, 0x79
	s_cselect_b32 s12, -1, 0
	s_branch .LBB32_4
.LBB32_2:                               ;   in Loop: Header=BB32_4 Depth=1
	s_wait_xcnt 0x0
	s_or_b32 exec_lo, exec_lo, s13
.LBB32_3:                               ;   in Loop: Header=BB32_4 Depth=1
	s_add_co_i32 s6, s6, 0x10000
	s_delay_alu instid0(SALU_CYCLE_1)
	s_cmp_lt_u32 s6, s5
	s_cbranch_scc0 .LBB32_19
.LBB32_4:                               ; =>This Inner Loop Header: Depth=1
	s_wait_xcnt 0x0
	s_mul_u64 s[14:15], s[10:11], s[6:7]
	s_delay_alu instid0(SALU_CYCLE_1) | instskip(NEXT) | instid1(SALU_CYCLE_1)
	s_lshl_b64 s[14:15], s[14:15], 2
	s_add_nc_u64 s[14:15], s[8:9], s[14:15]
	global_load_b32 v18, v3, s[14:15]
	s_wait_loadcnt 0x0
	v_cmp_eq_f32_e32 vcc_lo, 0, v18
	s_cbranch_vccnz .LBB32_3
; %bb.5:                                ;   in Loop: Header=BB32_4 Depth=1
	ds_store_b32 v11, v3
	ds_store_b32 v13, v3
	s_wait_xcnt 0x0
	s_and_saveexec_b32 s13, s3
	s_cbranch_execnz .LBB32_10
; %bb.6:                                ;   in Loop: Header=BB32_4 Depth=1
	s_or_b32 exec_lo, exec_lo, s13
	s_and_saveexec_b32 s13, s2
	s_cbranch_execnz .LBB32_11
.LBB32_7:                               ;   in Loop: Header=BB32_4 Depth=1
	s_or_b32 exec_lo, exec_lo, s13
	s_and_saveexec_b32 s13, s4
	s_cbranch_execnz .LBB32_12
.LBB32_8:                               ;   in Loop: Header=BB32_4 Depth=1
	s_or_b32 exec_lo, exec_lo, s13
	s_delay_alu instid0(SALU_CYCLE_1)
	s_and_b32 vcc_lo, exec_lo, s12
	s_cbranch_vccz .LBB32_13
.LBB32_9:                               ;   in Loop: Header=BB32_4 Depth=1
	s_and_b32 s13, s0, exec_lo
	s_cbranch_execz .LBB32_14
	s_branch .LBB32_15
.LBB32_10:                              ;   in Loop: Header=BB32_4 Depth=1
	s_mul_u64 s[14:15], s[16:17], s[6:7]
	s_delay_alu instid0(SALU_CYCLE_1)
	v_lshl_add_u64 v[20:21], s[14:15], 2, v[0:1]
	global_load_b32 v19, v[20:21], off
	s_wait_loadcnt 0x0
	ds_store_b32 v11, v19
	s_wait_xcnt 0x0
	s_or_b32 exec_lo, exec_lo, s13
	s_and_saveexec_b32 s13, s2
	s_cbranch_execz .LBB32_7
.LBB32_11:                              ;   in Loop: Header=BB32_4 Depth=1
	s_mul_u64 s[14:15], s[22:23], s[6:7]
	s_delay_alu instid0(SALU_CYCLE_1)
	v_lshl_add_u64 v[20:21], s[14:15], 2, v[4:5]
	global_load_b32 v19, v[20:21], off
	s_wait_loadcnt 0x0
	ds_store_b32 v13, v19
	s_wait_xcnt 0x0
	s_or_b32 exec_lo, exec_lo, s13
	s_and_saveexec_b32 s13, s4
	s_cbranch_execz .LBB32_8
.LBB32_12:                              ;   in Loop: Header=BB32_4 Depth=1
	ds_store_b32 v11, v8
	s_or_b32 exec_lo, exec_lo, s13
	s_delay_alu instid0(SALU_CYCLE_1)
	s_and_b32 vcc_lo, exec_lo, s12
	s_cbranch_vccnz .LBB32_9
.LBB32_13:                              ;   in Loop: Header=BB32_4 Depth=1
	s_mov_b32 s13, 0
.LBB32_14:                              ;   in Loop: Header=BB32_4 Depth=1
	s_delay_alu instid0(SALU_CYCLE_1) | instskip(SKIP_1) | instid1(SALU_CYCLE_1)
	s_and_not1_b32 s13, s13, exec_lo
	s_and_b32 s14, s1, exec_lo
	s_or_b32 s13, s13, s14
.LBB32_15:                              ;   in Loop: Header=BB32_4 Depth=1
	s_delay_alu instid0(SALU_CYCLE_1)
	s_and_saveexec_b32 s14, s13
; %bb.16:                               ;   in Loop: Header=BB32_4 Depth=1
	ds_store_b32 v11, v3
; %bb.17:                               ;   in Loop: Header=BB32_4 Depth=1
	s_or_b32 exec_lo, exec_lo, s14
	s_wait_dscnt 0x0
	s_barrier_signal -1
	s_barrier_wait -1
	s_and_saveexec_b32 s13, s2
	s_cbranch_execz .LBB32_2
; %bb.18:                               ;   in Loop: Header=BB32_4 Depth=1
	ds_load_2addr_b32 v[20:21], v9 offset1:32
	ds_load_2addr_b32 v[22:23], v10 offset1:32
	ds_load_2addr_b32 v[24:25], v9 offset0:64 offset1:96
	ds_load_2addr_b32 v[26:27], v10 offset0:64 offset1:96
	;; [unrolled: 1-line block ×4, first 2 shown]
	s_mul_u64 s[14:15], s[34:35], s[6:7]
	s_wait_dscnt 0x4
	v_fma_f32 v19, v20, v22, 0
	s_delay_alu instid0(VALU_DEP_1) | instskip(SKIP_4) | instid1(VALU_DEP_1)
	v_fmac_f32_e32 v19, v21, v23
	ds_load_2addr_b32 v[20:21], v9 offset0:192 offset1:224
	ds_load_2addr_b32 v[22:23], v10 offset0:192 offset1:224
	s_wait_dscnt 0x4
	v_fmac_f32_e32 v19, v24, v26
	v_fmac_f32_e32 v19, v25, v27
	ds_load_2addr_b32 v[24:25], v12 offset1:32
	ds_load_2addr_b32 v[26:27], v2 offset1:32
	s_wait_dscnt 0x4
	v_fmac_f32_e32 v19, v28, v30
	s_delay_alu instid0(VALU_DEP_1) | instskip(SKIP_4) | instid1(VALU_DEP_1)
	v_fmac_f32_e32 v19, v29, v31
	ds_load_2addr_b32 v[28:29], v12 offset0:64 offset1:96
	ds_load_2addr_b32 v[30:31], v2 offset0:64 offset1:96
	s_wait_dscnt 0x4
	v_fmac_f32_e32 v19, v20, v22
	v_fmac_f32_e32 v19, v21, v23
	ds_load_2addr_b32 v[20:21], v12 offset0:128 offset1:160
	ds_load_2addr_b32 v[22:23], v2 offset0:128 offset1:160
	s_wait_dscnt 0x4
	v_fmac_f32_e32 v19, v24, v26
	s_delay_alu instid0(VALU_DEP_1) | instskip(SKIP_4) | instid1(VALU_DEP_1)
	v_fmac_f32_e32 v19, v25, v27
	ds_load_2addr_b32 v[24:25], v12 offset0:192 offset1:224
	ds_load_2addr_b32 v[26:27], v2 offset0:192 offset1:224
	s_wait_dscnt 0x4
	v_fmac_f32_e32 v19, v28, v30
	v_fmac_f32_e32 v19, v29, v31
	ds_load_2addr_b32 v[28:29], v14 offset1:32
	ds_load_2addr_b32 v[30:31], v15 offset1:32
	s_wait_dscnt 0x4
	v_fmac_f32_e32 v19, v20, v22
	s_delay_alu instid0(VALU_DEP_1)
	v_fmac_f32_e32 v19, v21, v23
	ds_load_2addr_b32 v[20:21], v14 offset0:64 offset1:96
	ds_load_2addr_b32 v[22:23], v15 offset0:64 offset1:96
	;; [unrolled: 1-line block ×4, first 2 shown]
	s_wait_dscnt 0x6
	v_fmac_f32_e32 v19, v24, v26
	s_delay_alu instid0(VALU_DEP_1) | instskip(SKIP_4) | instid1(VALU_DEP_1)
	v_fmac_f32_e32 v19, v25, v27
	ds_load_2addr_b32 v[24:25], v14 offset0:192 offset1:224
	ds_load_2addr_b32 v[26:27], v15 offset0:192 offset1:224
	s_wait_dscnt 0x6
	v_fmac_f32_e32 v19, v28, v30
	v_fmac_f32_e32 v19, v29, v31
	ds_load_2addr_b32 v[28:29], v16 offset1:32
	ds_load_2addr_b32 v[30:31], v17 offset1:32
	s_wait_dscnt 0x4
	v_pk_mul_f32 v[32:33], v[32:33], v[34:35]
	v_fmac_f32_e32 v19, v20, v22
	s_delay_alu instid0(VALU_DEP_1)
	v_fmac_f32_e32 v19, v21, v23
	ds_load_2addr_b32 v[20:21], v16 offset0:64 offset1:96
	ds_load_2addr_b32 v[22:23], v17 offset0:64 offset1:96
	s_wait_dscnt 0x4
	v_pk_mul_f32 v[24:25], v[24:25], v[26:27]
	v_add_f32_e32 v19, v19, v32
	s_delay_alu instid0(VALU_DEP_1)
	v_add_f32_e32 v19, v19, v33
	ds_load_2addr_b32 v[26:27], v16 offset0:128 offset1:160
	ds_load_2addr_b32 v[32:33], v17 offset0:128 offset1:160
	s_wait_dscnt 0x4
	v_pk_mul_f32 v[28:29], v[28:29], v[30:31]
	v_add_f32_e32 v19, v19, v24
	s_delay_alu instid0(VALU_DEP_1)
	v_add_f32_e32 v19, v19, v25
	ds_load_2addr_b32 v[24:25], v16 offset0:192 offset1:224
	ds_load_2addr_b32 v[30:31], v17 offset0:192 offset1:224
	s_wait_dscnt 0x4
	v_pk_mul_f32 v[20:21], v[20:21], v[22:23]
	v_add_f32_e32 v19, v19, v28
	s_delay_alu instid0(VALU_DEP_1) | instskip(SKIP_2) | instid1(VALU_DEP_2)
	v_add_f32_e32 v19, v19, v29
	s_wait_dscnt 0x2
	v_pk_mul_f32 v[22:23], v[26:27], v[32:33]
	v_add_f32_e32 v19, v19, v20
	s_delay_alu instid0(VALU_DEP_1) | instskip(SKIP_2) | instid1(VALU_DEP_2)
	v_add_f32_e32 v19, v19, v21
	s_wait_dscnt 0x0
	v_pk_mul_f32 v[20:21], v[24:25], v[30:31]
	v_add_f32_e32 v19, v19, v22
	s_delay_alu instid0(VALU_DEP_1) | instskip(NEXT) | instid1(VALU_DEP_1)
	v_add_f32_e32 v19, v19, v23
	v_add_f32_e32 v19, v19, v20
	s_delay_alu instid0(VALU_DEP_1) | instskip(NEXT) | instid1(VALU_DEP_1)
	v_add_f32_e32 v19, v19, v21
	v_mul_f32_e32 v20, v18, v19
	v_lshl_add_u64 v[18:19], s[14:15], 2, v[6:7]
	global_store_b32 v[18:19], v20, off
	s_branch .LBB32_2
.LBB32_19:
	s_endpgm
	.section	.rodata,"a",@progbits
	.p2align	6, 0x0
	.amdhsa_kernel _ZL23rocblas_trmm_rTx_kernelILi32ELb0EfPKfS0_fEv13rocblas_fill_17rocblas_diagonal_iiT2_lPT3_llS6_llPT4_lli
		.amdhsa_group_segment_fixed_size 8192
		.amdhsa_private_segment_fixed_size 0
		.amdhsa_kernarg_size 108
		.amdhsa_user_sgpr_count 2
		.amdhsa_user_sgpr_dispatch_ptr 0
		.amdhsa_user_sgpr_queue_ptr 0
		.amdhsa_user_sgpr_kernarg_segment_ptr 1
		.amdhsa_user_sgpr_dispatch_id 0
		.amdhsa_user_sgpr_kernarg_preload_length 0
		.amdhsa_user_sgpr_kernarg_preload_offset 0
		.amdhsa_user_sgpr_private_segment_size 0
		.amdhsa_wavefront_size32 1
		.amdhsa_uses_dynamic_stack 0
		.amdhsa_enable_private_segment 0
		.amdhsa_system_sgpr_workgroup_id_x 1
		.amdhsa_system_sgpr_workgroup_id_y 0
		.amdhsa_system_sgpr_workgroup_id_z 1
		.amdhsa_system_sgpr_workgroup_info 0
		.amdhsa_system_vgpr_workitem_id 1
		.amdhsa_next_free_vgpr 36
		.amdhsa_next_free_sgpr 36
		.amdhsa_named_barrier_count 0
		.amdhsa_reserve_vcc 1
		.amdhsa_float_round_mode_32 0
		.amdhsa_float_round_mode_16_64 0
		.amdhsa_float_denorm_mode_32 3
		.amdhsa_float_denorm_mode_16_64 3
		.amdhsa_fp16_overflow 0
		.amdhsa_memory_ordered 1
		.amdhsa_forward_progress 1
		.amdhsa_inst_pref_size 11
		.amdhsa_round_robin_scheduling 0
		.amdhsa_exception_fp_ieee_invalid_op 0
		.amdhsa_exception_fp_denorm_src 0
		.amdhsa_exception_fp_ieee_div_zero 0
		.amdhsa_exception_fp_ieee_overflow 0
		.amdhsa_exception_fp_ieee_underflow 0
		.amdhsa_exception_fp_ieee_inexact 0
		.amdhsa_exception_int_div_zero 0
	.end_amdhsa_kernel
	.section	.text._ZL23rocblas_trmm_rTx_kernelILi32ELb0EfPKfS0_fEv13rocblas_fill_17rocblas_diagonal_iiT2_lPT3_llS6_llPT4_lli,"axG",@progbits,_ZL23rocblas_trmm_rTx_kernelILi32ELb0EfPKfS0_fEv13rocblas_fill_17rocblas_diagonal_iiT2_lPT3_llS6_llPT4_lli,comdat
.Lfunc_end32:
	.size	_ZL23rocblas_trmm_rTx_kernelILi32ELb0EfPKfS0_fEv13rocblas_fill_17rocblas_diagonal_iiT2_lPT3_llS6_llPT4_lli, .Lfunc_end32-_ZL23rocblas_trmm_rTx_kernelILi32ELb0EfPKfS0_fEv13rocblas_fill_17rocblas_diagonal_iiT2_lPT3_llS6_llPT4_lli
                                        ; -- End function
	.set _ZL23rocblas_trmm_rTx_kernelILi32ELb0EfPKfS0_fEv13rocblas_fill_17rocblas_diagonal_iiT2_lPT3_llS6_llPT4_lli.num_vgpr, 36
	.set _ZL23rocblas_trmm_rTx_kernelILi32ELb0EfPKfS0_fEv13rocblas_fill_17rocblas_diagonal_iiT2_lPT3_llS6_llPT4_lli.num_agpr, 0
	.set _ZL23rocblas_trmm_rTx_kernelILi32ELb0EfPKfS0_fEv13rocblas_fill_17rocblas_diagonal_iiT2_lPT3_llS6_llPT4_lli.numbered_sgpr, 36
	.set _ZL23rocblas_trmm_rTx_kernelILi32ELb0EfPKfS0_fEv13rocblas_fill_17rocblas_diagonal_iiT2_lPT3_llS6_llPT4_lli.num_named_barrier, 0
	.set _ZL23rocblas_trmm_rTx_kernelILi32ELb0EfPKfS0_fEv13rocblas_fill_17rocblas_diagonal_iiT2_lPT3_llS6_llPT4_lli.private_seg_size, 0
	.set _ZL23rocblas_trmm_rTx_kernelILi32ELb0EfPKfS0_fEv13rocblas_fill_17rocblas_diagonal_iiT2_lPT3_llS6_llPT4_lli.uses_vcc, 1
	.set _ZL23rocblas_trmm_rTx_kernelILi32ELb0EfPKfS0_fEv13rocblas_fill_17rocblas_diagonal_iiT2_lPT3_llS6_llPT4_lli.uses_flat_scratch, 0
	.set _ZL23rocblas_trmm_rTx_kernelILi32ELb0EfPKfS0_fEv13rocblas_fill_17rocblas_diagonal_iiT2_lPT3_llS6_llPT4_lli.has_dyn_sized_stack, 0
	.set _ZL23rocblas_trmm_rTx_kernelILi32ELb0EfPKfS0_fEv13rocblas_fill_17rocblas_diagonal_iiT2_lPT3_llS6_llPT4_lli.has_recursion, 0
	.set _ZL23rocblas_trmm_rTx_kernelILi32ELb0EfPKfS0_fEv13rocblas_fill_17rocblas_diagonal_iiT2_lPT3_llS6_llPT4_lli.has_indirect_call, 0
	.section	.AMDGPU.csdata,"",@progbits
; Kernel info:
; codeLenInByte = 1392
; TotalNumSgprs: 38
; NumVgprs: 36
; ScratchSize: 0
; MemoryBound: 0
; FloatMode: 240
; IeeeMode: 1
; LDSByteSize: 8192 bytes/workgroup (compile time only)
; SGPRBlocks: 0
; VGPRBlocks: 2
; NumSGPRsForWavesPerEU: 38
; NumVGPRsForWavesPerEU: 36
; NamedBarCnt: 0
; Occupancy: 16
; WaveLimiterHint : 0
; COMPUTE_PGM_RSRC2:SCRATCH_EN: 0
; COMPUTE_PGM_RSRC2:USER_SGPR: 2
; COMPUTE_PGM_RSRC2:TRAP_HANDLER: 0
; COMPUTE_PGM_RSRC2:TGID_X_EN: 1
; COMPUTE_PGM_RSRC2:TGID_Y_EN: 0
; COMPUTE_PGM_RSRC2:TGID_Z_EN: 1
; COMPUTE_PGM_RSRC2:TIDIG_COMP_CNT: 1
	.section	.text._ZL23rocblas_trmm_rTx_kernelILi32ELb0EffKffEv13rocblas_fill_17rocblas_diagonal_iiT2_lPT3_llS5_llPT4_lli,"axG",@progbits,_ZL23rocblas_trmm_rTx_kernelILi32ELb0EffKffEv13rocblas_fill_17rocblas_diagonal_iiT2_lPT3_llS5_llPT4_lli,comdat
	.globl	_ZL23rocblas_trmm_rTx_kernelILi32ELb0EffKffEv13rocblas_fill_17rocblas_diagonal_iiT2_lPT3_llS5_llPT4_lli ; -- Begin function _ZL23rocblas_trmm_rTx_kernelILi32ELb0EffKffEv13rocblas_fill_17rocblas_diagonal_iiT2_lPT3_llS5_llPT4_lli
	.p2align	8
	.type	_ZL23rocblas_trmm_rTx_kernelILi32ELb0EffKffEv13rocblas_fill_17rocblas_diagonal_iiT2_lPT3_llS5_llPT4_lli,@function
_ZL23rocblas_trmm_rTx_kernelILi32ELb0EffKffEv13rocblas_fill_17rocblas_diagonal_iiT2_lPT3_llS5_llPT4_lli: ; @_ZL23rocblas_trmm_rTx_kernelILi32ELb0EffKffEv13rocblas_fill_17rocblas_diagonal_iiT2_lPT3_llS5_llPT4_lli
; %bb.0:
	s_load_b32 s5, s[0:1], 0x68
	s_bfe_u32 s2, ttmp6, 0x40014
	s_lshr_b32 s3, ttmp7, 16
	s_add_co_i32 s2, s2, 1
	s_bfe_u32 s6, ttmp6, 0x40008
	s_mul_i32 s4, s3, s2
	s_getreg_b32 s2, hwreg(HW_REG_IB_STS2, 6, 4)
	s_add_co_i32 s6, s6, s4
	s_cmp_eq_u32 s2, 0
	s_mov_b32 s7, 0
	s_cselect_b32 s6, s3, s6
	s_wait_kmcnt 0x0
	s_cmp_ge_u32 s6, s5
	s_cbranch_scc1 .LBB33_19
; %bb.1:
	s_clause 0x2
	s_load_b32 s30, s[0:1], 0x10
	s_load_b512 s[8:23], s[0:1], 0x20
	s_load_b128 s[24:27], s[0:1], 0x0
	v_bfe_u32 v2, v0, 10, 10
	v_mov_b32_e32 v3, 0
	v_and_b32_e32 v0, 0x3ff, v0
	s_load_b64 s[28:29], s[0:1], 0x60
	s_delay_alu instid0(VALU_DEP_3) | instskip(NEXT) | instid1(VALU_DEP_3)
	v_dual_mov_b32 v11, 1.0 :: v_dual_lshlrev_b32 v10, 5, v2
	v_dual_mov_b32 v1, v3 :: v_dual_lshlrev_b32 v9, 2, v2
	s_delay_alu instid0(VALU_DEP_3)
	v_cmp_eq_u32_e32 vcc_lo, v2, v0
	s_wait_xcnt 0x0
	v_cmp_lt_u32_e64 s0, v0, v2
	v_cmp_gt_u32_e64 s1, v0, v2
	v_lshlrev_b64_e32 v[14:15], 2, v[0:1]
	v_lshl_add_u32 v8, v0, 2, 0x1000
	v_add_lshl_u32 v10, v10, v0, 2
	v_add_nc_u32_e32 v17, 0xc00, v9
	s_wait_kmcnt 0x0
	s_cmp_neq_f32 s30, 0
	v_mul_u64_e32 v[4:5], s[10:11], v[2:3]
	v_mul_u64_e32 v[6:7], s[16:17], v[2:3]
	;; [unrolled: 1-line block ×3, first 2 shown]
	s_cselect_b32 s10, -1, 0
	s_add_co_i32 s3, s26, -1
	s_bfe_u32 s11, ttmp6, 0x4000c
	s_ashr_i32 s16, s3, 31
	s_add_co_i32 s11, s11, 1
	s_lshr_b32 s16, s16, 27
	s_and_b32 s4, ttmp6, 15
	s_mul_i32 s11, ttmp9, s11
	s_add_co_i32 s3, s3, s16
	s_add_co_i32 s4, s4, s11
	s_and_b32 s11, s3, 0xffffffe0
	s_ashr_i32 s3, s3, 5
	s_sub_co_i32 s11, s26, s11
	s_cmp_eq_u32 s2, 0
	v_cmp_gt_i32_e64 s2, s27, v2
	s_cselect_b32 s4, ttmp9, s4
	v_add_nc_u32_e32 v2, 0x1000, v10
	s_cmp_ge_i32 s4, s3
	v_cmp_gt_i32_e64 s3, s27, v0
	s_cselect_b32 s11, s11, 32
	s_lshl_b32 s16, s4, 5
	v_cmp_gt_i32_e64 s4, s11, v0
	s_ashr_i32 s17, s16, 31
	s_and_b32 s3, s2, s3
	s_lshl_b64 s[16:17], s[16:17], 2
	v_add_nc_u32_e32 v16, 0xc00, v8
	s_add_nc_u64 s[14:15], s[14:15], s[16:17]
	s_add_nc_u64 s[16:17], s[20:21], s[16:17]
	s_and_b32 s2, s2, s4
	v_lshl_add_u64 v[0:1], v[4:5], 2, s[8:9]
	v_lshl_add_u64 v[4:5], v[6:7], 2, s[14:15]
	;; [unrolled: 1-line block ×3, first 2 shown]
	s_cmp_eq_u32 s25, 0x84
	v_add_nc_u32_e32 v12, 0x400, v8
	s_cselect_b32 s4, -1, 0
	v_add_nc_u64_e32 v[0:1], v[0:1], v[14:15]
	v_add_nc_u64_e32 v[4:5], v[4:5], v[14:15]
	;; [unrolled: 1-line block ×3, first 2 shown]
	s_and_b32 s4, vcc_lo, s4
	v_add_nc_u32_e32 v13, 0x400, v9
	v_add_nc_u32_e32 v14, 0x800, v8
	;; [unrolled: 1-line block ×3, first 2 shown]
	s_cmp_lg_u32 s24, 0x79
	s_cselect_b32 s8, -1, 0
	s_branch .LBB33_4
.LBB33_2:                               ;   in Loop: Header=BB33_4 Depth=1
	s_wait_xcnt 0x0
	s_or_b32 exec_lo, exec_lo, s9
.LBB33_3:                               ;   in Loop: Header=BB33_4 Depth=1
	s_add_co_i32 s6, s6, 0x10000
	s_delay_alu instid0(SALU_CYCLE_1)
	s_cmp_lt_u32 s6, s5
	s_cbranch_scc0 .LBB33_19
.LBB33_4:                               ; =>This Inner Loop Header: Depth=1
	s_and_not1_b32 vcc_lo, exec_lo, s10
	s_cbranch_vccnz .LBB33_3
; %bb.5:                                ;   in Loop: Header=BB33_4 Depth=1
	ds_store_b32 v10, v3
	ds_store_b32 v2, v3
	s_and_saveexec_b32 s9, s3
	s_cbranch_execnz .LBB33_10
; %bb.6:                                ;   in Loop: Header=BB33_4 Depth=1
	s_or_b32 exec_lo, exec_lo, s9
	s_and_saveexec_b32 s9, s2
	s_cbranch_execnz .LBB33_11
.LBB33_7:                               ;   in Loop: Header=BB33_4 Depth=1
	s_or_b32 exec_lo, exec_lo, s9
	s_and_saveexec_b32 s9, s4
	s_cbranch_execnz .LBB33_12
.LBB33_8:                               ;   in Loop: Header=BB33_4 Depth=1
	s_or_b32 exec_lo, exec_lo, s9
	s_delay_alu instid0(SALU_CYCLE_1)
	s_and_b32 vcc_lo, exec_lo, s8
	s_cbranch_vccz .LBB33_13
.LBB33_9:                               ;   in Loop: Header=BB33_4 Depth=1
	s_and_b32 s9, s0, exec_lo
	s_cbranch_execz .LBB33_14
	s_branch .LBB33_15
.LBB33_10:                              ;   in Loop: Header=BB33_4 Depth=1
	s_mul_u64 s[14:15], s[12:13], s[6:7]
	s_delay_alu instid0(SALU_CYCLE_1)
	v_lshl_add_u64 v[18:19], s[14:15], 2, v[0:1]
	global_load_b32 v18, v[18:19], off
	s_wait_loadcnt 0x0
	ds_store_b32 v10, v18
	s_wait_xcnt 0x0
	s_or_b32 exec_lo, exec_lo, s9
	s_and_saveexec_b32 s9, s2
	s_cbranch_execz .LBB33_7
.LBB33_11:                              ;   in Loop: Header=BB33_4 Depth=1
	s_mul_u64 s[14:15], s[18:19], s[6:7]
	s_delay_alu instid0(SALU_CYCLE_1)
	v_lshl_add_u64 v[18:19], s[14:15], 2, v[4:5]
	global_load_b32 v18, v[18:19], off
	s_wait_loadcnt 0x0
	ds_store_b32 v2, v18
	s_wait_xcnt 0x0
	s_or_b32 exec_lo, exec_lo, s9
	s_and_saveexec_b32 s9, s4
	s_cbranch_execz .LBB33_8
.LBB33_12:                              ;   in Loop: Header=BB33_4 Depth=1
	ds_store_b32 v10, v11
	s_or_b32 exec_lo, exec_lo, s9
	s_delay_alu instid0(SALU_CYCLE_1)
	s_and_b32 vcc_lo, exec_lo, s8
	s_cbranch_vccnz .LBB33_9
.LBB33_13:                              ;   in Loop: Header=BB33_4 Depth=1
	s_mov_b32 s9, 0
.LBB33_14:                              ;   in Loop: Header=BB33_4 Depth=1
	s_delay_alu instid0(SALU_CYCLE_1) | instskip(SKIP_1) | instid1(SALU_CYCLE_1)
	s_and_not1_b32 s9, s9, exec_lo
	s_and_b32 s11, s1, exec_lo
	s_or_b32 s9, s9, s11
.LBB33_15:                              ;   in Loop: Header=BB33_4 Depth=1
	s_delay_alu instid0(SALU_CYCLE_1)
	s_and_saveexec_b32 s11, s9
; %bb.16:                               ;   in Loop: Header=BB33_4 Depth=1
	ds_store_b32 v10, v3
; %bb.17:                               ;   in Loop: Header=BB33_4 Depth=1
	s_or_b32 exec_lo, exec_lo, s11
	s_wait_dscnt 0x0
	s_barrier_signal -1
	s_barrier_wait -1
	s_and_saveexec_b32 s9, s2
	s_cbranch_execz .LBB33_2
; %bb.18:                               ;   in Loop: Header=BB33_4 Depth=1
	ds_load_2addr_b32 v[18:19], v8 offset1:32
	ds_load_2addr_b32 v[20:21], v9 offset1:32
	ds_load_2addr_b32 v[22:23], v8 offset0:64 offset1:96
	ds_load_2addr_b32 v[24:25], v9 offset0:64 offset1:96
	;; [unrolled: 1-line block ×4, first 2 shown]
	s_mul_u64 s[14:15], s[28:29], s[6:7]
	s_wait_dscnt 0x4
	v_fma_f32 v34, v18, v20, 0
	s_delay_alu instid0(VALU_DEP_1) | instskip(SKIP_4) | instid1(VALU_DEP_1)
	v_fmac_f32_e32 v34, v19, v21
	ds_load_2addr_b32 v[18:19], v8 offset0:192 offset1:224
	ds_load_2addr_b32 v[20:21], v9 offset0:192 offset1:224
	s_wait_dscnt 0x4
	v_fmac_f32_e32 v34, v22, v24
	v_fmac_f32_e32 v34, v23, v25
	ds_load_2addr_b32 v[22:23], v12 offset1:32
	ds_load_2addr_b32 v[24:25], v13 offset1:32
	s_wait_dscnt 0x4
	v_fmac_f32_e32 v34, v26, v28
	s_delay_alu instid0(VALU_DEP_1) | instskip(SKIP_4) | instid1(VALU_DEP_1)
	v_fmac_f32_e32 v34, v27, v29
	ds_load_2addr_b32 v[26:27], v12 offset0:64 offset1:96
	ds_load_2addr_b32 v[28:29], v13 offset0:64 offset1:96
	s_wait_dscnt 0x4
	v_fmac_f32_e32 v34, v18, v20
	v_fmac_f32_e32 v34, v19, v21
	ds_load_2addr_b32 v[18:19], v12 offset0:128 offset1:160
	ds_load_2addr_b32 v[20:21], v13 offset0:128 offset1:160
	s_wait_dscnt 0x4
	v_fmac_f32_e32 v34, v22, v24
	s_delay_alu instid0(VALU_DEP_1) | instskip(SKIP_4) | instid1(VALU_DEP_1)
	v_fmac_f32_e32 v34, v23, v25
	ds_load_2addr_b32 v[22:23], v12 offset0:192 offset1:224
	ds_load_2addr_b32 v[24:25], v13 offset0:192 offset1:224
	s_wait_dscnt 0x4
	v_fmac_f32_e32 v34, v26, v28
	v_fmac_f32_e32 v34, v27, v29
	ds_load_2addr_b32 v[26:27], v14 offset1:32
	ds_load_2addr_b32 v[28:29], v15 offset1:32
	s_wait_dscnt 0x4
	v_fmac_f32_e32 v34, v18, v20
	s_delay_alu instid0(VALU_DEP_1)
	v_fmac_f32_e32 v34, v19, v21
	ds_load_2addr_b32 v[18:19], v14 offset0:64 offset1:96
	ds_load_2addr_b32 v[20:21], v15 offset0:64 offset1:96
	;; [unrolled: 1-line block ×4, first 2 shown]
	s_wait_dscnt 0x6
	v_fmac_f32_e32 v34, v22, v24
	s_delay_alu instid0(VALU_DEP_1) | instskip(SKIP_4) | instid1(VALU_DEP_1)
	v_fmac_f32_e32 v34, v23, v25
	ds_load_2addr_b32 v[22:23], v14 offset0:192 offset1:224
	ds_load_2addr_b32 v[24:25], v15 offset0:192 offset1:224
	s_wait_dscnt 0x6
	v_fmac_f32_e32 v34, v26, v28
	v_fmac_f32_e32 v34, v27, v29
	ds_load_2addr_b32 v[26:27], v16 offset1:32
	ds_load_2addr_b32 v[28:29], v17 offset1:32
	s_wait_dscnt 0x4
	v_pk_mul_f32 v[30:31], v[30:31], v[32:33]
	v_fmac_f32_e32 v34, v18, v20
	s_delay_alu instid0(VALU_DEP_1)
	v_fmac_f32_e32 v34, v19, v21
	ds_load_2addr_b32 v[18:19], v16 offset0:64 offset1:96
	ds_load_2addr_b32 v[20:21], v17 offset0:64 offset1:96
	s_wait_dscnt 0x4
	v_pk_mul_f32 v[22:23], v[22:23], v[24:25]
	v_add_f32_e32 v30, v34, v30
	s_delay_alu instid0(VALU_DEP_1) | instskip(SKIP_2) | instid1(VALU_DEP_2)
	v_add_f32_e32 v24, v30, v31
	s_wait_dscnt 0x2
	v_pk_mul_f32 v[26:27], v[26:27], v[28:29]
	v_add_f32_e32 v22, v24, v22
	ds_load_2addr_b32 v[24:25], v16 offset0:128 offset1:160
	ds_load_2addr_b32 v[30:31], v17 offset0:128 offset1:160
	v_add_f32_e32 v22, v22, v23
	s_wait_dscnt 0x2
	v_pk_mul_f32 v[18:19], v[18:19], v[20:21]
	s_delay_alu instid0(VALU_DEP_2) | instskip(SKIP_3) | instid1(VALU_DEP_1)
	v_add_f32_e32 v26, v22, v26
	ds_load_2addr_b32 v[22:23], v16 offset0:192 offset1:224
	ds_load_2addr_b32 v[28:29], v17 offset0:192 offset1:224
	v_add_f32_e32 v20, v26, v27
	v_add_f32_e32 v18, v20, v18
	s_wait_dscnt 0x2
	v_pk_mul_f32 v[20:21], v[24:25], v[30:31]
	s_delay_alu instid0(VALU_DEP_2) | instskip(NEXT) | instid1(VALU_DEP_1)
	v_add_f32_e32 v18, v18, v19
	v_add_f32_e32 v20, v18, v20
	s_wait_dscnt 0x0
	v_pk_mul_f32 v[18:19], v[22:23], v[28:29]
	s_delay_alu instid0(VALU_DEP_2) | instskip(NEXT) | instid1(VALU_DEP_1)
	v_add_f32_e32 v20, v20, v21
	v_add_f32_e32 v18, v20, v18
	s_delay_alu instid0(VALU_DEP_1) | instskip(NEXT) | instid1(VALU_DEP_1)
	v_add_f32_e32 v18, v18, v19
	v_mul_f32_e32 v20, s30, v18
	v_lshl_add_u64 v[18:19], s[14:15], 2, v[6:7]
	global_store_b32 v[18:19], v20, off
	s_branch .LBB33_2
.LBB33_19:
	s_endpgm
	.section	.rodata,"a",@progbits
	.p2align	6, 0x0
	.amdhsa_kernel _ZL23rocblas_trmm_rTx_kernelILi32ELb0EffKffEv13rocblas_fill_17rocblas_diagonal_iiT2_lPT3_llS5_llPT4_lli
		.amdhsa_group_segment_fixed_size 8192
		.amdhsa_private_segment_fixed_size 0
		.amdhsa_kernarg_size 108
		.amdhsa_user_sgpr_count 2
		.amdhsa_user_sgpr_dispatch_ptr 0
		.amdhsa_user_sgpr_queue_ptr 0
		.amdhsa_user_sgpr_kernarg_segment_ptr 1
		.amdhsa_user_sgpr_dispatch_id 0
		.amdhsa_user_sgpr_kernarg_preload_length 0
		.amdhsa_user_sgpr_kernarg_preload_offset 0
		.amdhsa_user_sgpr_private_segment_size 0
		.amdhsa_wavefront_size32 1
		.amdhsa_uses_dynamic_stack 0
		.amdhsa_enable_private_segment 0
		.amdhsa_system_sgpr_workgroup_id_x 1
		.amdhsa_system_sgpr_workgroup_id_y 0
		.amdhsa_system_sgpr_workgroup_id_z 1
		.amdhsa_system_sgpr_workgroup_info 0
		.amdhsa_system_vgpr_workitem_id 1
		.amdhsa_next_free_vgpr 35
		.amdhsa_next_free_sgpr 31
		.amdhsa_named_barrier_count 0
		.amdhsa_reserve_vcc 1
		.amdhsa_float_round_mode_32 0
		.amdhsa_float_round_mode_16_64 0
		.amdhsa_float_denorm_mode_32 3
		.amdhsa_float_denorm_mode_16_64 3
		.amdhsa_fp16_overflow 0
		.amdhsa_memory_ordered 1
		.amdhsa_forward_progress 1
		.amdhsa_inst_pref_size 11
		.amdhsa_round_robin_scheduling 0
		.amdhsa_exception_fp_ieee_invalid_op 0
		.amdhsa_exception_fp_denorm_src 0
		.amdhsa_exception_fp_ieee_div_zero 0
		.amdhsa_exception_fp_ieee_overflow 0
		.amdhsa_exception_fp_ieee_underflow 0
		.amdhsa_exception_fp_ieee_inexact 0
		.amdhsa_exception_int_div_zero 0
	.end_amdhsa_kernel
	.section	.text._ZL23rocblas_trmm_rTx_kernelILi32ELb0EffKffEv13rocblas_fill_17rocblas_diagonal_iiT2_lPT3_llS5_llPT4_lli,"axG",@progbits,_ZL23rocblas_trmm_rTx_kernelILi32ELb0EffKffEv13rocblas_fill_17rocblas_diagonal_iiT2_lPT3_llS5_llPT4_lli,comdat
.Lfunc_end33:
	.size	_ZL23rocblas_trmm_rTx_kernelILi32ELb0EffKffEv13rocblas_fill_17rocblas_diagonal_iiT2_lPT3_llS5_llPT4_lli, .Lfunc_end33-_ZL23rocblas_trmm_rTx_kernelILi32ELb0EffKffEv13rocblas_fill_17rocblas_diagonal_iiT2_lPT3_llS5_llPT4_lli
                                        ; -- End function
	.set _ZL23rocblas_trmm_rTx_kernelILi32ELb0EffKffEv13rocblas_fill_17rocblas_diagonal_iiT2_lPT3_llS5_llPT4_lli.num_vgpr, 35
	.set _ZL23rocblas_trmm_rTx_kernelILi32ELb0EffKffEv13rocblas_fill_17rocblas_diagonal_iiT2_lPT3_llS5_llPT4_lli.num_agpr, 0
	.set _ZL23rocblas_trmm_rTx_kernelILi32ELb0EffKffEv13rocblas_fill_17rocblas_diagonal_iiT2_lPT3_llS5_llPT4_lli.numbered_sgpr, 31
	.set _ZL23rocblas_trmm_rTx_kernelILi32ELb0EffKffEv13rocblas_fill_17rocblas_diagonal_iiT2_lPT3_llS5_llPT4_lli.num_named_barrier, 0
	.set _ZL23rocblas_trmm_rTx_kernelILi32ELb0EffKffEv13rocblas_fill_17rocblas_diagonal_iiT2_lPT3_llS5_llPT4_lli.private_seg_size, 0
	.set _ZL23rocblas_trmm_rTx_kernelILi32ELb0EffKffEv13rocblas_fill_17rocblas_diagonal_iiT2_lPT3_llS5_llPT4_lli.uses_vcc, 1
	.set _ZL23rocblas_trmm_rTx_kernelILi32ELb0EffKffEv13rocblas_fill_17rocblas_diagonal_iiT2_lPT3_llS5_llPT4_lli.uses_flat_scratch, 0
	.set _ZL23rocblas_trmm_rTx_kernelILi32ELb0EffKffEv13rocblas_fill_17rocblas_diagonal_iiT2_lPT3_llS5_llPT4_lli.has_dyn_sized_stack, 0
	.set _ZL23rocblas_trmm_rTx_kernelILi32ELb0EffKffEv13rocblas_fill_17rocblas_diagonal_iiT2_lPT3_llS5_llPT4_lli.has_recursion, 0
	.set _ZL23rocblas_trmm_rTx_kernelILi32ELb0EffKffEv13rocblas_fill_17rocblas_diagonal_iiT2_lPT3_llS5_llPT4_lli.has_indirect_call, 0
	.section	.AMDGPU.csdata,"",@progbits
; Kernel info:
; codeLenInByte = 1356
; TotalNumSgprs: 33
; NumVgprs: 35
; ScratchSize: 0
; MemoryBound: 0
; FloatMode: 240
; IeeeMode: 1
; LDSByteSize: 8192 bytes/workgroup (compile time only)
; SGPRBlocks: 0
; VGPRBlocks: 2
; NumSGPRsForWavesPerEU: 33
; NumVGPRsForWavesPerEU: 35
; NamedBarCnt: 0
; Occupancy: 16
; WaveLimiterHint : 0
; COMPUTE_PGM_RSRC2:SCRATCH_EN: 0
; COMPUTE_PGM_RSRC2:USER_SGPR: 2
; COMPUTE_PGM_RSRC2:TRAP_HANDLER: 0
; COMPUTE_PGM_RSRC2:TGID_X_EN: 1
; COMPUTE_PGM_RSRC2:TGID_Y_EN: 0
; COMPUTE_PGM_RSRC2:TGID_Z_EN: 1
; COMPUTE_PGM_RSRC2:TIDIG_COMP_CNT: 1
	.section	.text._ZL23rocblas_trmm_rTx_kernelILi32ELb1EfPKfS0_fEv13rocblas_fill_17rocblas_diagonal_iiT2_lPT3_llS6_llPT4_lli,"axG",@progbits,_ZL23rocblas_trmm_rTx_kernelILi32ELb1EfPKfS0_fEv13rocblas_fill_17rocblas_diagonal_iiT2_lPT3_llS6_llPT4_lli,comdat
	.globl	_ZL23rocblas_trmm_rTx_kernelILi32ELb1EfPKfS0_fEv13rocblas_fill_17rocblas_diagonal_iiT2_lPT3_llS6_llPT4_lli ; -- Begin function _ZL23rocblas_trmm_rTx_kernelILi32ELb1EfPKfS0_fEv13rocblas_fill_17rocblas_diagonal_iiT2_lPT3_llS6_llPT4_lli
	.p2align	8
	.type	_ZL23rocblas_trmm_rTx_kernelILi32ELb1EfPKfS0_fEv13rocblas_fill_17rocblas_diagonal_iiT2_lPT3_llS6_llPT4_lli,@function
_ZL23rocblas_trmm_rTx_kernelILi32ELb1EfPKfS0_fEv13rocblas_fill_17rocblas_diagonal_iiT2_lPT3_llS6_llPT4_lli: ; @_ZL23rocblas_trmm_rTx_kernelILi32ELb1EfPKfS0_fEv13rocblas_fill_17rocblas_diagonal_iiT2_lPT3_llS6_llPT4_lli
; %bb.0:
	s_load_b32 s5, s[0:1], 0x68
	s_bfe_u32 s2, ttmp6, 0x40014
	s_lshr_b32 s3, ttmp7, 16
	s_add_co_i32 s2, s2, 1
	s_bfe_u32 s6, ttmp6, 0x40008
	s_mul_i32 s4, s3, s2
	s_getreg_b32 s2, hwreg(HW_REG_IB_STS2, 6, 4)
	s_add_co_i32 s6, s6, s4
	s_cmp_eq_u32 s2, 0
	s_mov_b32 s7, 0
	s_cselect_b32 s6, s3, s6
	s_wait_kmcnt 0x0
	s_cmp_ge_u32 s6, s5
	s_cbranch_scc1 .LBB34_19
; %bb.1:
	s_clause 0x3
	s_load_b128 s[24:27], s[0:1], 0x0
	s_load_b512 s[8:23], s[0:1], 0x10
	s_load_b128 s[28:31], s[0:1], 0x50
	s_load_b64 s[34:35], s[0:1], 0x60
	v_bfe_u32 v2, v0, 10, 10
	v_dual_mov_b32 v3, 0 :: v_dual_mov_b32 v8, 1.0
	s_wait_xcnt 0x0
	s_bfe_u32 s0, ttmp6, 0x4000c
	s_and_b32 s3, ttmp6, 15
	s_add_co_i32 s0, s0, 1
	v_and_b32_e32 v0, 0x3ff, v0
	s_mul_i32 s4, ttmp9, s0
	v_dual_lshlrev_b32 v11, 5, v2 :: v_dual_mov_b32 v1, v3
	s_add_co_i32 s3, s3, s4
	s_delay_alu instid0(VALU_DEP_2)
	v_cmp_eq_u32_e32 vcc_lo, v2, v0
	v_cmp_lt_u32_e64 s0, v0, v2
	v_cmp_gt_u32_e64 s1, v0, v2
	v_lshlrev_b64_e32 v[16:17], 2, v[0:1]
	v_lshl_add_u32 v9, v0, 2, 0x1000
	s_wait_kmcnt 0x0
	s_add_co_i32 s33, s26, -1
	v_mul_u64_e32 v[4:5], s[14:15], v[2:3]
	v_mul_u64_e32 v[6:7], s[20:21], v[2:3]
	;; [unrolled: 1-line block ×3, first 2 shown]
	s_ashr_i32 s14, s33, 31
	v_add_lshl_u32 v11, v11, v0, 2
	s_lshr_b32 s14, s14, 27
	v_lshlrev_b32_e32 v10, 2, v2
	s_add_co_i32 s4, s33, s14
	v_add_nc_u32_e32 v12, 0x400, v9
	s_and_b32 s14, s4, 0xffffffe0
	s_ashr_i32 s4, s4, 5
	s_sub_co_i32 s14, s26, s14
	s_cmp_eq_u32 s2, 0
	v_cmp_gt_i32_e64 s2, s27, v2
	s_cselect_b32 s3, ttmp9, s3
	v_add_nc_u32_e32 v2, 0x400, v10
	s_cmp_ge_i32 s3, s4
	v_add_nc_u32_e32 v13, 0x1000, v11
	s_cselect_b32 s4, s14, 32
	s_lshl_b32 s14, s3, 5
	v_cmp_gt_i32_e64 s3, s27, v0
	s_ashr_i32 s15, s14, 31
	v_cmp_gt_i32_e64 s4, s4, v0
	s_lshl_b64 s[14:15], s[14:15], 2
	s_delay_alu instid0(SALU_CYCLE_1)
	s_add_nc_u64 s[18:19], s[18:19], s[14:15]
	s_add_nc_u64 s[14:15], s[28:29], s[14:15]
	s_and_b32 s3, s2, s3
	s_and_b32 s2, s2, s4
	s_cmp_eq_u32 s25, 0x84
	s_cselect_b32 s4, -1, 0
	v_lshl_add_u64 v[0:1], v[4:5], 2, s[12:13]
	v_lshl_add_u64 v[4:5], v[6:7], 2, s[18:19]
	;; [unrolled: 1-line block ×3, first 2 shown]
	s_and_b32 s4, vcc_lo, s4
	v_add_nc_u32_e32 v14, 0x800, v9
	v_add_nc_u64_e32 v[0:1], v[0:1], v[16:17]
	v_add_nc_u64_e32 v[4:5], v[4:5], v[16:17]
	;; [unrolled: 1-line block ×3, first 2 shown]
	v_add_nc_u32_e32 v15, 0x800, v10
	v_add_nc_u32_e32 v16, 0xc00, v9
	;; [unrolled: 1-line block ×3, first 2 shown]
	s_cmp_lg_u32 s24, 0x79
	s_cselect_b32 s12, -1, 0
	s_branch .LBB34_4
.LBB34_2:                               ;   in Loop: Header=BB34_4 Depth=1
	s_wait_xcnt 0x0
	s_or_b32 exec_lo, exec_lo, s13
.LBB34_3:                               ;   in Loop: Header=BB34_4 Depth=1
	s_add_co_i32 s6, s6, 0x10000
	s_delay_alu instid0(SALU_CYCLE_1)
	s_cmp_lt_u32 s6, s5
	s_cbranch_scc0 .LBB34_19
.LBB34_4:                               ; =>This Inner Loop Header: Depth=1
	s_wait_xcnt 0x0
	s_mul_u64 s[14:15], s[10:11], s[6:7]
	s_delay_alu instid0(SALU_CYCLE_1) | instskip(NEXT) | instid1(SALU_CYCLE_1)
	s_lshl_b64 s[14:15], s[14:15], 2
	s_add_nc_u64 s[14:15], s[8:9], s[14:15]
	global_load_b32 v18, v3, s[14:15]
	s_wait_loadcnt 0x0
	v_cmp_eq_f32_e32 vcc_lo, 0, v18
	s_cbranch_vccnz .LBB34_3
; %bb.5:                                ;   in Loop: Header=BB34_4 Depth=1
	ds_store_b32 v11, v3
	ds_store_b32 v13, v3
	s_wait_xcnt 0x0
	s_and_saveexec_b32 s13, s3
	s_cbranch_execnz .LBB34_10
; %bb.6:                                ;   in Loop: Header=BB34_4 Depth=1
	s_or_b32 exec_lo, exec_lo, s13
	s_and_saveexec_b32 s13, s2
	s_cbranch_execnz .LBB34_11
.LBB34_7:                               ;   in Loop: Header=BB34_4 Depth=1
	s_or_b32 exec_lo, exec_lo, s13
	s_and_saveexec_b32 s13, s4
	s_cbranch_execnz .LBB34_12
.LBB34_8:                               ;   in Loop: Header=BB34_4 Depth=1
	s_or_b32 exec_lo, exec_lo, s13
	s_delay_alu instid0(SALU_CYCLE_1)
	s_and_b32 vcc_lo, exec_lo, s12
	s_cbranch_vccz .LBB34_13
.LBB34_9:                               ;   in Loop: Header=BB34_4 Depth=1
	s_and_b32 s13, s0, exec_lo
	s_cbranch_execz .LBB34_14
	s_branch .LBB34_15
.LBB34_10:                              ;   in Loop: Header=BB34_4 Depth=1
	s_mul_u64 s[14:15], s[16:17], s[6:7]
	s_delay_alu instid0(SALU_CYCLE_1)
	v_lshl_add_u64 v[20:21], s[14:15], 2, v[0:1]
	global_load_b32 v19, v[20:21], off
	s_wait_loadcnt 0x0
	ds_store_b32 v11, v19
	s_wait_xcnt 0x0
	s_or_b32 exec_lo, exec_lo, s13
	s_and_saveexec_b32 s13, s2
	s_cbranch_execz .LBB34_7
.LBB34_11:                              ;   in Loop: Header=BB34_4 Depth=1
	s_mul_u64 s[14:15], s[22:23], s[6:7]
	s_delay_alu instid0(SALU_CYCLE_1)
	v_lshl_add_u64 v[20:21], s[14:15], 2, v[4:5]
	global_load_b32 v19, v[20:21], off
	s_wait_loadcnt 0x0
	ds_store_b32 v13, v19
	s_wait_xcnt 0x0
	s_or_b32 exec_lo, exec_lo, s13
	s_and_saveexec_b32 s13, s4
	s_cbranch_execz .LBB34_8
.LBB34_12:                              ;   in Loop: Header=BB34_4 Depth=1
	ds_store_b32 v11, v8
	s_or_b32 exec_lo, exec_lo, s13
	s_delay_alu instid0(SALU_CYCLE_1)
	s_and_b32 vcc_lo, exec_lo, s12
	s_cbranch_vccnz .LBB34_9
.LBB34_13:                              ;   in Loop: Header=BB34_4 Depth=1
	s_mov_b32 s13, 0
.LBB34_14:                              ;   in Loop: Header=BB34_4 Depth=1
	s_delay_alu instid0(SALU_CYCLE_1) | instskip(SKIP_1) | instid1(SALU_CYCLE_1)
	s_and_not1_b32 s13, s13, exec_lo
	s_and_b32 s14, s1, exec_lo
	s_or_b32 s13, s13, s14
.LBB34_15:                              ;   in Loop: Header=BB34_4 Depth=1
	s_delay_alu instid0(SALU_CYCLE_1)
	s_and_saveexec_b32 s14, s13
; %bb.16:                               ;   in Loop: Header=BB34_4 Depth=1
	ds_store_b32 v11, v3
; %bb.17:                               ;   in Loop: Header=BB34_4 Depth=1
	s_or_b32 exec_lo, exec_lo, s14
	s_wait_dscnt 0x0
	s_barrier_signal -1
	s_barrier_wait -1
	s_and_saveexec_b32 s13, s2
	s_cbranch_execz .LBB34_2
; %bb.18:                               ;   in Loop: Header=BB34_4 Depth=1
	ds_load_2addr_b32 v[20:21], v9 offset1:32
	ds_load_2addr_b32 v[22:23], v10 offset1:32
	ds_load_2addr_b32 v[24:25], v9 offset0:64 offset1:96
	ds_load_2addr_b32 v[26:27], v10 offset0:64 offset1:96
	;; [unrolled: 1-line block ×4, first 2 shown]
	s_mul_u64 s[14:15], s[34:35], s[6:7]
	s_wait_dscnt 0x4
	v_fma_f32 v19, v20, v22, 0
	s_delay_alu instid0(VALU_DEP_1) | instskip(SKIP_4) | instid1(VALU_DEP_1)
	v_fmac_f32_e32 v19, v21, v23
	ds_load_2addr_b32 v[20:21], v9 offset0:192 offset1:224
	ds_load_2addr_b32 v[22:23], v10 offset0:192 offset1:224
	s_wait_dscnt 0x4
	v_fmac_f32_e32 v19, v24, v26
	v_fmac_f32_e32 v19, v25, v27
	ds_load_2addr_b32 v[24:25], v12 offset1:32
	ds_load_2addr_b32 v[26:27], v2 offset1:32
	s_wait_dscnt 0x4
	v_fmac_f32_e32 v19, v28, v30
	s_delay_alu instid0(VALU_DEP_1) | instskip(SKIP_4) | instid1(VALU_DEP_1)
	v_fmac_f32_e32 v19, v29, v31
	ds_load_2addr_b32 v[28:29], v12 offset0:64 offset1:96
	ds_load_2addr_b32 v[30:31], v2 offset0:64 offset1:96
	s_wait_dscnt 0x4
	v_fmac_f32_e32 v19, v20, v22
	v_fmac_f32_e32 v19, v21, v23
	ds_load_2addr_b32 v[20:21], v12 offset0:128 offset1:160
	ds_load_2addr_b32 v[22:23], v2 offset0:128 offset1:160
	s_wait_dscnt 0x4
	v_fmac_f32_e32 v19, v24, v26
	s_delay_alu instid0(VALU_DEP_1) | instskip(SKIP_4) | instid1(VALU_DEP_1)
	v_fmac_f32_e32 v19, v25, v27
	ds_load_2addr_b32 v[24:25], v12 offset0:192 offset1:224
	ds_load_2addr_b32 v[26:27], v2 offset0:192 offset1:224
	s_wait_dscnt 0x4
	v_fmac_f32_e32 v19, v28, v30
	v_fmac_f32_e32 v19, v29, v31
	ds_load_2addr_b32 v[28:29], v14 offset1:32
	ds_load_2addr_b32 v[30:31], v15 offset1:32
	s_wait_dscnt 0x4
	v_fmac_f32_e32 v19, v20, v22
	s_delay_alu instid0(VALU_DEP_1)
	v_fmac_f32_e32 v19, v21, v23
	ds_load_2addr_b32 v[20:21], v14 offset0:64 offset1:96
	ds_load_2addr_b32 v[22:23], v15 offset0:64 offset1:96
	;; [unrolled: 1-line block ×4, first 2 shown]
	s_wait_dscnt 0x6
	v_fmac_f32_e32 v19, v24, v26
	s_delay_alu instid0(VALU_DEP_1) | instskip(SKIP_4) | instid1(VALU_DEP_1)
	v_fmac_f32_e32 v19, v25, v27
	ds_load_2addr_b32 v[24:25], v14 offset0:192 offset1:224
	ds_load_2addr_b32 v[26:27], v15 offset0:192 offset1:224
	s_wait_dscnt 0x6
	v_fmac_f32_e32 v19, v28, v30
	v_fmac_f32_e32 v19, v29, v31
	ds_load_2addr_b32 v[28:29], v16 offset1:32
	ds_load_2addr_b32 v[30:31], v17 offset1:32
	s_wait_dscnt 0x4
	v_pk_mul_f32 v[32:33], v[32:33], v[34:35]
	v_fmac_f32_e32 v19, v20, v22
	s_delay_alu instid0(VALU_DEP_1)
	v_fmac_f32_e32 v19, v21, v23
	ds_load_2addr_b32 v[20:21], v16 offset0:64 offset1:96
	ds_load_2addr_b32 v[22:23], v17 offset0:64 offset1:96
	s_wait_dscnt 0x4
	v_pk_mul_f32 v[24:25], v[24:25], v[26:27]
	v_add_f32_e32 v19, v19, v32
	s_delay_alu instid0(VALU_DEP_1)
	v_add_f32_e32 v19, v19, v33
	ds_load_2addr_b32 v[26:27], v16 offset0:128 offset1:160
	ds_load_2addr_b32 v[32:33], v17 offset0:128 offset1:160
	s_wait_dscnt 0x4
	v_pk_mul_f32 v[28:29], v[28:29], v[30:31]
	v_add_f32_e32 v19, v19, v24
	s_delay_alu instid0(VALU_DEP_1)
	v_add_f32_e32 v19, v19, v25
	ds_load_2addr_b32 v[24:25], v16 offset0:192 offset1:224
	ds_load_2addr_b32 v[30:31], v17 offset0:192 offset1:224
	s_wait_dscnt 0x4
	v_pk_mul_f32 v[20:21], v[20:21], v[22:23]
	v_add_f32_e32 v19, v19, v28
	s_delay_alu instid0(VALU_DEP_1) | instskip(SKIP_2) | instid1(VALU_DEP_2)
	v_add_f32_e32 v19, v19, v29
	s_wait_dscnt 0x2
	v_pk_mul_f32 v[22:23], v[26:27], v[32:33]
	v_add_f32_e32 v19, v19, v20
	s_delay_alu instid0(VALU_DEP_1) | instskip(SKIP_2) | instid1(VALU_DEP_2)
	v_add_f32_e32 v19, v19, v21
	s_wait_dscnt 0x0
	v_pk_mul_f32 v[20:21], v[24:25], v[30:31]
	v_add_f32_e32 v19, v19, v22
	s_delay_alu instid0(VALU_DEP_1) | instskip(NEXT) | instid1(VALU_DEP_1)
	v_add_f32_e32 v19, v19, v23
	v_add_f32_e32 v19, v19, v20
	s_delay_alu instid0(VALU_DEP_1) | instskip(NEXT) | instid1(VALU_DEP_1)
	v_add_f32_e32 v19, v19, v21
	v_mul_f32_e32 v20, v18, v19
	v_lshl_add_u64 v[18:19], s[14:15], 2, v[6:7]
	global_store_b32 v[18:19], v20, off
	s_branch .LBB34_2
.LBB34_19:
	s_endpgm
	.section	.rodata,"a",@progbits
	.p2align	6, 0x0
	.amdhsa_kernel _ZL23rocblas_trmm_rTx_kernelILi32ELb1EfPKfS0_fEv13rocblas_fill_17rocblas_diagonal_iiT2_lPT3_llS6_llPT4_lli
		.amdhsa_group_segment_fixed_size 8192
		.amdhsa_private_segment_fixed_size 0
		.amdhsa_kernarg_size 108
		.amdhsa_user_sgpr_count 2
		.amdhsa_user_sgpr_dispatch_ptr 0
		.amdhsa_user_sgpr_queue_ptr 0
		.amdhsa_user_sgpr_kernarg_segment_ptr 1
		.amdhsa_user_sgpr_dispatch_id 0
		.amdhsa_user_sgpr_kernarg_preload_length 0
		.amdhsa_user_sgpr_kernarg_preload_offset 0
		.amdhsa_user_sgpr_private_segment_size 0
		.amdhsa_wavefront_size32 1
		.amdhsa_uses_dynamic_stack 0
		.amdhsa_enable_private_segment 0
		.amdhsa_system_sgpr_workgroup_id_x 1
		.amdhsa_system_sgpr_workgroup_id_y 0
		.amdhsa_system_sgpr_workgroup_id_z 1
		.amdhsa_system_sgpr_workgroup_info 0
		.amdhsa_system_vgpr_workitem_id 1
		.amdhsa_next_free_vgpr 36
		.amdhsa_next_free_sgpr 36
		.amdhsa_named_barrier_count 0
		.amdhsa_reserve_vcc 1
		.amdhsa_float_round_mode_32 0
		.amdhsa_float_round_mode_16_64 0
		.amdhsa_float_denorm_mode_32 3
		.amdhsa_float_denorm_mode_16_64 3
		.amdhsa_fp16_overflow 0
		.amdhsa_memory_ordered 1
		.amdhsa_forward_progress 1
		.amdhsa_inst_pref_size 11
		.amdhsa_round_robin_scheduling 0
		.amdhsa_exception_fp_ieee_invalid_op 0
		.amdhsa_exception_fp_denorm_src 0
		.amdhsa_exception_fp_ieee_div_zero 0
		.amdhsa_exception_fp_ieee_overflow 0
		.amdhsa_exception_fp_ieee_underflow 0
		.amdhsa_exception_fp_ieee_inexact 0
		.amdhsa_exception_int_div_zero 0
	.end_amdhsa_kernel
	.section	.text._ZL23rocblas_trmm_rTx_kernelILi32ELb1EfPKfS0_fEv13rocblas_fill_17rocblas_diagonal_iiT2_lPT3_llS6_llPT4_lli,"axG",@progbits,_ZL23rocblas_trmm_rTx_kernelILi32ELb1EfPKfS0_fEv13rocblas_fill_17rocblas_diagonal_iiT2_lPT3_llS6_llPT4_lli,comdat
.Lfunc_end34:
	.size	_ZL23rocblas_trmm_rTx_kernelILi32ELb1EfPKfS0_fEv13rocblas_fill_17rocblas_diagonal_iiT2_lPT3_llS6_llPT4_lli, .Lfunc_end34-_ZL23rocblas_trmm_rTx_kernelILi32ELb1EfPKfS0_fEv13rocblas_fill_17rocblas_diagonal_iiT2_lPT3_llS6_llPT4_lli
                                        ; -- End function
	.set _ZL23rocblas_trmm_rTx_kernelILi32ELb1EfPKfS0_fEv13rocblas_fill_17rocblas_diagonal_iiT2_lPT3_llS6_llPT4_lli.num_vgpr, 36
	.set _ZL23rocblas_trmm_rTx_kernelILi32ELb1EfPKfS0_fEv13rocblas_fill_17rocblas_diagonal_iiT2_lPT3_llS6_llPT4_lli.num_agpr, 0
	.set _ZL23rocblas_trmm_rTx_kernelILi32ELb1EfPKfS0_fEv13rocblas_fill_17rocblas_diagonal_iiT2_lPT3_llS6_llPT4_lli.numbered_sgpr, 36
	.set _ZL23rocblas_trmm_rTx_kernelILi32ELb1EfPKfS0_fEv13rocblas_fill_17rocblas_diagonal_iiT2_lPT3_llS6_llPT4_lli.num_named_barrier, 0
	.set _ZL23rocblas_trmm_rTx_kernelILi32ELb1EfPKfS0_fEv13rocblas_fill_17rocblas_diagonal_iiT2_lPT3_llS6_llPT4_lli.private_seg_size, 0
	.set _ZL23rocblas_trmm_rTx_kernelILi32ELb1EfPKfS0_fEv13rocblas_fill_17rocblas_diagonal_iiT2_lPT3_llS6_llPT4_lli.uses_vcc, 1
	.set _ZL23rocblas_trmm_rTx_kernelILi32ELb1EfPKfS0_fEv13rocblas_fill_17rocblas_diagonal_iiT2_lPT3_llS6_llPT4_lli.uses_flat_scratch, 0
	.set _ZL23rocblas_trmm_rTx_kernelILi32ELb1EfPKfS0_fEv13rocblas_fill_17rocblas_diagonal_iiT2_lPT3_llS6_llPT4_lli.has_dyn_sized_stack, 0
	.set _ZL23rocblas_trmm_rTx_kernelILi32ELb1EfPKfS0_fEv13rocblas_fill_17rocblas_diagonal_iiT2_lPT3_llS6_llPT4_lli.has_recursion, 0
	.set _ZL23rocblas_trmm_rTx_kernelILi32ELb1EfPKfS0_fEv13rocblas_fill_17rocblas_diagonal_iiT2_lPT3_llS6_llPT4_lli.has_indirect_call, 0
	.section	.AMDGPU.csdata,"",@progbits
; Kernel info:
; codeLenInByte = 1392
; TotalNumSgprs: 38
; NumVgprs: 36
; ScratchSize: 0
; MemoryBound: 0
; FloatMode: 240
; IeeeMode: 1
; LDSByteSize: 8192 bytes/workgroup (compile time only)
; SGPRBlocks: 0
; VGPRBlocks: 2
; NumSGPRsForWavesPerEU: 38
; NumVGPRsForWavesPerEU: 36
; NamedBarCnt: 0
; Occupancy: 16
; WaveLimiterHint : 0
; COMPUTE_PGM_RSRC2:SCRATCH_EN: 0
; COMPUTE_PGM_RSRC2:USER_SGPR: 2
; COMPUTE_PGM_RSRC2:TRAP_HANDLER: 0
; COMPUTE_PGM_RSRC2:TGID_X_EN: 1
; COMPUTE_PGM_RSRC2:TGID_Y_EN: 0
; COMPUTE_PGM_RSRC2:TGID_Z_EN: 1
; COMPUTE_PGM_RSRC2:TIDIG_COMP_CNT: 1
	.section	.text._ZL23rocblas_trmm_rTx_kernelILi32ELb1EffKffEv13rocblas_fill_17rocblas_diagonal_iiT2_lPT3_llS5_llPT4_lli,"axG",@progbits,_ZL23rocblas_trmm_rTx_kernelILi32ELb1EffKffEv13rocblas_fill_17rocblas_diagonal_iiT2_lPT3_llS5_llPT4_lli,comdat
	.globl	_ZL23rocblas_trmm_rTx_kernelILi32ELb1EffKffEv13rocblas_fill_17rocblas_diagonal_iiT2_lPT3_llS5_llPT4_lli ; -- Begin function _ZL23rocblas_trmm_rTx_kernelILi32ELb1EffKffEv13rocblas_fill_17rocblas_diagonal_iiT2_lPT3_llS5_llPT4_lli
	.p2align	8
	.type	_ZL23rocblas_trmm_rTx_kernelILi32ELb1EffKffEv13rocblas_fill_17rocblas_diagonal_iiT2_lPT3_llS5_llPT4_lli,@function
_ZL23rocblas_trmm_rTx_kernelILi32ELb1EffKffEv13rocblas_fill_17rocblas_diagonal_iiT2_lPT3_llS5_llPT4_lli: ; @_ZL23rocblas_trmm_rTx_kernelILi32ELb1EffKffEv13rocblas_fill_17rocblas_diagonal_iiT2_lPT3_llS5_llPT4_lli
; %bb.0:
	s_load_b32 s5, s[0:1], 0x68
	s_bfe_u32 s2, ttmp6, 0x40014
	s_lshr_b32 s3, ttmp7, 16
	s_add_co_i32 s2, s2, 1
	s_bfe_u32 s6, ttmp6, 0x40008
	s_mul_i32 s4, s3, s2
	s_getreg_b32 s2, hwreg(HW_REG_IB_STS2, 6, 4)
	s_add_co_i32 s6, s6, s4
	s_cmp_eq_u32 s2, 0
	s_mov_b32 s7, 0
	s_cselect_b32 s6, s3, s6
	s_wait_kmcnt 0x0
	s_cmp_ge_u32 s6, s5
	s_cbranch_scc1 .LBB35_19
; %bb.1:
	s_clause 0x2
	s_load_b32 s30, s[0:1], 0x10
	s_load_b512 s[8:23], s[0:1], 0x20
	s_load_b128 s[24:27], s[0:1], 0x0
	v_bfe_u32 v2, v0, 10, 10
	v_mov_b32_e32 v3, 0
	v_and_b32_e32 v0, 0x3ff, v0
	s_load_b64 s[28:29], s[0:1], 0x60
	s_delay_alu instid0(VALU_DEP_3) | instskip(NEXT) | instid1(VALU_DEP_3)
	v_dual_mov_b32 v11, 1.0 :: v_dual_lshlrev_b32 v10, 5, v2
	v_dual_mov_b32 v1, v3 :: v_dual_lshlrev_b32 v9, 2, v2
	s_delay_alu instid0(VALU_DEP_3)
	v_cmp_eq_u32_e32 vcc_lo, v2, v0
	s_wait_xcnt 0x0
	v_cmp_lt_u32_e64 s0, v0, v2
	v_cmp_gt_u32_e64 s1, v0, v2
	v_lshlrev_b64_e32 v[14:15], 2, v[0:1]
	v_lshl_add_u32 v8, v0, 2, 0x1000
	v_add_lshl_u32 v10, v10, v0, 2
	v_add_nc_u32_e32 v17, 0xc00, v9
	s_wait_kmcnt 0x0
	s_cmp_neq_f32 s30, 0
	v_mul_u64_e32 v[4:5], s[10:11], v[2:3]
	v_mul_u64_e32 v[6:7], s[16:17], v[2:3]
	;; [unrolled: 1-line block ×3, first 2 shown]
	s_cselect_b32 s10, -1, 0
	s_add_co_i32 s3, s26, -1
	s_bfe_u32 s11, ttmp6, 0x4000c
	s_ashr_i32 s16, s3, 31
	s_add_co_i32 s11, s11, 1
	s_lshr_b32 s16, s16, 27
	s_and_b32 s4, ttmp6, 15
	s_mul_i32 s11, ttmp9, s11
	s_add_co_i32 s3, s3, s16
	s_add_co_i32 s4, s4, s11
	s_and_b32 s11, s3, 0xffffffe0
	s_ashr_i32 s3, s3, 5
	s_sub_co_i32 s11, s26, s11
	s_cmp_eq_u32 s2, 0
	v_cmp_gt_i32_e64 s2, s27, v2
	s_cselect_b32 s4, ttmp9, s4
	v_add_nc_u32_e32 v2, 0x1000, v10
	s_cmp_ge_i32 s4, s3
	v_cmp_gt_i32_e64 s3, s27, v0
	s_cselect_b32 s11, s11, 32
	s_lshl_b32 s16, s4, 5
	v_cmp_gt_i32_e64 s4, s11, v0
	s_ashr_i32 s17, s16, 31
	s_and_b32 s3, s2, s3
	s_lshl_b64 s[16:17], s[16:17], 2
	v_add_nc_u32_e32 v16, 0xc00, v8
	s_add_nc_u64 s[14:15], s[14:15], s[16:17]
	s_add_nc_u64 s[16:17], s[20:21], s[16:17]
	s_and_b32 s2, s2, s4
	v_lshl_add_u64 v[0:1], v[4:5], 2, s[8:9]
	v_lshl_add_u64 v[4:5], v[6:7], 2, s[14:15]
	;; [unrolled: 1-line block ×3, first 2 shown]
	s_cmp_eq_u32 s25, 0x84
	v_add_nc_u32_e32 v12, 0x400, v8
	s_cselect_b32 s4, -1, 0
	v_add_nc_u64_e32 v[0:1], v[0:1], v[14:15]
	v_add_nc_u64_e32 v[4:5], v[4:5], v[14:15]
	;; [unrolled: 1-line block ×3, first 2 shown]
	s_and_b32 s4, vcc_lo, s4
	v_add_nc_u32_e32 v13, 0x400, v9
	v_add_nc_u32_e32 v14, 0x800, v8
	;; [unrolled: 1-line block ×3, first 2 shown]
	s_cmp_lg_u32 s24, 0x79
	s_cselect_b32 s8, -1, 0
	s_branch .LBB35_4
.LBB35_2:                               ;   in Loop: Header=BB35_4 Depth=1
	s_wait_xcnt 0x0
	s_or_b32 exec_lo, exec_lo, s9
.LBB35_3:                               ;   in Loop: Header=BB35_4 Depth=1
	s_add_co_i32 s6, s6, 0x10000
	s_delay_alu instid0(SALU_CYCLE_1)
	s_cmp_lt_u32 s6, s5
	s_cbranch_scc0 .LBB35_19
.LBB35_4:                               ; =>This Inner Loop Header: Depth=1
	s_and_not1_b32 vcc_lo, exec_lo, s10
	s_cbranch_vccnz .LBB35_3
; %bb.5:                                ;   in Loop: Header=BB35_4 Depth=1
	ds_store_b32 v10, v3
	ds_store_b32 v2, v3
	s_and_saveexec_b32 s9, s3
	s_cbranch_execnz .LBB35_10
; %bb.6:                                ;   in Loop: Header=BB35_4 Depth=1
	s_or_b32 exec_lo, exec_lo, s9
	s_and_saveexec_b32 s9, s2
	s_cbranch_execnz .LBB35_11
.LBB35_7:                               ;   in Loop: Header=BB35_4 Depth=1
	s_or_b32 exec_lo, exec_lo, s9
	s_and_saveexec_b32 s9, s4
	s_cbranch_execnz .LBB35_12
.LBB35_8:                               ;   in Loop: Header=BB35_4 Depth=1
	s_or_b32 exec_lo, exec_lo, s9
	s_delay_alu instid0(SALU_CYCLE_1)
	s_and_b32 vcc_lo, exec_lo, s8
	s_cbranch_vccz .LBB35_13
.LBB35_9:                               ;   in Loop: Header=BB35_4 Depth=1
	s_and_b32 s9, s0, exec_lo
	s_cbranch_execz .LBB35_14
	s_branch .LBB35_15
.LBB35_10:                              ;   in Loop: Header=BB35_4 Depth=1
	s_mul_u64 s[14:15], s[12:13], s[6:7]
	s_delay_alu instid0(SALU_CYCLE_1)
	v_lshl_add_u64 v[18:19], s[14:15], 2, v[0:1]
	global_load_b32 v18, v[18:19], off
	s_wait_loadcnt 0x0
	ds_store_b32 v10, v18
	s_wait_xcnt 0x0
	s_or_b32 exec_lo, exec_lo, s9
	s_and_saveexec_b32 s9, s2
	s_cbranch_execz .LBB35_7
.LBB35_11:                              ;   in Loop: Header=BB35_4 Depth=1
	s_mul_u64 s[14:15], s[18:19], s[6:7]
	s_delay_alu instid0(SALU_CYCLE_1)
	v_lshl_add_u64 v[18:19], s[14:15], 2, v[4:5]
	global_load_b32 v18, v[18:19], off
	s_wait_loadcnt 0x0
	ds_store_b32 v2, v18
	s_wait_xcnt 0x0
	s_or_b32 exec_lo, exec_lo, s9
	s_and_saveexec_b32 s9, s4
	s_cbranch_execz .LBB35_8
.LBB35_12:                              ;   in Loop: Header=BB35_4 Depth=1
	ds_store_b32 v10, v11
	s_or_b32 exec_lo, exec_lo, s9
	s_delay_alu instid0(SALU_CYCLE_1)
	s_and_b32 vcc_lo, exec_lo, s8
	s_cbranch_vccnz .LBB35_9
.LBB35_13:                              ;   in Loop: Header=BB35_4 Depth=1
	s_mov_b32 s9, 0
.LBB35_14:                              ;   in Loop: Header=BB35_4 Depth=1
	s_delay_alu instid0(SALU_CYCLE_1) | instskip(SKIP_1) | instid1(SALU_CYCLE_1)
	s_and_not1_b32 s9, s9, exec_lo
	s_and_b32 s11, s1, exec_lo
	s_or_b32 s9, s9, s11
.LBB35_15:                              ;   in Loop: Header=BB35_4 Depth=1
	s_delay_alu instid0(SALU_CYCLE_1)
	s_and_saveexec_b32 s11, s9
; %bb.16:                               ;   in Loop: Header=BB35_4 Depth=1
	ds_store_b32 v10, v3
; %bb.17:                               ;   in Loop: Header=BB35_4 Depth=1
	s_or_b32 exec_lo, exec_lo, s11
	s_wait_dscnt 0x0
	s_barrier_signal -1
	s_barrier_wait -1
	s_and_saveexec_b32 s9, s2
	s_cbranch_execz .LBB35_2
; %bb.18:                               ;   in Loop: Header=BB35_4 Depth=1
	ds_load_2addr_b32 v[18:19], v8 offset1:32
	ds_load_2addr_b32 v[20:21], v9 offset1:32
	ds_load_2addr_b32 v[22:23], v8 offset0:64 offset1:96
	ds_load_2addr_b32 v[24:25], v9 offset0:64 offset1:96
	;; [unrolled: 1-line block ×4, first 2 shown]
	s_mul_u64 s[14:15], s[28:29], s[6:7]
	s_wait_dscnt 0x4
	v_fma_f32 v34, v18, v20, 0
	s_delay_alu instid0(VALU_DEP_1) | instskip(SKIP_4) | instid1(VALU_DEP_1)
	v_fmac_f32_e32 v34, v19, v21
	ds_load_2addr_b32 v[18:19], v8 offset0:192 offset1:224
	ds_load_2addr_b32 v[20:21], v9 offset0:192 offset1:224
	s_wait_dscnt 0x4
	v_fmac_f32_e32 v34, v22, v24
	v_fmac_f32_e32 v34, v23, v25
	ds_load_2addr_b32 v[22:23], v12 offset1:32
	ds_load_2addr_b32 v[24:25], v13 offset1:32
	s_wait_dscnt 0x4
	v_fmac_f32_e32 v34, v26, v28
	s_delay_alu instid0(VALU_DEP_1) | instskip(SKIP_4) | instid1(VALU_DEP_1)
	v_fmac_f32_e32 v34, v27, v29
	ds_load_2addr_b32 v[26:27], v12 offset0:64 offset1:96
	ds_load_2addr_b32 v[28:29], v13 offset0:64 offset1:96
	s_wait_dscnt 0x4
	v_fmac_f32_e32 v34, v18, v20
	v_fmac_f32_e32 v34, v19, v21
	ds_load_2addr_b32 v[18:19], v12 offset0:128 offset1:160
	ds_load_2addr_b32 v[20:21], v13 offset0:128 offset1:160
	s_wait_dscnt 0x4
	v_fmac_f32_e32 v34, v22, v24
	s_delay_alu instid0(VALU_DEP_1) | instskip(SKIP_4) | instid1(VALU_DEP_1)
	v_fmac_f32_e32 v34, v23, v25
	ds_load_2addr_b32 v[22:23], v12 offset0:192 offset1:224
	ds_load_2addr_b32 v[24:25], v13 offset0:192 offset1:224
	s_wait_dscnt 0x4
	v_fmac_f32_e32 v34, v26, v28
	v_fmac_f32_e32 v34, v27, v29
	ds_load_2addr_b32 v[26:27], v14 offset1:32
	ds_load_2addr_b32 v[28:29], v15 offset1:32
	s_wait_dscnt 0x4
	v_fmac_f32_e32 v34, v18, v20
	s_delay_alu instid0(VALU_DEP_1)
	v_fmac_f32_e32 v34, v19, v21
	ds_load_2addr_b32 v[18:19], v14 offset0:64 offset1:96
	ds_load_2addr_b32 v[20:21], v15 offset0:64 offset1:96
	;; [unrolled: 1-line block ×4, first 2 shown]
	s_wait_dscnt 0x6
	v_fmac_f32_e32 v34, v22, v24
	s_delay_alu instid0(VALU_DEP_1) | instskip(SKIP_4) | instid1(VALU_DEP_1)
	v_fmac_f32_e32 v34, v23, v25
	ds_load_2addr_b32 v[22:23], v14 offset0:192 offset1:224
	ds_load_2addr_b32 v[24:25], v15 offset0:192 offset1:224
	s_wait_dscnt 0x6
	v_fmac_f32_e32 v34, v26, v28
	v_fmac_f32_e32 v34, v27, v29
	ds_load_2addr_b32 v[26:27], v16 offset1:32
	ds_load_2addr_b32 v[28:29], v17 offset1:32
	s_wait_dscnt 0x4
	v_pk_mul_f32 v[30:31], v[30:31], v[32:33]
	v_fmac_f32_e32 v34, v18, v20
	s_delay_alu instid0(VALU_DEP_1)
	v_fmac_f32_e32 v34, v19, v21
	ds_load_2addr_b32 v[18:19], v16 offset0:64 offset1:96
	ds_load_2addr_b32 v[20:21], v17 offset0:64 offset1:96
	s_wait_dscnt 0x4
	v_pk_mul_f32 v[22:23], v[22:23], v[24:25]
	v_add_f32_e32 v30, v34, v30
	s_delay_alu instid0(VALU_DEP_1) | instskip(SKIP_2) | instid1(VALU_DEP_2)
	v_add_f32_e32 v24, v30, v31
	s_wait_dscnt 0x2
	v_pk_mul_f32 v[26:27], v[26:27], v[28:29]
	v_add_f32_e32 v22, v24, v22
	ds_load_2addr_b32 v[24:25], v16 offset0:128 offset1:160
	ds_load_2addr_b32 v[30:31], v17 offset0:128 offset1:160
	v_add_f32_e32 v22, v22, v23
	s_wait_dscnt 0x2
	v_pk_mul_f32 v[18:19], v[18:19], v[20:21]
	s_delay_alu instid0(VALU_DEP_2) | instskip(SKIP_3) | instid1(VALU_DEP_1)
	v_add_f32_e32 v26, v22, v26
	ds_load_2addr_b32 v[22:23], v16 offset0:192 offset1:224
	ds_load_2addr_b32 v[28:29], v17 offset0:192 offset1:224
	v_add_f32_e32 v20, v26, v27
	v_add_f32_e32 v18, v20, v18
	s_wait_dscnt 0x2
	v_pk_mul_f32 v[20:21], v[24:25], v[30:31]
	s_delay_alu instid0(VALU_DEP_2) | instskip(NEXT) | instid1(VALU_DEP_1)
	v_add_f32_e32 v18, v18, v19
	v_add_f32_e32 v20, v18, v20
	s_wait_dscnt 0x0
	v_pk_mul_f32 v[18:19], v[22:23], v[28:29]
	s_delay_alu instid0(VALU_DEP_2) | instskip(NEXT) | instid1(VALU_DEP_1)
	v_add_f32_e32 v20, v20, v21
	v_add_f32_e32 v18, v20, v18
	s_delay_alu instid0(VALU_DEP_1) | instskip(NEXT) | instid1(VALU_DEP_1)
	v_add_f32_e32 v18, v18, v19
	v_mul_f32_e32 v20, s30, v18
	v_lshl_add_u64 v[18:19], s[14:15], 2, v[6:7]
	global_store_b32 v[18:19], v20, off
	s_branch .LBB35_2
.LBB35_19:
	s_endpgm
	.section	.rodata,"a",@progbits
	.p2align	6, 0x0
	.amdhsa_kernel _ZL23rocblas_trmm_rTx_kernelILi32ELb1EffKffEv13rocblas_fill_17rocblas_diagonal_iiT2_lPT3_llS5_llPT4_lli
		.amdhsa_group_segment_fixed_size 8192
		.amdhsa_private_segment_fixed_size 0
		.amdhsa_kernarg_size 108
		.amdhsa_user_sgpr_count 2
		.amdhsa_user_sgpr_dispatch_ptr 0
		.amdhsa_user_sgpr_queue_ptr 0
		.amdhsa_user_sgpr_kernarg_segment_ptr 1
		.amdhsa_user_sgpr_dispatch_id 0
		.amdhsa_user_sgpr_kernarg_preload_length 0
		.amdhsa_user_sgpr_kernarg_preload_offset 0
		.amdhsa_user_sgpr_private_segment_size 0
		.amdhsa_wavefront_size32 1
		.amdhsa_uses_dynamic_stack 0
		.amdhsa_enable_private_segment 0
		.amdhsa_system_sgpr_workgroup_id_x 1
		.amdhsa_system_sgpr_workgroup_id_y 0
		.amdhsa_system_sgpr_workgroup_id_z 1
		.amdhsa_system_sgpr_workgroup_info 0
		.amdhsa_system_vgpr_workitem_id 1
		.amdhsa_next_free_vgpr 35
		.amdhsa_next_free_sgpr 31
		.amdhsa_named_barrier_count 0
		.amdhsa_reserve_vcc 1
		.amdhsa_float_round_mode_32 0
		.amdhsa_float_round_mode_16_64 0
		.amdhsa_float_denorm_mode_32 3
		.amdhsa_float_denorm_mode_16_64 3
		.amdhsa_fp16_overflow 0
		.amdhsa_memory_ordered 1
		.amdhsa_forward_progress 1
		.amdhsa_inst_pref_size 11
		.amdhsa_round_robin_scheduling 0
		.amdhsa_exception_fp_ieee_invalid_op 0
		.amdhsa_exception_fp_denorm_src 0
		.amdhsa_exception_fp_ieee_div_zero 0
		.amdhsa_exception_fp_ieee_overflow 0
		.amdhsa_exception_fp_ieee_underflow 0
		.amdhsa_exception_fp_ieee_inexact 0
		.amdhsa_exception_int_div_zero 0
	.end_amdhsa_kernel
	.section	.text._ZL23rocblas_trmm_rTx_kernelILi32ELb1EffKffEv13rocblas_fill_17rocblas_diagonal_iiT2_lPT3_llS5_llPT4_lli,"axG",@progbits,_ZL23rocblas_trmm_rTx_kernelILi32ELb1EffKffEv13rocblas_fill_17rocblas_diagonal_iiT2_lPT3_llS5_llPT4_lli,comdat
.Lfunc_end35:
	.size	_ZL23rocblas_trmm_rTx_kernelILi32ELb1EffKffEv13rocblas_fill_17rocblas_diagonal_iiT2_lPT3_llS5_llPT4_lli, .Lfunc_end35-_ZL23rocblas_trmm_rTx_kernelILi32ELb1EffKffEv13rocblas_fill_17rocblas_diagonal_iiT2_lPT3_llS5_llPT4_lli
                                        ; -- End function
	.set _ZL23rocblas_trmm_rTx_kernelILi32ELb1EffKffEv13rocblas_fill_17rocblas_diagonal_iiT2_lPT3_llS5_llPT4_lli.num_vgpr, 35
	.set _ZL23rocblas_trmm_rTx_kernelILi32ELb1EffKffEv13rocblas_fill_17rocblas_diagonal_iiT2_lPT3_llS5_llPT4_lli.num_agpr, 0
	.set _ZL23rocblas_trmm_rTx_kernelILi32ELb1EffKffEv13rocblas_fill_17rocblas_diagonal_iiT2_lPT3_llS5_llPT4_lli.numbered_sgpr, 31
	.set _ZL23rocblas_trmm_rTx_kernelILi32ELb1EffKffEv13rocblas_fill_17rocblas_diagonal_iiT2_lPT3_llS5_llPT4_lli.num_named_barrier, 0
	.set _ZL23rocblas_trmm_rTx_kernelILi32ELb1EffKffEv13rocblas_fill_17rocblas_diagonal_iiT2_lPT3_llS5_llPT4_lli.private_seg_size, 0
	.set _ZL23rocblas_trmm_rTx_kernelILi32ELb1EffKffEv13rocblas_fill_17rocblas_diagonal_iiT2_lPT3_llS5_llPT4_lli.uses_vcc, 1
	.set _ZL23rocblas_trmm_rTx_kernelILi32ELb1EffKffEv13rocblas_fill_17rocblas_diagonal_iiT2_lPT3_llS5_llPT4_lli.uses_flat_scratch, 0
	.set _ZL23rocblas_trmm_rTx_kernelILi32ELb1EffKffEv13rocblas_fill_17rocblas_diagonal_iiT2_lPT3_llS5_llPT4_lli.has_dyn_sized_stack, 0
	.set _ZL23rocblas_trmm_rTx_kernelILi32ELb1EffKffEv13rocblas_fill_17rocblas_diagonal_iiT2_lPT3_llS5_llPT4_lli.has_recursion, 0
	.set _ZL23rocblas_trmm_rTx_kernelILi32ELb1EffKffEv13rocblas_fill_17rocblas_diagonal_iiT2_lPT3_llS5_llPT4_lli.has_indirect_call, 0
	.section	.AMDGPU.csdata,"",@progbits
; Kernel info:
; codeLenInByte = 1356
; TotalNumSgprs: 33
; NumVgprs: 35
; ScratchSize: 0
; MemoryBound: 0
; FloatMode: 240
; IeeeMode: 1
; LDSByteSize: 8192 bytes/workgroup (compile time only)
; SGPRBlocks: 0
; VGPRBlocks: 2
; NumSGPRsForWavesPerEU: 33
; NumVGPRsForWavesPerEU: 35
; NamedBarCnt: 0
; Occupancy: 16
; WaveLimiterHint : 0
; COMPUTE_PGM_RSRC2:SCRATCH_EN: 0
; COMPUTE_PGM_RSRC2:USER_SGPR: 2
; COMPUTE_PGM_RSRC2:TRAP_HANDLER: 0
; COMPUTE_PGM_RSRC2:TGID_X_EN: 1
; COMPUTE_PGM_RSRC2:TGID_Y_EN: 0
; COMPUTE_PGM_RSRC2:TGID_Z_EN: 1
; COMPUTE_PGM_RSRC2:TIDIG_COMP_CNT: 1
	.section	.text._ZL30rocblas_trmm_outofplace_kernelIdLi32ELi2ELb1ELb0ELb0ELb0EPKdS0_dEv17rocblas_diagonal_iiT6_lPT7_lllS5_lllPT8_llli,"axG",@progbits,_ZL30rocblas_trmm_outofplace_kernelIdLi32ELi2ELb1ELb0ELb0ELb0EPKdS0_dEv17rocblas_diagonal_iiT6_lPT7_lllS5_lllPT8_llli,comdat
	.globl	_ZL30rocblas_trmm_outofplace_kernelIdLi32ELi2ELb1ELb0ELb0ELb0EPKdS0_dEv17rocblas_diagonal_iiT6_lPT7_lllS5_lllPT8_llli ; -- Begin function _ZL30rocblas_trmm_outofplace_kernelIdLi32ELi2ELb1ELb0ELb0ELb0EPKdS0_dEv17rocblas_diagonal_iiT6_lPT7_lllS5_lllPT8_llli
	.p2align	8
	.type	_ZL30rocblas_trmm_outofplace_kernelIdLi32ELi2ELb1ELb0ELb0ELb0EPKdS0_dEv17rocblas_diagonal_iiT6_lPT7_lllS5_lllPT8_llli,@function
_ZL30rocblas_trmm_outofplace_kernelIdLi32ELi2ELb1ELb0ELb0ELb0EPKdS0_dEv17rocblas_diagonal_iiT6_lPT7_lllS5_lllPT8_llli: ; @_ZL30rocblas_trmm_outofplace_kernelIdLi32ELi2ELb1ELb0ELb0ELb0EPKdS0_dEv17rocblas_diagonal_iiT6_lPT7_lllS5_lllPT8_llli
; %bb.0:
	s_load_b32 s11, s[0:1], 0x80
	s_bfe_u32 s2, ttmp6, 0x40014
	s_lshr_b32 s3, ttmp7, 16
	s_add_co_i32 s2, s2, 1
	s_bfe_u32 s5, ttmp6, 0x40008
	s_mul_i32 s4, s3, s2
	s_getreg_b32 s2, hwreg(HW_REG_IB_STS2, 6, 4)
	s_add_co_i32 s5, s5, s4
	s_cmp_eq_u32 s2, 0
	s_mov_b32 s35, 0
	s_cselect_b32 s34, s3, s5
	s_wait_kmcnt 0x0
	s_cmp_ge_u32 s34, s11
	s_cbranch_scc1 .LBB36_55
; %bb.1:
	s_clause 0x3
	s_load_b96 s[8:10], s[0:1], 0x0
	s_load_b512 s[12:27], s[0:1], 0x10
	s_load_b128 s[28:31], s[0:1], 0x70
	s_load_b256 s[36:43], s[0:1], 0x50
	s_bfe_u32 s4, ttmp6, 0x4000c
	s_bfe_u32 s6, ttmp6, 0x40010
	s_add_co_i32 s4, s4, 1
	s_and_b32 s5, ttmp7, 0xffff
	v_bfe_u32 v2, v0, 10, 10
	v_mov_b32_e32 v4, 0
	s_add_nc_u64 s[44:45], s[0:1], 0x88
	s_add_co_i32 s6, s6, 1
	s_wait_xcnt 0x0
	s_mul_i32 s0, ttmp9, s4
	s_and_b32 s3, ttmp6, 15
	s_mul_i32 s1, s5, s6
	s_add_co_i32 s3, s3, s0
	v_dual_lshlrev_b32 v5, 8, v2 :: v_dual_mov_b32 v3, v4
	v_mov_b32_e32 v1, v4
	s_bfe_u32 s7, ttmp6, 0x40004
	s_wait_kmcnt 0x0
	s_add_co_i32 s4, s10, -1
	s_add_co_i32 s7, s7, s1
	s_ashr_i32 s6, s4, 31
	v_and_b32_e32 v0, 0x3ff, v0
	s_lshr_b32 s0, s6, 27
	v_mul_u64_e32 v[26:27], s[20:21], v[2:3]
	s_add_co_i32 s4, s4, s0
	s_lshl_b64 s[0:1], s[42:43], 3
	s_ashr_i32 s33, s4, 5
	s_cmp_eq_u32 s2, 0
	v_dual_mov_b32 v7, v4 :: v_dual_add_nc_u32 v66, 0x2000, v5
	s_cselect_b32 s50, s5, s7
	s_cselect_b32 s2, ttmp9, s3
	s_cmp_le_i32 s50, s33
	s_mov_b32 s42, s9
	s_cselect_b32 s51, -1, 0
	s_lshl_b32 s52, s2, 5
	s_delay_alu instid0(SALU_CYCLE_1)
	v_dual_lshlrev_b32 v6, 3, v0 :: v_dual_add_nc_u32 v8, s52, v0
	s_cmp_gt_i32 s2, -1
	s_add_nc_u64 s[40:41], s[40:41], s[0:1]
	s_cselect_b32 s53, -1, 0
	s_cmp_eq_u32 s8, 0x84
	v_dual_add_nc_u32 v67, v6, v5 :: v_dual_ashrrev_i32 v9, 31, v8
	v_lshl_add_u32 v5, v2, 3, 0x80
	s_cselect_b32 s54, -1, 0
	s_lshl_b64 s[2:3], s[18:19], 3
	s_lshl_b64 s[4:5], s[26:27], 3
	s_add_nc_u64 s[6:7], s[16:17], s[2:3]
	s_add_nc_u64 s[2:3], s[24:25], s[4:5]
	v_mad_nc_u64_u32 v[16:17], s20, v5, s[6:7]
	v_add_nc_u64_e32 v[10:11], 16, v[8:9]
	v_sub_nc_u64_e32 v[14:15], v[8:9], v[2:3]
	v_add_nc_u64_e32 v[22:23], s[2:3], v[6:7]
	v_dual_add_nc_u32 v68, v66, v6 :: v_dual_add_nc_u32 v12, 16, v8
	s_ashr_i32 s43, s9, 31
	v_lshlrev_b64_e32 v[24:25], 3, v[8:9]
	v_cmp_le_i64_e64 s1, s[42:43], v[10:11]
	v_add_nc_u64_e32 v[18:19], 16, v[14:15]
	v_add_nc_u64_e32 v[20:21], -16, v[14:15]
	v_mad_u32 v17, s21, v5, v17
	v_add_nc_u64_e32 v[22:23], 0x80, v[22:23]
	v_mov_b64_e32 v[28:29], 0
	v_mov_b64_e32 v[30:31], 1.0
	v_cmp_le_i32_e64 s0, s9, v8
	v_cmp_gt_i32_e64 s2, s9, v8
	v_cmp_gt_i32_e64 s3, s9, v12
	v_ashrrev_i32_e32 v13, 31, v12
	v_lshl_add_u32 v7, s50, 5, v2
	v_lshl_add_u64 v[26:27], v[26:27], 3, s[6:7]
	v_add_nc_u32_e32 v69, 0x800, v6
	v_add_nc_u32_e32 v70, 0x1000, v6
	;; [unrolled: 1-line block ×3, first 2 shown]
	s_mov_b32 s46, s10
	s_ashr_i32 s47, s10, 31
	s_lshl_b64 s[48:49], s[20:21], 8
	s_add_nc_u64 s[16:17], s[42:43], -16
	s_lshl_b64 s[18:19], s[38:39], 3
	s_lshl_b64 s[20:21], s[36:37], 3
	;; [unrolled: 1-line block ×3, first 2 shown]
	s_branch .LBB36_4
.LBB36_2:                               ;   in Loop: Header=BB36_4 Depth=1
	s_add_co_i32 s34, s34, 0x10000
	s_delay_alu instid0(SALU_CYCLE_1)
	s_cmp_ge_u32 s34, s11
	s_cselect_b32 s4, -1, 0
.LBB36_3:                               ;   in Loop: Header=BB36_4 Depth=1
	s_delay_alu instid0(SALU_CYCLE_1)
	s_and_b32 vcc_lo, exec_lo, s4
	s_cbranch_vccnz .LBB36_55
.LBB36_4:                               ; =>This Loop Header: Depth=1
                                        ;     Child Loop BB36_8 Depth 2
                                        ;       Child Loop BB36_11 Depth 3
	s_mul_u64 s[4:5], s[14:15], s[34:35]
	s_delay_alu instid0(SALU_CYCLE_1) | instskip(NEXT) | instid1(SALU_CYCLE_1)
	s_lshl_b64 s[4:5], s[4:5], 3
	s_add_nc_u64 s[4:5], s[12:13], s[4:5]
	global_load_b64 v[32:33], v4, s[4:5]
	s_wait_xcnt 0x0
	s_mov_b32 s4, -1
	s_wait_loadcnt 0x0
	v_cmp_eq_f64_e32 vcc_lo, 0, v[32:33]
	s_cbranch_vccnz .LBB36_3
; %bb.5:                                ;   in Loop: Header=BB36_4 Depth=1
	s_and_not1_b32 vcc_lo, exec_lo, s51
	s_cbranch_vccnz .LBB36_2
; %bb.6:                                ;   in Loop: Header=BB36_4 Depth=1
	s_load_b32 s9, s[44:45], 0x4
	v_mad_nc_u64_u32 v[34:35], s18, s34, v[22:23]
	v_mad_nc_u64_u32 v[36:37], s22, s34, v[16:17]
	;; [unrolled: 1-line block ×3, first 2 shown]
	s_mul_i32 s6, s23, s34
	s_mul_u64 s[4:5], s[30:31], s[34:35]
	v_mov_b32_e32 v40, v7
	s_lshl_b64 s[4:5], s[4:5], 3
	s_mov_b32 s39, s50
	s_add_nc_u64 s[24:25], s[40:41], s[4:5]
	s_delay_alu instid0(VALU_DEP_4) | instskip(NEXT) | instid1(VALU_DEP_3)
	v_mad_u32 v35, s19, s34, v35
	v_dual_add_nc_u32 v37, s6, v37 :: v_dual_add_nc_u32 v39, s6, v39
	s_wait_kmcnt 0x0
	s_lshl_b32 s38, s9, 5
	s_branch .LBB36_8
.LBB36_7:                               ;   in Loop: Header=BB36_8 Depth=2
	s_wait_xcnt 0x0
	s_or_b32 exec_lo, exec_lo, s4
	v_add_nc_u32_e32 v40, s38, v40
	s_add_co_i32 s39, s9, s39
	s_delay_alu instid0(SALU_CYCLE_1)
	s_cmp_gt_i32 s39, s33
	s_cbranch_scc1 .LBB36_2
.LBB36_8:                               ;   Parent Loop BB36_4 Depth=1
                                        ; =>  This Loop Header: Depth=2
                                        ;       Child Loop BB36_11 Depth 3
	v_lshl_add_u32 v42, s39, 5, v2
	v_mov_b64_e32 v[50:51], 0
	v_mov_b64_e32 v[48:49], 0
	;; [unrolled: 1-line block ×4, first 2 shown]
	v_ashrrev_i32_e32 v43, 31, v42
	s_and_not1_b32 vcc_lo, exec_lo, s53
	s_cbranch_vccnz .LBB36_47
; %bb.9:                                ;   in Loop: Header=BB36_8 Depth=2
	v_ashrrev_i32_e32 v41, 31, v40
	v_mad_nc_u64_u32 v[52:53], s20, v40, v[34:35]
	v_sub_nc_u64_e32 v[46:47], s[46:47], v[42:43]
	v_mov_b64_e32 v[48:49], 0
	v_mov_b64_e32 v[50:51], 0
	v_lshl_add_u64 v[44:45], v[40:41], 3, 0x80
	v_mov_b64_e32 v[56:57], v[38:39]
	v_mov_b64_e32 v[58:59], v[36:37]
	s_mov_b64 s[26:27], 0
	v_cmp_lt_i64_e32 vcc_lo, 0, v[46:47]
	v_mad_nc_u64_u32 v[54:55], s36, v44, v[34:35]
	v_cmp_lt_i64_e64 s4, 16, v[46:47]
	v_mad_u32 v5, s21, v40, v53
	v_mov_b64_e32 v[46:47], 0
	s_delay_alu instid0(VALU_DEP_4) | instskip(NEXT) | instid1(VALU_DEP_3)
	v_mad_u32 v44, s37, v44, v55
	v_mad_u32 v53, s20, v41, v5
	s_delay_alu instid0(VALU_DEP_2)
	v_mad_u32 v55, s36, v45, v44
	v_mov_b64_e32 v[44:45], 0
	s_branch .LBB36_11
.LBB36_10:                              ;   in Loop: Header=BB36_11 Depth=3
	s_wait_xcnt 0x0
	s_or_b32 exec_lo, exec_lo, s5
	s_wait_dscnt 0x0
	s_barrier_signal -1
	s_barrier_wait -1
	ds_load_b128 v[60:63], v66
	ds_load_2addr_b64 v[72:75], v6 offset1:16
	ds_load_b128 v[76:79], v66 offset:4096
	ds_load_b128 v[80:83], v66 offset:16
	;; [unrolled: 1-line block ×3, first 2 shown]
	v_add_nc_u64_e32 v[52:53], 0x100, v[52:53]
	v_add_nc_u64_e32 v[58:59], s[48:49], v[58:59]
	;; [unrolled: 1-line block ×4, first 2 shown]
	s_add_nc_u64 s[26:27], s[26:27], 32
	s_delay_alu instid0(SALU_CYCLE_1) | instskip(NEXT) | instid1(SALU_CYCLE_1)
	s_sub_co_i32 s5, s26, 32
	s_cmp_ge_i32 s5, s52
	s_wait_dscnt 0x3
	v_fmac_f64_e32 v[50:51], v[72:73], v[60:61]
	v_fmac_f64_e32 v[48:49], v[74:75], v[60:61]
	s_wait_dscnt 0x2
	v_fmac_f64_e32 v[46:47], v[72:73], v[76:77]
	v_fmac_f64_e32 v[44:45], v[74:75], v[76:77]
	ds_load_2addr_b64 v[72:75], v6 offset0:32 offset1:48
	s_wait_dscnt 0x0
	v_fmac_f64_e32 v[50:51], v[72:73], v[62:63]
	v_fmac_f64_e32 v[48:49], v[74:75], v[62:63]
	v_fmac_f64_e32 v[46:47], v[72:73], v[78:79]
	v_fmac_f64_e32 v[44:45], v[74:75], v[78:79]
	ds_load_2addr_b64 v[60:63], v6 offset0:64 offset1:80
	s_wait_dscnt 0x0
	v_fmac_f64_e32 v[50:51], v[60:61], v[80:81]
	v_fmac_f64_e32 v[48:49], v[62:63], v[80:81]
	v_fmac_f64_e32 v[46:47], v[60:61], v[84:85]
	v_fmac_f64_e32 v[44:45], v[62:63], v[84:85]
	ds_load_2addr_b64 v[60:63], v6 offset0:96 offset1:112
	s_wait_dscnt 0x0
	v_fmac_f64_e32 v[50:51], v[60:61], v[82:83]
	v_fmac_f64_e32 v[48:49], v[62:63], v[82:83]
	v_fmac_f64_e32 v[46:47], v[60:61], v[86:87]
	v_fmac_f64_e32 v[44:45], v[62:63], v[86:87]
	ds_load_b128 v[60:63], v66 offset:32
	ds_load_2addr_b64 v[72:75], v6 offset0:128 offset1:144
	ds_load_b128 v[76:79], v66 offset:4128
	ds_load_b128 v[80:83], v66 offset:48
	ds_load_b128 v[84:87], v66 offset:4144
	s_wait_dscnt 0x3
	v_fmac_f64_e32 v[50:51], v[72:73], v[60:61]
	v_fmac_f64_e32 v[48:49], v[74:75], v[60:61]
	s_wait_dscnt 0x2
	v_fmac_f64_e32 v[46:47], v[72:73], v[76:77]
	v_fmac_f64_e32 v[44:45], v[74:75], v[76:77]
	ds_load_2addr_b64 v[72:75], v6 offset0:160 offset1:176
	s_wait_dscnt 0x0
	v_fmac_f64_e32 v[50:51], v[72:73], v[62:63]
	v_fmac_f64_e32 v[48:49], v[74:75], v[62:63]
	v_fmac_f64_e32 v[46:47], v[72:73], v[78:79]
	v_fmac_f64_e32 v[44:45], v[74:75], v[78:79]
	ds_load_2addr_b64 v[60:63], v6 offset0:192 offset1:208
	s_wait_dscnt 0x0
	v_fmac_f64_e32 v[50:51], v[60:61], v[80:81]
	v_fmac_f64_e32 v[48:49], v[62:63], v[80:81]
	v_fmac_f64_e32 v[46:47], v[60:61], v[84:85]
	v_fmac_f64_e32 v[44:45], v[62:63], v[84:85]
	ds_load_2addr_b64 v[60:63], v6 offset0:224 offset1:240
	s_wait_dscnt 0x0
	v_fmac_f64_e32 v[50:51], v[60:61], v[82:83]
	v_fmac_f64_e32 v[48:49], v[62:63], v[82:83]
	v_fmac_f64_e32 v[46:47], v[60:61], v[86:87]
	v_fmac_f64_e32 v[44:45], v[62:63], v[86:87]
	ds_load_b128 v[60:63], v66 offset:64
	ds_load_2addr_b64 v[72:75], v69 offset1:16
	ds_load_b128 v[76:79], v66 offset:4160
	ds_load_b128 v[80:83], v66 offset:80
	ds_load_b128 v[84:87], v66 offset:4176
	s_wait_dscnt 0x3
	v_fmac_f64_e32 v[50:51], v[72:73], v[60:61]
	v_fmac_f64_e32 v[48:49], v[74:75], v[60:61]
	s_wait_dscnt 0x2
	v_fmac_f64_e32 v[46:47], v[72:73], v[76:77]
	v_fmac_f64_e32 v[44:45], v[74:75], v[76:77]
	ds_load_2addr_b64 v[72:75], v69 offset0:32 offset1:48
	s_wait_dscnt 0x0
	v_fmac_f64_e32 v[50:51], v[72:73], v[62:63]
	v_fmac_f64_e32 v[48:49], v[74:75], v[62:63]
	v_fmac_f64_e32 v[46:47], v[72:73], v[78:79]
	v_fmac_f64_e32 v[44:45], v[74:75], v[78:79]
	ds_load_2addr_b64 v[60:63], v69 offset0:64 offset1:80
	s_wait_dscnt 0x0
	v_fmac_f64_e32 v[50:51], v[60:61], v[80:81]
	v_fmac_f64_e32 v[48:49], v[62:63], v[80:81]
	v_fmac_f64_e32 v[46:47], v[60:61], v[84:85]
	v_fmac_f64_e32 v[44:45], v[62:63], v[84:85]
	ds_load_2addr_b64 v[60:63], v69 offset0:96 offset1:112
	s_wait_dscnt 0x0
	v_fmac_f64_e32 v[50:51], v[60:61], v[82:83]
	v_fmac_f64_e32 v[48:49], v[62:63], v[82:83]
	v_fmac_f64_e32 v[46:47], v[60:61], v[86:87]
	v_fmac_f64_e32 v[44:45], v[62:63], v[86:87]
	ds_load_b128 v[60:63], v66 offset:96
	ds_load_2addr_b64 v[72:75], v69 offset0:128 offset1:144
	ds_load_b128 v[76:79], v66 offset:4192
	ds_load_b128 v[80:83], v66 offset:112
	ds_load_b128 v[84:87], v66 offset:4208
	s_wait_dscnt 0x3
	v_fmac_f64_e32 v[50:51], v[72:73], v[60:61]
	v_fmac_f64_e32 v[48:49], v[74:75], v[60:61]
	s_wait_dscnt 0x2
	v_fmac_f64_e32 v[46:47], v[72:73], v[76:77]
	v_fmac_f64_e32 v[44:45], v[74:75], v[76:77]
	ds_load_2addr_b64 v[72:75], v69 offset0:160 offset1:176
	s_wait_dscnt 0x0
	v_fmac_f64_e32 v[50:51], v[72:73], v[62:63]
	v_fmac_f64_e32 v[48:49], v[74:75], v[62:63]
	v_fmac_f64_e32 v[46:47], v[72:73], v[78:79]
	v_fmac_f64_e32 v[44:45], v[74:75], v[78:79]
	ds_load_2addr_b64 v[60:63], v69 offset0:192 offset1:208
	s_wait_dscnt 0x0
	v_fmac_f64_e32 v[50:51], v[60:61], v[80:81]
	v_fmac_f64_e32 v[48:49], v[62:63], v[80:81]
	v_fmac_f64_e32 v[46:47], v[60:61], v[84:85]
	v_fmac_f64_e32 v[44:45], v[62:63], v[84:85]
	ds_load_2addr_b64 v[60:63], v69 offset0:224 offset1:240
	s_wait_dscnt 0x0
	v_fmac_f64_e32 v[50:51], v[60:61], v[82:83]
	v_fmac_f64_e32 v[48:49], v[62:63], v[82:83]
	v_fmac_f64_e32 v[46:47], v[60:61], v[86:87]
	v_fmac_f64_e32 v[44:45], v[62:63], v[86:87]
	ds_load_b128 v[60:63], v66 offset:128
	ds_load_2addr_b64 v[72:75], v70 offset1:16
	ds_load_b128 v[76:79], v66 offset:4224
	ds_load_b128 v[80:83], v66 offset:144
	ds_load_b128 v[84:87], v66 offset:4240
	;; [unrolled: 58-line block ×3, first 2 shown]
	s_wait_dscnt 0x3
	v_fmac_f64_e32 v[50:51], v[72:73], v[60:61]
	v_fmac_f64_e32 v[48:49], v[74:75], v[60:61]
	s_wait_dscnt 0x2
	v_fmac_f64_e32 v[46:47], v[72:73], v[76:77]
	v_fmac_f64_e32 v[44:45], v[74:75], v[76:77]
	ds_load_2addr_b64 v[72:75], v71 offset0:32 offset1:48
	s_wait_dscnt 0x0
	v_fmac_f64_e32 v[50:51], v[72:73], v[62:63]
	v_fmac_f64_e32 v[48:49], v[74:75], v[62:63]
	v_fmac_f64_e32 v[46:47], v[72:73], v[78:79]
	v_fmac_f64_e32 v[44:45], v[74:75], v[78:79]
	ds_load_2addr_b64 v[60:63], v71 offset0:64 offset1:80
	s_wait_dscnt 0x0
	v_fmac_f64_e32 v[50:51], v[60:61], v[80:81]
	v_fmac_f64_e32 v[48:49], v[62:63], v[80:81]
	v_fmac_f64_e32 v[46:47], v[60:61], v[84:85]
	v_fmac_f64_e32 v[44:45], v[62:63], v[84:85]
	ds_load_2addr_b64 v[60:63], v71 offset0:96 offset1:112
	s_wait_dscnt 0x0
	v_fmac_f64_e32 v[50:51], v[60:61], v[82:83]
	v_fmac_f64_e32 v[48:49], v[62:63], v[82:83]
	v_fmac_f64_e32 v[46:47], v[60:61], v[86:87]
	v_fmac_f64_e32 v[44:45], v[62:63], v[86:87]
	ds_load_b128 v[60:63], v66 offset:224
	ds_load_2addr_b64 v[72:75], v71 offset0:128 offset1:144
	ds_load_b128 v[76:79], v66 offset:4320
	ds_load_b128 v[80:83], v66 offset:240
	;; [unrolled: 1-line block ×3, first 2 shown]
	s_wait_dscnt 0x3
	v_fmac_f64_e32 v[50:51], v[72:73], v[60:61]
	v_fmac_f64_e32 v[48:49], v[74:75], v[60:61]
	s_wait_dscnt 0x2
	v_fmac_f64_e32 v[46:47], v[72:73], v[76:77]
	v_fmac_f64_e32 v[44:45], v[74:75], v[76:77]
	ds_load_2addr_b64 v[72:75], v71 offset0:160 offset1:176
	s_wait_dscnt 0x0
	v_fmac_f64_e32 v[50:51], v[72:73], v[62:63]
	v_fmac_f64_e32 v[48:49], v[74:75], v[62:63]
	;; [unrolled: 1-line block ×4, first 2 shown]
	ds_load_2addr_b64 v[60:63], v71 offset0:192 offset1:208
	s_wait_dscnt 0x0
	v_fmac_f64_e32 v[50:51], v[60:61], v[80:81]
	v_fmac_f64_e32 v[48:49], v[62:63], v[80:81]
	;; [unrolled: 1-line block ×4, first 2 shown]
	ds_load_2addr_b64 v[60:63], v71 offset0:224 offset1:240
	s_wait_dscnt 0x0
	s_barrier_signal -1
	s_barrier_wait -1
	v_fmac_f64_e32 v[50:51], v[60:61], v[82:83]
	v_fmac_f64_e32 v[48:49], v[62:63], v[82:83]
	;; [unrolled: 1-line block ×4, first 2 shown]
	s_cbranch_scc1 .LBB36_47
.LBB36_11:                              ;   Parent Loop BB36_4 Depth=1
                                        ;     Parent Loop BB36_8 Depth=2
                                        ; =>    This Inner Loop Header: Depth=3
	v_add_nc_u64_e32 v[60:61], s[26:27], v[2:3]
	v_cmp_eq_u64_e64 s7, s[26:27], v[14:15]
	v_add_nc_u64_e32 v[62:63], v[56:57], v[24:25]
                                        ; implicit-def: $vgpr64_vgpr65
	s_delay_alu instid0(VALU_DEP_3) | instskip(SKIP_3) | instid1(SALU_CYCLE_1)
	v_cmp_le_i64_e64 s6, s[42:43], v[60:61]
	v_cmp_gt_i64_e64 s5, v[60:61], v[8:9]
	s_and_b32 s55, s54, s7
	s_or_b32 s7, s6, s5
	s_or_b32 s7, s7, s55
	s_delay_alu instid0(SALU_CYCLE_1) | instskip(NEXT) | instid1(SALU_CYCLE_1)
	s_nor_b32 s7, s0, s7
	s_and_saveexec_b32 s8, s7
	s_delay_alu instid0(SALU_CYCLE_1)
	s_xor_b32 s7, exec_lo, s8
	s_cbranch_execz .LBB36_13
; %bb.12:                               ;   in Loop: Header=BB36_11 Depth=3
	global_load_b64 v[64:65], v[62:63], off
.LBB36_13:                              ;   in Loop: Header=BB36_11 Depth=3
	s_wait_xcnt 0x0
	s_and_not1_saveexec_b32 s7, s7
	s_cbranch_execz .LBB36_15
; %bb.14:                               ;   in Loop: Header=BB36_11 Depth=3
	v_cndmask_b32_e64 v5, 0, 0x3ff00000, s55
	s_wait_loadcnt 0x0
	s_delay_alu instid0(VALU_DEP_1)
	v_mov_b64_e32 v[64:65], v[4:5]
.LBB36_15:                              ;   in Loop: Header=BB36_11 Depth=3
	s_or_b32 exec_lo, exec_lo, s7
	v_cmp_eq_u64_e64 s7, s[26:27], v[18:19]
	v_cmp_lt_i64_e64 s8, v[10:11], v[60:61]
	s_wait_loadcnt 0x0
	ds_store_b64 v67, v[64:65]
	s_and_b32 s7, s54, s7
	s_or_b32 s6, s6, s8
	s_delay_alu instid0(SALU_CYCLE_1) | instskip(NEXT) | instid1(SALU_CYCLE_1)
	s_or_b32 s6, s6, s7
	s_nor_b32 s6, s1, s6
	s_delay_alu instid0(SALU_CYCLE_1) | instskip(NEXT) | instid1(SALU_CYCLE_1)
	s_and_saveexec_b32 s8, s6
	s_xor_b32 s6, exec_lo, s8
	s_cbranch_execz .LBB36_17
; %bb.16:                               ;   in Loop: Header=BB36_11 Depth=3
	global_load_b64 v[62:63], v[62:63], off offset:128
	s_wait_loadcnt 0x0
	ds_store_b64 v67, v[62:63] offset:128
.LBB36_17:                              ;   in Loop: Header=BB36_11 Depth=3
	s_wait_xcnt 0x0
	s_and_not1_saveexec_b32 s6, s6
	s_cbranch_execz .LBB36_23
; %bb.18:                               ;   in Loop: Header=BB36_11 Depth=3
	s_xor_b32 s7, s7, -1
	s_delay_alu instid0(SALU_CYCLE_1) | instskip(NEXT) | instid1(SALU_CYCLE_1)
	s_and_saveexec_b32 s8, s7
	s_xor_b32 s7, exec_lo, s8
; %bb.19:                               ;   in Loop: Header=BB36_11 Depth=3
	ds_store_b64 v67, v[28:29] offset:128
; %bb.20:                               ;   in Loop: Header=BB36_11 Depth=3
	s_and_not1_saveexec_b32 s7, s7
; %bb.21:                               ;   in Loop: Header=BB36_11 Depth=3
	ds_store_b64 v67, v[30:31] offset:128
; %bb.22:                               ;   in Loop: Header=BB36_11 Depth=3
	s_or_b32 exec_lo, exec_lo, s7
.LBB36_23:                              ;   in Loop: Header=BB36_11 Depth=3
	s_delay_alu instid0(SALU_CYCLE_1) | instskip(SKIP_2) | instid1(VALU_DEP_2)
	s_or_b32 exec_lo, exec_lo, s6
	v_add_nc_u64_e32 v[60:61], 16, v[60:61]
	v_cmp_eq_u64_e64 s7, s[26:27], v[20:21]
                                        ; implicit-def: $vgpr62_vgpr63
	v_cmp_le_i64_e64 s6, s[42:43], v[60:61]
	v_cmp_gt_i64_e64 s8, v[60:61], v[8:9]
	v_add_nc_u64_e32 v[60:61], v[58:59], v[24:25]
	s_and_b32 s7, s54, s7
	s_or_b32 s8, s6, s8
	s_delay_alu instid0(SALU_CYCLE_1) | instskip(NEXT) | instid1(SALU_CYCLE_1)
	s_or_b32 s8, s8, s7
	s_nor_b32 s8, s0, s8
	s_delay_alu instid0(SALU_CYCLE_1) | instskip(NEXT) | instid1(SALU_CYCLE_1)
	s_and_saveexec_b32 s56, s8
	s_xor_b32 s8, exec_lo, s56
	s_cbranch_execz .LBB36_25
; %bb.24:                               ;   in Loop: Header=BB36_11 Depth=3
	global_load_b64 v[62:63], v[60:61], off
.LBB36_25:                              ;   in Loop: Header=BB36_11 Depth=3
	s_wait_xcnt 0x0
	s_and_not1_saveexec_b32 s8, s8
	s_cbranch_execz .LBB36_27
; %bb.26:                               ;   in Loop: Header=BB36_11 Depth=3
	v_cndmask_b32_e64 v5, 0, 0x3ff00000, s7
	s_wait_loadcnt 0x0
	s_delay_alu instid0(VALU_DEP_1)
	v_mov_b64_e32 v[62:63], v[4:5]
.LBB36_27:                              ;   in Loop: Header=BB36_11 Depth=3
	s_or_b32 exec_lo, exec_lo, s8
	s_or_b32 s5, s6, s5
	s_wait_loadcnt 0x0
	ds_store_b64 v67, v[62:63] offset:4096
	s_or_b32 s5, s5, s55
	s_delay_alu instid0(SALU_CYCLE_1) | instskip(NEXT) | instid1(SALU_CYCLE_1)
	s_nor_b32 s5, s1, s5
	s_and_saveexec_b32 s6, s5
	s_delay_alu instid0(SALU_CYCLE_1)
	s_xor_b32 s5, exec_lo, s6
	s_cbranch_execz .LBB36_29
; %bb.28:                               ;   in Loop: Header=BB36_11 Depth=3
	global_load_b64 v[60:61], v[60:61], off offset:128
	s_wait_loadcnt 0x0
	ds_store_b64 v67, v[60:61] offset:4224
.LBB36_29:                              ;   in Loop: Header=BB36_11 Depth=3
	s_wait_xcnt 0x0
	s_and_not1_saveexec_b32 s5, s5
	s_cbranch_execz .LBB36_35
; %bb.30:                               ;   in Loop: Header=BB36_11 Depth=3
	s_xor_b32 s6, s55, -1
	s_delay_alu instid0(SALU_CYCLE_1) | instskip(NEXT) | instid1(SALU_CYCLE_1)
	s_and_saveexec_b32 s7, s6
	s_xor_b32 s6, exec_lo, s7
; %bb.31:                               ;   in Loop: Header=BB36_11 Depth=3
	ds_store_b64 v67, v[28:29] offset:4224
; %bb.32:                               ;   in Loop: Header=BB36_11 Depth=3
	s_and_not1_saveexec_b32 s6, s6
; %bb.33:                               ;   in Loop: Header=BB36_11 Depth=3
	ds_store_b64 v67, v[30:31] offset:4224
; %bb.34:                               ;   in Loop: Header=BB36_11 Depth=3
	s_or_b32 exec_lo, exec_lo, s6
.LBB36_35:                              ;   in Loop: Header=BB36_11 Depth=3
	s_delay_alu instid0(SALU_CYCLE_1) | instskip(SKIP_2) | instid1(VALU_DEP_2)
	s_or_b32 exec_lo, exec_lo, s5
	v_add_nc_u64_e32 v[60:61], s[26:27], v[0:1]
	v_mov_b64_e32 v[62:63], 0
	v_cmp_gt_i64_e64 s5, s[42:43], v[60:61]
	s_and_b32 s7, vcc_lo, s5
	s_delay_alu instid0(SALU_CYCLE_1)
	s_and_saveexec_b32 s6, s7
	s_cbranch_execz .LBB36_37
; %bb.36:                               ;   in Loop: Header=BB36_11 Depth=3
	global_load_b64 v[62:63], v[52:53], off offset:-128
.LBB36_37:                              ;   in Loop: Header=BB36_11 Depth=3
	s_wait_xcnt 0x0
	s_or_b32 exec_lo, exec_lo, s6
	v_cmp_gt_i64_e64 s6, s[16:17], v[60:61]
	s_wait_loadcnt 0x0
	ds_store_b64 v68, v[62:63]
	s_and_b32 s7, vcc_lo, s6
	s_delay_alu instid0(SALU_CYCLE_1) | instskip(NEXT) | instid1(SALU_CYCLE_1)
	s_xor_b32 s7, s7, -1
	s_and_saveexec_b32 s8, s7
	s_delay_alu instid0(SALU_CYCLE_1)
	s_xor_b32 s7, exec_lo, s8
; %bb.38:                               ;   in Loop: Header=BB36_11 Depth=3
	ds_store_b64 v68, v[28:29] offset:128
; %bb.39:                               ;   in Loop: Header=BB36_11 Depth=3
	s_and_not1_saveexec_b32 s7, s7
	s_cbranch_execz .LBB36_41
; %bb.40:                               ;   in Loop: Header=BB36_11 Depth=3
	global_load_b64 v[60:61], v[52:53], off
	s_wait_loadcnt 0x0
	ds_store_b64 v68, v[60:61] offset:128
.LBB36_41:                              ;   in Loop: Header=BB36_11 Depth=3
	s_wait_xcnt 0x0
	s_or_b32 exec_lo, exec_lo, s7
	v_mov_b64_e32 v[60:61], 0
	s_and_b32 s7, s4, s5
	s_delay_alu instid0(SALU_CYCLE_1)
	s_and_saveexec_b32 s5, s7
	s_cbranch_execz .LBB36_43
; %bb.42:                               ;   in Loop: Header=BB36_11 Depth=3
	global_load_b64 v[60:61], v[54:55], off offset:-128
.LBB36_43:                              ;   in Loop: Header=BB36_11 Depth=3
	s_wait_xcnt 0x0
	s_or_b32 exec_lo, exec_lo, s5
	s_and_b32 s5, s4, s6
	s_wait_loadcnt 0x0
	ds_store_b64 v68, v[60:61] offset:4096
	s_xor_b32 s5, s5, -1
	s_delay_alu instid0(SALU_CYCLE_1) | instskip(NEXT) | instid1(SALU_CYCLE_1)
	s_and_saveexec_b32 s6, s5
	s_xor_b32 s5, exec_lo, s6
; %bb.44:                               ;   in Loop: Header=BB36_11 Depth=3
	ds_store_b64 v68, v[28:29] offset:4224
; %bb.45:                               ;   in Loop: Header=BB36_11 Depth=3
	s_and_not1_saveexec_b32 s5, s5
	s_cbranch_execz .LBB36_10
; %bb.46:                               ;   in Loop: Header=BB36_11 Depth=3
	global_load_b64 v[60:61], v[54:55], off
	s_wait_loadcnt 0x0
	ds_store_b64 v68, v[60:61] offset:4224
	s_branch .LBB36_10
.LBB36_47:                              ;   in Loop: Header=BB36_8 Depth=2
	s_delay_alu instid0(VALU_DEP_1) | instskip(SKIP_2) | instid1(VALU_DEP_2)
	v_mul_u64_e32 v[52:53], s[28:29], v[42:43]
	v_cmp_gt_i32_e32 vcc_lo, s10, v42
	s_and_b32 s5, s2, vcc_lo
	v_lshl_add_u64 v[52:53], v[52:53], 3, s[24:25]
	s_and_saveexec_b32 s4, s5
	s_cbranch_execz .LBB36_49
; %bb.48:                               ;   in Loop: Header=BB36_8 Depth=2
	s_delay_alu instid0(VALU_DEP_1)
	v_lshl_add_u64 v[54:55], v[8:9], 3, v[52:53]
	global_load_b64 v[56:57], v[54:55], off
	s_wait_loadcnt 0x0
	v_fmac_f64_e32 v[56:57], v[32:33], v[50:51]
	global_store_b64 v[54:55], v[56:57], off
.LBB36_49:                              ;   in Loop: Header=BB36_8 Depth=2
	s_wait_xcnt 0x0
	s_or_b32 exec_lo, exec_lo, s4
	s_and_b32 s5, s3, vcc_lo
	s_delay_alu instid0(SALU_CYCLE_1)
	s_and_saveexec_b32 s4, s5
	s_cbranch_execz .LBB36_51
; %bb.50:                               ;   in Loop: Header=BB36_8 Depth=2
	v_lshl_add_u64 v[50:51], v[12:13], 3, v[52:53]
	global_load_b64 v[52:53], v[50:51], off
	s_wait_loadcnt 0x0
	v_fmac_f64_e32 v[52:53], v[32:33], v[48:49]
	global_store_b64 v[50:51], v[52:53], off
.LBB36_51:                              ;   in Loop: Header=BB36_8 Depth=2
	s_wait_xcnt 0x0
	s_or_b32 exec_lo, exec_lo, s4
	v_add_nc_u32_e32 v42, 16, v42
	s_delay_alu instid0(VALU_DEP_1) | instskip(SKIP_1) | instid1(VALU_DEP_2)
	v_ashrrev_i32_e32 v43, 31, v42
	v_cmp_gt_i32_e32 vcc_lo, s10, v42
	v_mul_u64_e32 v[48:49], s[28:29], v[42:43]
	s_and_b32 s5, s2, vcc_lo
	s_delay_alu instid0(VALU_DEP_1)
	v_lshl_add_u64 v[42:43], v[48:49], 3, s[24:25]
	s_and_saveexec_b32 s4, s5
	s_cbranch_execz .LBB36_53
; %bb.52:                               ;   in Loop: Header=BB36_8 Depth=2
	s_delay_alu instid0(VALU_DEP_1)
	v_lshl_add_u64 v[48:49], v[8:9], 3, v[42:43]
	global_load_b64 v[50:51], v[48:49], off
	s_wait_loadcnt 0x0
	v_fmac_f64_e32 v[50:51], v[32:33], v[46:47]
	global_store_b64 v[48:49], v[50:51], off
.LBB36_53:                              ;   in Loop: Header=BB36_8 Depth=2
	s_wait_xcnt 0x0
	s_or_b32 exec_lo, exec_lo, s4
	s_and_b32 s5, s3, vcc_lo
	s_delay_alu instid0(SALU_CYCLE_1)
	s_and_saveexec_b32 s4, s5
	s_cbranch_execz .LBB36_7
; %bb.54:                               ;   in Loop: Header=BB36_8 Depth=2
	v_lshl_add_u64 v[42:43], v[12:13], 3, v[42:43]
	global_load_b64 v[46:47], v[42:43], off
	s_wait_loadcnt 0x0
	v_fmac_f64_e32 v[46:47], v[32:33], v[44:45]
	global_store_b64 v[42:43], v[46:47], off
	s_branch .LBB36_7
.LBB36_55:
	s_sendmsg sendmsg(MSG_DEALLOC_VGPRS)
	s_endpgm
	.section	.rodata,"a",@progbits
	.p2align	6, 0x0
	.amdhsa_kernel _ZL30rocblas_trmm_outofplace_kernelIdLi32ELi2ELb1ELb0ELb0ELb0EPKdS0_dEv17rocblas_diagonal_iiT6_lPT7_lllS5_lllPT8_llli
		.amdhsa_group_segment_fixed_size 16384
		.amdhsa_private_segment_fixed_size 0
		.amdhsa_kernarg_size 392
		.amdhsa_user_sgpr_count 2
		.amdhsa_user_sgpr_dispatch_ptr 0
		.amdhsa_user_sgpr_queue_ptr 0
		.amdhsa_user_sgpr_kernarg_segment_ptr 1
		.amdhsa_user_sgpr_dispatch_id 0
		.amdhsa_user_sgpr_kernarg_preload_length 0
		.amdhsa_user_sgpr_kernarg_preload_offset 0
		.amdhsa_user_sgpr_private_segment_size 0
		.amdhsa_wavefront_size32 1
		.amdhsa_uses_dynamic_stack 0
		.amdhsa_enable_private_segment 0
		.amdhsa_system_sgpr_workgroup_id_x 1
		.amdhsa_system_sgpr_workgroup_id_y 1
		.amdhsa_system_sgpr_workgroup_id_z 1
		.amdhsa_system_sgpr_workgroup_info 0
		.amdhsa_system_vgpr_workitem_id 1
		.amdhsa_next_free_vgpr 88
		.amdhsa_next_free_sgpr 57
		.amdhsa_named_barrier_count 0
		.amdhsa_reserve_vcc 1
		.amdhsa_float_round_mode_32 0
		.amdhsa_float_round_mode_16_64 0
		.amdhsa_float_denorm_mode_32 3
		.amdhsa_float_denorm_mode_16_64 3
		.amdhsa_fp16_overflow 0
		.amdhsa_memory_ordered 1
		.amdhsa_forward_progress 1
		.amdhsa_inst_pref_size 26
		.amdhsa_round_robin_scheduling 0
		.amdhsa_exception_fp_ieee_invalid_op 0
		.amdhsa_exception_fp_denorm_src 0
		.amdhsa_exception_fp_ieee_div_zero 0
		.amdhsa_exception_fp_ieee_overflow 0
		.amdhsa_exception_fp_ieee_underflow 0
		.amdhsa_exception_fp_ieee_inexact 0
		.amdhsa_exception_int_div_zero 0
	.end_amdhsa_kernel
	.section	.text._ZL30rocblas_trmm_outofplace_kernelIdLi32ELi2ELb1ELb0ELb0ELb0EPKdS0_dEv17rocblas_diagonal_iiT6_lPT7_lllS5_lllPT8_llli,"axG",@progbits,_ZL30rocblas_trmm_outofplace_kernelIdLi32ELi2ELb1ELb0ELb0ELb0EPKdS0_dEv17rocblas_diagonal_iiT6_lPT7_lllS5_lllPT8_llli,comdat
.Lfunc_end36:
	.size	_ZL30rocblas_trmm_outofplace_kernelIdLi32ELi2ELb1ELb0ELb0ELb0EPKdS0_dEv17rocblas_diagonal_iiT6_lPT7_lllS5_lllPT8_llli, .Lfunc_end36-_ZL30rocblas_trmm_outofplace_kernelIdLi32ELi2ELb1ELb0ELb0ELb0EPKdS0_dEv17rocblas_diagonal_iiT6_lPT7_lllS5_lllPT8_llli
                                        ; -- End function
	.set _ZL30rocblas_trmm_outofplace_kernelIdLi32ELi2ELb1ELb0ELb0ELb0EPKdS0_dEv17rocblas_diagonal_iiT6_lPT7_lllS5_lllPT8_llli.num_vgpr, 88
	.set _ZL30rocblas_trmm_outofplace_kernelIdLi32ELi2ELb1ELb0ELb0ELb0EPKdS0_dEv17rocblas_diagonal_iiT6_lPT7_lllS5_lllPT8_llli.num_agpr, 0
	.set _ZL30rocblas_trmm_outofplace_kernelIdLi32ELi2ELb1ELb0ELb0ELb0EPKdS0_dEv17rocblas_diagonal_iiT6_lPT7_lllS5_lllPT8_llli.numbered_sgpr, 57
	.set _ZL30rocblas_trmm_outofplace_kernelIdLi32ELi2ELb1ELb0ELb0ELb0EPKdS0_dEv17rocblas_diagonal_iiT6_lPT7_lllS5_lllPT8_llli.num_named_barrier, 0
	.set _ZL30rocblas_trmm_outofplace_kernelIdLi32ELi2ELb1ELb0ELb0ELb0EPKdS0_dEv17rocblas_diagonal_iiT6_lPT7_lllS5_lllPT8_llli.private_seg_size, 0
	.set _ZL30rocblas_trmm_outofplace_kernelIdLi32ELi2ELb1ELb0ELb0ELb0EPKdS0_dEv17rocblas_diagonal_iiT6_lPT7_lllS5_lllPT8_llli.uses_vcc, 1
	.set _ZL30rocblas_trmm_outofplace_kernelIdLi32ELi2ELb1ELb0ELb0ELb0EPKdS0_dEv17rocblas_diagonal_iiT6_lPT7_lllS5_lllPT8_llli.uses_flat_scratch, 0
	.set _ZL30rocblas_trmm_outofplace_kernelIdLi32ELi2ELb1ELb0ELb0ELb0EPKdS0_dEv17rocblas_diagonal_iiT6_lPT7_lllS5_lllPT8_llli.has_dyn_sized_stack, 0
	.set _ZL30rocblas_trmm_outofplace_kernelIdLi32ELi2ELb1ELb0ELb0ELb0EPKdS0_dEv17rocblas_diagonal_iiT6_lPT7_lllS5_lllPT8_llli.has_recursion, 0
	.set _ZL30rocblas_trmm_outofplace_kernelIdLi32ELi2ELb1ELb0ELb0ELb0EPKdS0_dEv17rocblas_diagonal_iiT6_lPT7_lllS5_lllPT8_llli.has_indirect_call, 0
	.section	.AMDGPU.csdata,"",@progbits
; Kernel info:
; codeLenInByte = 3256
; TotalNumSgprs: 59
; NumVgprs: 88
; ScratchSize: 0
; MemoryBound: 0
; FloatMode: 240
; IeeeMode: 1
; LDSByteSize: 16384 bytes/workgroup (compile time only)
; SGPRBlocks: 0
; VGPRBlocks: 5
; NumSGPRsForWavesPerEU: 59
; NumVGPRsForWavesPerEU: 88
; NamedBarCnt: 0
; Occupancy: 10
; WaveLimiterHint : 0
; COMPUTE_PGM_RSRC2:SCRATCH_EN: 0
; COMPUTE_PGM_RSRC2:USER_SGPR: 2
; COMPUTE_PGM_RSRC2:TRAP_HANDLER: 0
; COMPUTE_PGM_RSRC2:TGID_X_EN: 1
; COMPUTE_PGM_RSRC2:TGID_Y_EN: 1
; COMPUTE_PGM_RSRC2:TGID_Z_EN: 1
; COMPUTE_PGM_RSRC2:TIDIG_COMP_CNT: 1
	.section	.text._ZL30rocblas_trmm_outofplace_kernelIdLi32ELi2ELb1ELb0ELb0ELb0EdKddEv17rocblas_diagonal_iiT6_lPT7_lllS4_lllPT8_llli,"axG",@progbits,_ZL30rocblas_trmm_outofplace_kernelIdLi32ELi2ELb1ELb0ELb0ELb0EdKddEv17rocblas_diagonal_iiT6_lPT7_lllS4_lllPT8_llli,comdat
	.globl	_ZL30rocblas_trmm_outofplace_kernelIdLi32ELi2ELb1ELb0ELb0ELb0EdKddEv17rocblas_diagonal_iiT6_lPT7_lllS4_lllPT8_llli ; -- Begin function _ZL30rocblas_trmm_outofplace_kernelIdLi32ELi2ELb1ELb0ELb0ELb0EdKddEv17rocblas_diagonal_iiT6_lPT7_lllS4_lllPT8_llli
	.p2align	8
	.type	_ZL30rocblas_trmm_outofplace_kernelIdLi32ELi2ELb1ELb0ELb0ELb0EdKddEv17rocblas_diagonal_iiT6_lPT7_lllS4_lllPT8_llli,@function
_ZL30rocblas_trmm_outofplace_kernelIdLi32ELi2ELb1ELb0ELb0ELb0EdKddEv17rocblas_diagonal_iiT6_lPT7_lllS4_lllPT8_llli: ; @_ZL30rocblas_trmm_outofplace_kernelIdLi32ELi2ELb1ELb0ELb0ELb0EdKddEv17rocblas_diagonal_iiT6_lPT7_lllS4_lllPT8_llli
; %bb.0:
	s_load_b32 s31, s[0:1], 0x80
	s_bfe_u32 s2, ttmp6, 0x40014
	s_lshr_b32 s3, ttmp7, 16
	s_add_co_i32 s2, s2, 1
	s_bfe_u32 s5, ttmp6, 0x40008
	s_mul_i32 s4, s3, s2
	s_getreg_b32 s2, hwreg(HW_REG_IB_STS2, 6, 4)
	s_add_co_i32 s5, s5, s4
	s_cmp_eq_u32 s2, 0
	s_cselect_b32 s34, s3, s5
	s_wait_kmcnt 0x0
	s_cmp_ge_u32 s34, s31
	s_cbranch_scc1 .LBB37_54
; %bb.1:
	s_load_b64 s[36:37], s[0:1], 0x10
	s_wait_kmcnt 0x0
	v_cmp_eq_f64_e64 s3, s[36:37], 0
	s_and_b32 vcc_lo, exec_lo, s3
	s_cbranch_vccnz .LBB37_54
; %bb.2:
	s_clause 0x1
	s_load_b96 s[28:30], s[0:1], 0x0
	s_load_b512 s[4:19], s[0:1], 0x20
	s_bfe_u32 s33, ttmp6, 0x4000c
	s_bfe_u32 s41, ttmp6, 0x40010
	s_add_co_i32 s33, s33, 1
	s_and_b32 s40, ttmp7, 0xffff
	v_bfe_u32 v2, v0, 10, 10
	v_mov_b32_e32 v4, 0
	s_add_nc_u64 s[38:39], s[0:1], 0x88
	s_load_b256 s[20:27], s[0:1], 0x60
	s_add_co_i32 s41, s41, 1
	s_wait_xcnt 0x0
	s_mul_i32 s0, ttmp9, s33
	s_mul_i32 s1, s40, s41
	v_dual_lshlrev_b32 v5, 8, v2 :: v_dual_mov_b32 v3, v4
	v_mov_b32_e32 v1, v4
	s_and_b32 s3, ttmp6, 15
	s_bfe_u32 s42, ttmp6, 0x40004
	s_add_co_i32 s3, s3, s0
	s_add_co_i32 s42, s42, s1
	s_wait_kmcnt 0x0
	s_add_co_i32 s33, s30, -1
	v_and_b32_e32 v0, 0x3ff, v0
	s_ashr_i32 s41, s33, 31
	v_mul_u64_e32 v[22:23], s[8:9], v[2:3]
	s_lshr_b32 s41, s41, 27
	v_dual_mov_b32 v7, v4 :: v_dual_add_nc_u32 v60, 0x2000, v5
	s_add_co_i32 s33, s33, s41
	v_mov_b64_e32 v[24:25], 0
	s_ashr_i32 s33, s33, 5
	s_cmp_eq_u32 s2, 0
	v_mov_b64_e32 v[26:27], 1.0
	s_cselect_b32 s46, s40, s42
	s_cselect_b32 s0, ttmp9, s3
	s_cmp_le_i32 s46, s33
	s_mov_b32 s40, s29
	s_cselect_b32 s47, -1, 0
	s_lshl_b32 s48, s0, 5
	s_delay_alu instid0(SALU_CYCLE_1)
	v_dual_lshlrev_b32 v6, 3, v0 :: v_dual_add_nc_u32 v8, s48, v0
	s_cmp_gt_i32 s0, -1
	s_mov_b32 s35, 0
	s_cselect_b32 s49, -1, 0
	s_cmp_eq_u32 s28, 0x84
	v_dual_add_nc_u32 v61, v6, v5 :: v_dual_add_nc_u32 v62, v60, v6
	v_lshl_add_u32 v5, v2, 3, 0x80
	s_cselect_b32 s50, -1, 0
	s_lshl_b64 s[2:3], s[6:7], 3
	v_dual_ashrrev_i32 v9, 31, v8 :: v_dual_add_nc_u32 v12, 16, v8
	s_add_nc_u64 s[4:5], s[4:5], s[2:3]
	s_lshl_b64 s[6:7], s[14:15], 3
	v_mad_nc_u64_u32 v[14:15], s8, v5, s[4:5]
	s_add_nc_u64 s[2:3], s[12:13], s[6:7]
	v_add_nc_u64_e32 v[10:11], 16, v[8:9]
	v_add_nc_u64_e32 v[18:19], s[2:3], v[6:7]
	s_ashr_i32 s41, s29, 31
	s_lshl_b64 s[0:1], s[22:23], 3
	v_sub_nc_u64_e32 v[16:17], v[8:9], v[2:3]
	s_add_nc_u64 s[20:21], s[20:21], s[0:1]
	v_lshlrev_b64_e32 v[20:21], 3, v[8:9]
	v_cmp_le_i64_e64 s1, s[40:41], v[10:11]
	v_add_nc_u64_e32 v[18:19], 0x80, v[18:19]
	v_mad_u32 v15, s9, v5, v15
	v_cmp_le_i32_e64 s0, s29, v8
	v_cmp_gt_i32_e64 s2, s29, v8
	v_cmp_gt_i32_e64 s3, s29, v12
	v_ashrrev_i32_e32 v13, 31, v12
	v_lshl_add_u32 v7, s46, 5, v2
	v_lshl_add_u64 v[22:23], v[22:23], 3, s[4:5]
	v_add_nc_u32_e32 v63, 0x800, v6
	v_add_nc_u32_e32 v64, 0x1000, v6
	;; [unrolled: 1-line block ×3, first 2 shown]
	s_mov_b32 s42, s30
	s_ashr_i32 s43, s30, 31
	s_lshl_b64 s[22:23], s[8:9], 8
	s_add_nc_u64 s[12:13], s[40:41], -16
	s_lshl_b64 s[14:15], s[18:19], 3
	s_lshl_b64 s[18:19], s[16:17], 3
	;; [unrolled: 1-line block ×3, first 2 shown]
	s_branch .LBB37_4
.LBB37_3:                               ;   in Loop: Header=BB37_4 Depth=1
	s_add_co_i32 s34, s34, 0x10000
	s_delay_alu instid0(SALU_CYCLE_1)
	s_cmp_ge_u32 s34, s31
	s_cbranch_scc1 .LBB37_54
.LBB37_4:                               ; =>This Loop Header: Depth=1
                                        ;     Child Loop BB37_7 Depth 2
                                        ;       Child Loop BB37_10 Depth 3
	s_and_not1_b32 vcc_lo, exec_lo, s47
	s_cbranch_vccnz .LBB37_3
; %bb.5:                                ;   in Loop: Header=BB37_4 Depth=1
	s_load_b32 s9, s[38:39], 0x4
	v_mad_nc_u64_u32 v[28:29], s14, s34, v[18:19]
	v_mad_nc_u64_u32 v[30:31], s10, s34, v[14:15]
	;; [unrolled: 1-line block ×3, first 2 shown]
	s_mul_i32 s6, s11, s34
	s_mul_u64 s[4:5], s[26:27], s[34:35]
	v_mov_b32_e32 v34, v7
	s_lshl_b64 s[4:5], s[4:5], 3
	s_mov_b32 s52, s46
	s_add_nc_u64 s[28:29], s[20:21], s[4:5]
	s_delay_alu instid0(VALU_DEP_4) | instskip(NEXT) | instid1(VALU_DEP_3)
	v_mad_u32 v29, s15, s34, v29
	v_dual_add_nc_u32 v31, s6, v31 :: v_dual_add_nc_u32 v33, s6, v33
	s_wait_kmcnt 0x0
	s_lshl_b32 s51, s9, 5
	s_branch .LBB37_7
.LBB37_6:                               ;   in Loop: Header=BB37_7 Depth=2
	s_wait_xcnt 0x0
	s_or_b32 exec_lo, exec_lo, s4
	v_add_nc_u32_e32 v34, s51, v34
	s_add_co_i32 s52, s9, s52
	s_delay_alu instid0(SALU_CYCLE_1)
	s_cmp_gt_i32 s52, s33
	s_cbranch_scc1 .LBB37_3
.LBB37_7:                               ;   Parent Loop BB37_4 Depth=1
                                        ; =>  This Loop Header: Depth=2
                                        ;       Child Loop BB37_10 Depth 3
	v_lshl_add_u32 v36, s52, 5, v2
	v_mov_b64_e32 v[44:45], 0
	v_mov_b64_e32 v[42:43], 0
	;; [unrolled: 1-line block ×4, first 2 shown]
	v_ashrrev_i32_e32 v37, 31, v36
	s_and_not1_b32 vcc_lo, exec_lo, s49
	s_cbranch_vccnz .LBB37_46
; %bb.8:                                ;   in Loop: Header=BB37_7 Depth=2
	v_ashrrev_i32_e32 v35, 31, v34
	v_mad_nc_u64_u32 v[46:47], s18, v34, v[28:29]
	v_sub_nc_u64_e32 v[40:41], s[42:43], v[36:37]
	v_mov_b64_e32 v[42:43], 0
	v_mov_b64_e32 v[44:45], 0
	v_lshl_add_u64 v[38:39], v[34:35], 3, 0x80
	v_mov_b64_e32 v[50:51], v[32:33]
	v_mov_b64_e32 v[52:53], v[30:31]
	s_mov_b64 s[44:45], 0
	v_cmp_lt_i64_e32 vcc_lo, 0, v[40:41]
	v_mad_nc_u64_u32 v[48:49], s16, v38, v[28:29]
	v_cmp_lt_i64_e64 s4, 16, v[40:41]
	v_mad_u32 v5, s19, v34, v47
	v_mov_b64_e32 v[40:41], 0
	s_delay_alu instid0(VALU_DEP_4) | instskip(NEXT) | instid1(VALU_DEP_3)
	v_mad_u32 v38, s17, v38, v49
	v_mad_u32 v47, s18, v35, v5
	s_delay_alu instid0(VALU_DEP_2)
	v_mad_u32 v49, s16, v39, v38
	v_mov_b64_e32 v[38:39], 0
	s_branch .LBB37_10
.LBB37_9:                               ;   in Loop: Header=BB37_10 Depth=3
	s_wait_xcnt 0x0
	s_or_b32 exec_lo, exec_lo, s5
	s_wait_dscnt 0x0
	s_barrier_signal -1
	s_barrier_wait -1
	ds_load_b128 v[54:57], v60
	ds_load_2addr_b64 v[66:69], v6 offset1:16
	ds_load_b128 v[70:73], v60 offset:4096
	ds_load_b128 v[74:77], v60 offset:16
	;; [unrolled: 1-line block ×3, first 2 shown]
	v_add_nc_u64_e32 v[46:47], 0x100, v[46:47]
	v_add_nc_u64_e32 v[52:53], s[22:23], v[52:53]
	v_add_nc_u64_e32 v[48:49], 0x100, v[48:49]
	v_add_nc_u64_e32 v[50:51], s[22:23], v[50:51]
	s_add_nc_u64 s[44:45], s[44:45], 32
	s_delay_alu instid0(SALU_CYCLE_1) | instskip(NEXT) | instid1(SALU_CYCLE_1)
	s_sub_co_i32 s5, s44, 32
	s_cmp_ge_i32 s5, s48
	s_wait_dscnt 0x3
	v_fmac_f64_e32 v[44:45], v[66:67], v[54:55]
	v_fmac_f64_e32 v[42:43], v[68:69], v[54:55]
	s_wait_dscnt 0x2
	v_fmac_f64_e32 v[40:41], v[66:67], v[70:71]
	v_fmac_f64_e32 v[38:39], v[68:69], v[70:71]
	ds_load_2addr_b64 v[66:69], v6 offset0:32 offset1:48
	s_wait_dscnt 0x0
	v_fmac_f64_e32 v[44:45], v[66:67], v[56:57]
	v_fmac_f64_e32 v[42:43], v[68:69], v[56:57]
	v_fmac_f64_e32 v[40:41], v[66:67], v[72:73]
	v_fmac_f64_e32 v[38:39], v[68:69], v[72:73]
	ds_load_2addr_b64 v[54:57], v6 offset0:64 offset1:80
	s_wait_dscnt 0x0
	v_fmac_f64_e32 v[44:45], v[54:55], v[74:75]
	v_fmac_f64_e32 v[42:43], v[56:57], v[74:75]
	v_fmac_f64_e32 v[40:41], v[54:55], v[78:79]
	v_fmac_f64_e32 v[38:39], v[56:57], v[78:79]
	ds_load_2addr_b64 v[54:57], v6 offset0:96 offset1:112
	s_wait_dscnt 0x0
	v_fmac_f64_e32 v[44:45], v[54:55], v[76:77]
	v_fmac_f64_e32 v[42:43], v[56:57], v[76:77]
	v_fmac_f64_e32 v[40:41], v[54:55], v[80:81]
	v_fmac_f64_e32 v[38:39], v[56:57], v[80:81]
	ds_load_b128 v[54:57], v60 offset:32
	ds_load_2addr_b64 v[66:69], v6 offset0:128 offset1:144
	ds_load_b128 v[70:73], v60 offset:4128
	ds_load_b128 v[74:77], v60 offset:48
	ds_load_b128 v[78:81], v60 offset:4144
	s_wait_dscnt 0x3
	v_fmac_f64_e32 v[44:45], v[66:67], v[54:55]
	v_fmac_f64_e32 v[42:43], v[68:69], v[54:55]
	s_wait_dscnt 0x2
	v_fmac_f64_e32 v[40:41], v[66:67], v[70:71]
	v_fmac_f64_e32 v[38:39], v[68:69], v[70:71]
	ds_load_2addr_b64 v[66:69], v6 offset0:160 offset1:176
	s_wait_dscnt 0x0
	v_fmac_f64_e32 v[44:45], v[66:67], v[56:57]
	v_fmac_f64_e32 v[42:43], v[68:69], v[56:57]
	v_fmac_f64_e32 v[40:41], v[66:67], v[72:73]
	v_fmac_f64_e32 v[38:39], v[68:69], v[72:73]
	ds_load_2addr_b64 v[54:57], v6 offset0:192 offset1:208
	s_wait_dscnt 0x0
	v_fmac_f64_e32 v[44:45], v[54:55], v[74:75]
	v_fmac_f64_e32 v[42:43], v[56:57], v[74:75]
	v_fmac_f64_e32 v[40:41], v[54:55], v[78:79]
	v_fmac_f64_e32 v[38:39], v[56:57], v[78:79]
	ds_load_2addr_b64 v[54:57], v6 offset0:224 offset1:240
	s_wait_dscnt 0x0
	v_fmac_f64_e32 v[44:45], v[54:55], v[76:77]
	v_fmac_f64_e32 v[42:43], v[56:57], v[76:77]
	v_fmac_f64_e32 v[40:41], v[54:55], v[80:81]
	v_fmac_f64_e32 v[38:39], v[56:57], v[80:81]
	ds_load_b128 v[54:57], v60 offset:64
	ds_load_2addr_b64 v[66:69], v63 offset1:16
	ds_load_b128 v[70:73], v60 offset:4160
	ds_load_b128 v[74:77], v60 offset:80
	ds_load_b128 v[78:81], v60 offset:4176
	s_wait_dscnt 0x3
	v_fmac_f64_e32 v[44:45], v[66:67], v[54:55]
	v_fmac_f64_e32 v[42:43], v[68:69], v[54:55]
	s_wait_dscnt 0x2
	v_fmac_f64_e32 v[40:41], v[66:67], v[70:71]
	v_fmac_f64_e32 v[38:39], v[68:69], v[70:71]
	ds_load_2addr_b64 v[66:69], v63 offset0:32 offset1:48
	s_wait_dscnt 0x0
	v_fmac_f64_e32 v[44:45], v[66:67], v[56:57]
	v_fmac_f64_e32 v[42:43], v[68:69], v[56:57]
	v_fmac_f64_e32 v[40:41], v[66:67], v[72:73]
	v_fmac_f64_e32 v[38:39], v[68:69], v[72:73]
	ds_load_2addr_b64 v[54:57], v63 offset0:64 offset1:80
	s_wait_dscnt 0x0
	v_fmac_f64_e32 v[44:45], v[54:55], v[74:75]
	v_fmac_f64_e32 v[42:43], v[56:57], v[74:75]
	v_fmac_f64_e32 v[40:41], v[54:55], v[78:79]
	v_fmac_f64_e32 v[38:39], v[56:57], v[78:79]
	ds_load_2addr_b64 v[54:57], v63 offset0:96 offset1:112
	s_wait_dscnt 0x0
	v_fmac_f64_e32 v[44:45], v[54:55], v[76:77]
	v_fmac_f64_e32 v[42:43], v[56:57], v[76:77]
	v_fmac_f64_e32 v[40:41], v[54:55], v[80:81]
	v_fmac_f64_e32 v[38:39], v[56:57], v[80:81]
	ds_load_b128 v[54:57], v60 offset:96
	ds_load_2addr_b64 v[66:69], v63 offset0:128 offset1:144
	ds_load_b128 v[70:73], v60 offset:4192
	ds_load_b128 v[74:77], v60 offset:112
	ds_load_b128 v[78:81], v60 offset:4208
	s_wait_dscnt 0x3
	v_fmac_f64_e32 v[44:45], v[66:67], v[54:55]
	v_fmac_f64_e32 v[42:43], v[68:69], v[54:55]
	s_wait_dscnt 0x2
	v_fmac_f64_e32 v[40:41], v[66:67], v[70:71]
	v_fmac_f64_e32 v[38:39], v[68:69], v[70:71]
	ds_load_2addr_b64 v[66:69], v63 offset0:160 offset1:176
	s_wait_dscnt 0x0
	v_fmac_f64_e32 v[44:45], v[66:67], v[56:57]
	v_fmac_f64_e32 v[42:43], v[68:69], v[56:57]
	v_fmac_f64_e32 v[40:41], v[66:67], v[72:73]
	v_fmac_f64_e32 v[38:39], v[68:69], v[72:73]
	ds_load_2addr_b64 v[54:57], v63 offset0:192 offset1:208
	s_wait_dscnt 0x0
	v_fmac_f64_e32 v[44:45], v[54:55], v[74:75]
	v_fmac_f64_e32 v[42:43], v[56:57], v[74:75]
	v_fmac_f64_e32 v[40:41], v[54:55], v[78:79]
	v_fmac_f64_e32 v[38:39], v[56:57], v[78:79]
	ds_load_2addr_b64 v[54:57], v63 offset0:224 offset1:240
	s_wait_dscnt 0x0
	v_fmac_f64_e32 v[44:45], v[54:55], v[76:77]
	v_fmac_f64_e32 v[42:43], v[56:57], v[76:77]
	v_fmac_f64_e32 v[40:41], v[54:55], v[80:81]
	v_fmac_f64_e32 v[38:39], v[56:57], v[80:81]
	ds_load_b128 v[54:57], v60 offset:128
	ds_load_2addr_b64 v[66:69], v64 offset1:16
	ds_load_b128 v[70:73], v60 offset:4224
	ds_load_b128 v[74:77], v60 offset:144
	ds_load_b128 v[78:81], v60 offset:4240
	;; [unrolled: 58-line block ×3, first 2 shown]
	s_wait_dscnt 0x3
	v_fmac_f64_e32 v[44:45], v[66:67], v[54:55]
	v_fmac_f64_e32 v[42:43], v[68:69], v[54:55]
	s_wait_dscnt 0x2
	v_fmac_f64_e32 v[40:41], v[66:67], v[70:71]
	v_fmac_f64_e32 v[38:39], v[68:69], v[70:71]
	ds_load_2addr_b64 v[66:69], v65 offset0:32 offset1:48
	s_wait_dscnt 0x0
	v_fmac_f64_e32 v[44:45], v[66:67], v[56:57]
	v_fmac_f64_e32 v[42:43], v[68:69], v[56:57]
	v_fmac_f64_e32 v[40:41], v[66:67], v[72:73]
	v_fmac_f64_e32 v[38:39], v[68:69], v[72:73]
	ds_load_2addr_b64 v[54:57], v65 offset0:64 offset1:80
	s_wait_dscnt 0x0
	v_fmac_f64_e32 v[44:45], v[54:55], v[74:75]
	v_fmac_f64_e32 v[42:43], v[56:57], v[74:75]
	;; [unrolled: 6-line block ×3, first 2 shown]
	v_fmac_f64_e32 v[40:41], v[54:55], v[80:81]
	v_fmac_f64_e32 v[38:39], v[56:57], v[80:81]
	ds_load_b128 v[54:57], v60 offset:224
	ds_load_2addr_b64 v[66:69], v65 offset0:128 offset1:144
	ds_load_b128 v[70:73], v60 offset:4320
	ds_load_b128 v[74:77], v60 offset:240
	;; [unrolled: 1-line block ×3, first 2 shown]
	s_wait_dscnt 0x3
	v_fmac_f64_e32 v[44:45], v[66:67], v[54:55]
	v_fmac_f64_e32 v[42:43], v[68:69], v[54:55]
	s_wait_dscnt 0x2
	v_fmac_f64_e32 v[40:41], v[66:67], v[70:71]
	v_fmac_f64_e32 v[38:39], v[68:69], v[70:71]
	ds_load_2addr_b64 v[66:69], v65 offset0:160 offset1:176
	s_wait_dscnt 0x0
	v_fmac_f64_e32 v[44:45], v[66:67], v[56:57]
	v_fmac_f64_e32 v[42:43], v[68:69], v[56:57]
	;; [unrolled: 1-line block ×4, first 2 shown]
	ds_load_2addr_b64 v[54:57], v65 offset0:192 offset1:208
	s_wait_dscnt 0x0
	v_fmac_f64_e32 v[44:45], v[54:55], v[74:75]
	v_fmac_f64_e32 v[42:43], v[56:57], v[74:75]
	;; [unrolled: 1-line block ×4, first 2 shown]
	ds_load_2addr_b64 v[54:57], v65 offset0:224 offset1:240
	s_wait_dscnt 0x0
	s_barrier_signal -1
	s_barrier_wait -1
	v_fmac_f64_e32 v[44:45], v[54:55], v[76:77]
	v_fmac_f64_e32 v[42:43], v[56:57], v[76:77]
	;; [unrolled: 1-line block ×4, first 2 shown]
	s_cbranch_scc1 .LBB37_46
.LBB37_10:                              ;   Parent Loop BB37_4 Depth=1
                                        ;     Parent Loop BB37_7 Depth=2
                                        ; =>    This Inner Loop Header: Depth=3
	v_add_nc_u64_e32 v[54:55], s[44:45], v[2:3]
	v_cmp_eq_u64_e64 s7, s[44:45], v[16:17]
	v_add_nc_u64_e32 v[56:57], v[50:51], v[20:21]
                                        ; implicit-def: $vgpr58_vgpr59
	s_delay_alu instid0(VALU_DEP_3) | instskip(SKIP_3) | instid1(SALU_CYCLE_1)
	v_cmp_le_i64_e64 s6, s[40:41], v[54:55]
	v_cmp_gt_i64_e64 s5, v[54:55], v[8:9]
	s_and_b32 s53, s50, s7
	s_or_b32 s7, s6, s5
	s_or_b32 s7, s7, s53
	s_delay_alu instid0(SALU_CYCLE_1) | instskip(NEXT) | instid1(SALU_CYCLE_1)
	s_nor_b32 s7, s0, s7
	s_and_saveexec_b32 s8, s7
	s_delay_alu instid0(SALU_CYCLE_1)
	s_xor_b32 s7, exec_lo, s8
	s_cbranch_execz .LBB37_12
; %bb.11:                               ;   in Loop: Header=BB37_10 Depth=3
	global_load_b64 v[58:59], v[56:57], off
.LBB37_12:                              ;   in Loop: Header=BB37_10 Depth=3
	s_wait_xcnt 0x0
	s_and_not1_saveexec_b32 s7, s7
	s_cbranch_execz .LBB37_14
; %bb.13:                               ;   in Loop: Header=BB37_10 Depth=3
	v_cndmask_b32_e64 v5, 0, 0x3ff00000, s53
	s_wait_loadcnt 0x0
	s_delay_alu instid0(VALU_DEP_1)
	v_mov_b64_e32 v[58:59], v[4:5]
.LBB37_14:                              ;   in Loop: Header=BB37_10 Depth=3
	s_or_b32 exec_lo, exec_lo, s7
	v_add_nc_u64_e32 v[66:67], 16, v[16:17]
	v_cmp_lt_i64_e64 s8, v[10:11], v[54:55]
	s_wait_loadcnt 0x0
	ds_store_b64 v61, v[58:59]
	v_cmp_eq_u64_e64 s7, s[44:45], v[66:67]
	s_or_b32 s6, s6, s8
	s_and_b32 s7, s50, s7
	s_delay_alu instid0(SALU_CYCLE_1) | instskip(NEXT) | instid1(SALU_CYCLE_1)
	s_or_b32 s6, s6, s7
	s_nor_b32 s6, s1, s6
	s_delay_alu instid0(SALU_CYCLE_1) | instskip(NEXT) | instid1(SALU_CYCLE_1)
	s_and_saveexec_b32 s8, s6
	s_xor_b32 s6, exec_lo, s8
	s_cbranch_execz .LBB37_16
; %bb.15:                               ;   in Loop: Header=BB37_10 Depth=3
	global_load_b64 v[56:57], v[56:57], off offset:128
	s_wait_loadcnt 0x0
	ds_store_b64 v61, v[56:57] offset:128
.LBB37_16:                              ;   in Loop: Header=BB37_10 Depth=3
	s_wait_xcnt 0x0
	s_and_not1_saveexec_b32 s6, s6
	s_cbranch_execz .LBB37_22
; %bb.17:                               ;   in Loop: Header=BB37_10 Depth=3
	s_xor_b32 s7, s7, -1
	s_delay_alu instid0(SALU_CYCLE_1) | instskip(NEXT) | instid1(SALU_CYCLE_1)
	s_and_saveexec_b32 s8, s7
	s_xor_b32 s7, exec_lo, s8
; %bb.18:                               ;   in Loop: Header=BB37_10 Depth=3
	ds_store_b64 v61, v[24:25] offset:128
; %bb.19:                               ;   in Loop: Header=BB37_10 Depth=3
	s_and_not1_saveexec_b32 s7, s7
; %bb.20:                               ;   in Loop: Header=BB37_10 Depth=3
	ds_store_b64 v61, v[26:27] offset:128
; %bb.21:                               ;   in Loop: Header=BB37_10 Depth=3
	s_or_b32 exec_lo, exec_lo, s7
.LBB37_22:                              ;   in Loop: Header=BB37_10 Depth=3
	s_delay_alu instid0(SALU_CYCLE_1) | instskip(SKIP_2) | instid1(VALU_DEP_2)
	s_or_b32 exec_lo, exec_lo, s6
	v_add_nc_u64_e32 v[56:57], -16, v[16:17]
	v_add_nc_u64_e32 v[54:55], 16, v[54:55]
	v_cmp_eq_u64_e64 s7, s[44:45], v[56:57]
	s_delay_alu instid0(VALU_DEP_2) | instskip(SKIP_4) | instid1(SALU_CYCLE_1)
	v_cmp_le_i64_e64 s6, s[40:41], v[54:55]
	v_cmp_gt_i64_e64 s8, v[54:55], v[8:9]
	v_add_nc_u64_e32 v[54:55], v[52:53], v[20:21]
                                        ; implicit-def: $vgpr56_vgpr57
	s_and_b32 s7, s50, s7
	s_or_b32 s8, s6, s8
	s_or_b32 s8, s8, s7
	s_delay_alu instid0(SALU_CYCLE_1) | instskip(NEXT) | instid1(SALU_CYCLE_1)
	s_nor_b32 s8, s0, s8
	s_and_saveexec_b32 s54, s8
	s_delay_alu instid0(SALU_CYCLE_1)
	s_xor_b32 s8, exec_lo, s54
	s_cbranch_execz .LBB37_24
; %bb.23:                               ;   in Loop: Header=BB37_10 Depth=3
	global_load_b64 v[56:57], v[54:55], off
.LBB37_24:                              ;   in Loop: Header=BB37_10 Depth=3
	s_wait_xcnt 0x0
	s_and_not1_saveexec_b32 s8, s8
	s_cbranch_execz .LBB37_26
; %bb.25:                               ;   in Loop: Header=BB37_10 Depth=3
	v_cndmask_b32_e64 v5, 0, 0x3ff00000, s7
	s_wait_loadcnt 0x0
	s_delay_alu instid0(VALU_DEP_1)
	v_mov_b64_e32 v[56:57], v[4:5]
.LBB37_26:                              ;   in Loop: Header=BB37_10 Depth=3
	s_or_b32 exec_lo, exec_lo, s8
	s_or_b32 s5, s6, s5
	s_wait_loadcnt 0x0
	ds_store_b64 v61, v[56:57] offset:4096
	s_or_b32 s5, s5, s53
	s_delay_alu instid0(SALU_CYCLE_1) | instskip(NEXT) | instid1(SALU_CYCLE_1)
	s_nor_b32 s5, s1, s5
	s_and_saveexec_b32 s6, s5
	s_delay_alu instid0(SALU_CYCLE_1)
	s_xor_b32 s5, exec_lo, s6
	s_cbranch_execz .LBB37_28
; %bb.27:                               ;   in Loop: Header=BB37_10 Depth=3
	global_load_b64 v[54:55], v[54:55], off offset:128
	s_wait_loadcnt 0x0
	ds_store_b64 v61, v[54:55] offset:4224
.LBB37_28:                              ;   in Loop: Header=BB37_10 Depth=3
	s_wait_xcnt 0x0
	s_and_not1_saveexec_b32 s5, s5
	s_cbranch_execz .LBB37_34
; %bb.29:                               ;   in Loop: Header=BB37_10 Depth=3
	s_xor_b32 s6, s53, -1
	s_delay_alu instid0(SALU_CYCLE_1) | instskip(NEXT) | instid1(SALU_CYCLE_1)
	s_and_saveexec_b32 s7, s6
	s_xor_b32 s6, exec_lo, s7
; %bb.30:                               ;   in Loop: Header=BB37_10 Depth=3
	ds_store_b64 v61, v[24:25] offset:4224
; %bb.31:                               ;   in Loop: Header=BB37_10 Depth=3
	s_and_not1_saveexec_b32 s6, s6
; %bb.32:                               ;   in Loop: Header=BB37_10 Depth=3
	ds_store_b64 v61, v[26:27] offset:4224
; %bb.33:                               ;   in Loop: Header=BB37_10 Depth=3
	s_or_b32 exec_lo, exec_lo, s6
.LBB37_34:                              ;   in Loop: Header=BB37_10 Depth=3
	s_delay_alu instid0(SALU_CYCLE_1) | instskip(SKIP_2) | instid1(VALU_DEP_2)
	s_or_b32 exec_lo, exec_lo, s5
	v_add_nc_u64_e32 v[54:55], s[44:45], v[0:1]
	v_mov_b64_e32 v[56:57], 0
	v_cmp_gt_i64_e64 s5, s[40:41], v[54:55]
	s_and_b32 s7, vcc_lo, s5
	s_delay_alu instid0(SALU_CYCLE_1)
	s_and_saveexec_b32 s6, s7
	s_cbranch_execz .LBB37_36
; %bb.35:                               ;   in Loop: Header=BB37_10 Depth=3
	global_load_b64 v[56:57], v[46:47], off offset:-128
.LBB37_36:                              ;   in Loop: Header=BB37_10 Depth=3
	s_wait_xcnt 0x0
	s_or_b32 exec_lo, exec_lo, s6
	v_cmp_gt_i64_e64 s6, s[12:13], v[54:55]
	s_wait_loadcnt 0x0
	ds_store_b64 v62, v[56:57]
	s_and_b32 s7, vcc_lo, s6
	s_delay_alu instid0(SALU_CYCLE_1) | instskip(NEXT) | instid1(SALU_CYCLE_1)
	s_xor_b32 s7, s7, -1
	s_and_saveexec_b32 s8, s7
	s_delay_alu instid0(SALU_CYCLE_1)
	s_xor_b32 s7, exec_lo, s8
; %bb.37:                               ;   in Loop: Header=BB37_10 Depth=3
	ds_store_b64 v62, v[24:25] offset:128
; %bb.38:                               ;   in Loop: Header=BB37_10 Depth=3
	s_and_not1_saveexec_b32 s7, s7
	s_cbranch_execz .LBB37_40
; %bb.39:                               ;   in Loop: Header=BB37_10 Depth=3
	global_load_b64 v[54:55], v[46:47], off
	s_wait_loadcnt 0x0
	ds_store_b64 v62, v[54:55] offset:128
.LBB37_40:                              ;   in Loop: Header=BB37_10 Depth=3
	s_wait_xcnt 0x0
	s_or_b32 exec_lo, exec_lo, s7
	v_mov_b64_e32 v[54:55], 0
	s_and_b32 s7, s4, s5
	s_delay_alu instid0(SALU_CYCLE_1)
	s_and_saveexec_b32 s5, s7
	s_cbranch_execz .LBB37_42
; %bb.41:                               ;   in Loop: Header=BB37_10 Depth=3
	global_load_b64 v[54:55], v[48:49], off offset:-128
.LBB37_42:                              ;   in Loop: Header=BB37_10 Depth=3
	s_wait_xcnt 0x0
	s_or_b32 exec_lo, exec_lo, s5
	s_and_b32 s5, s4, s6
	s_wait_loadcnt 0x0
	ds_store_b64 v62, v[54:55] offset:4096
	s_xor_b32 s5, s5, -1
	s_delay_alu instid0(SALU_CYCLE_1) | instskip(NEXT) | instid1(SALU_CYCLE_1)
	s_and_saveexec_b32 s6, s5
	s_xor_b32 s5, exec_lo, s6
; %bb.43:                               ;   in Loop: Header=BB37_10 Depth=3
	ds_store_b64 v62, v[24:25] offset:4224
; %bb.44:                               ;   in Loop: Header=BB37_10 Depth=3
	s_and_not1_saveexec_b32 s5, s5
	s_cbranch_execz .LBB37_9
; %bb.45:                               ;   in Loop: Header=BB37_10 Depth=3
	global_load_b64 v[54:55], v[48:49], off
	s_wait_loadcnt 0x0
	ds_store_b64 v62, v[54:55] offset:4224
	s_branch .LBB37_9
.LBB37_46:                              ;   in Loop: Header=BB37_7 Depth=2
	s_delay_alu instid0(VALU_DEP_1) | instskip(SKIP_2) | instid1(VALU_DEP_2)
	v_mul_u64_e32 v[46:47], s[24:25], v[36:37]
	v_cmp_gt_i32_e32 vcc_lo, s30, v36
	s_and_b32 s5, s2, vcc_lo
	v_lshl_add_u64 v[46:47], v[46:47], 3, s[28:29]
	s_and_saveexec_b32 s4, s5
	s_cbranch_execz .LBB37_48
; %bb.47:                               ;   in Loop: Header=BB37_7 Depth=2
	s_delay_alu instid0(VALU_DEP_1)
	v_lshl_add_u64 v[48:49], v[8:9], 3, v[46:47]
	global_load_b64 v[50:51], v[48:49], off
	s_wait_loadcnt 0x0
	v_fmac_f64_e32 v[50:51], s[36:37], v[44:45]
	global_store_b64 v[48:49], v[50:51], off
.LBB37_48:                              ;   in Loop: Header=BB37_7 Depth=2
	s_wait_xcnt 0x0
	s_or_b32 exec_lo, exec_lo, s4
	s_and_b32 s5, s3, vcc_lo
	s_delay_alu instid0(SALU_CYCLE_1)
	s_and_saveexec_b32 s4, s5
	s_cbranch_execz .LBB37_50
; %bb.49:                               ;   in Loop: Header=BB37_7 Depth=2
	v_lshl_add_u64 v[44:45], v[12:13], 3, v[46:47]
	global_load_b64 v[46:47], v[44:45], off
	s_wait_loadcnt 0x0
	v_fmac_f64_e32 v[46:47], s[36:37], v[42:43]
	global_store_b64 v[44:45], v[46:47], off
.LBB37_50:                              ;   in Loop: Header=BB37_7 Depth=2
	s_wait_xcnt 0x0
	s_or_b32 exec_lo, exec_lo, s4
	v_add_nc_u32_e32 v36, 16, v36
	s_delay_alu instid0(VALU_DEP_1) | instskip(SKIP_1) | instid1(VALU_DEP_2)
	v_ashrrev_i32_e32 v37, 31, v36
	v_cmp_gt_i32_e32 vcc_lo, s30, v36
	v_mul_u64_e32 v[42:43], s[24:25], v[36:37]
	s_and_b32 s5, s2, vcc_lo
	s_delay_alu instid0(VALU_DEP_1)
	v_lshl_add_u64 v[36:37], v[42:43], 3, s[28:29]
	s_and_saveexec_b32 s4, s5
	s_cbranch_execz .LBB37_52
; %bb.51:                               ;   in Loop: Header=BB37_7 Depth=2
	s_delay_alu instid0(VALU_DEP_1)
	v_lshl_add_u64 v[42:43], v[8:9], 3, v[36:37]
	global_load_b64 v[44:45], v[42:43], off
	s_wait_loadcnt 0x0
	v_fmac_f64_e32 v[44:45], s[36:37], v[40:41]
	global_store_b64 v[42:43], v[44:45], off
.LBB37_52:                              ;   in Loop: Header=BB37_7 Depth=2
	s_wait_xcnt 0x0
	s_or_b32 exec_lo, exec_lo, s4
	s_and_b32 s5, s3, vcc_lo
	s_delay_alu instid0(SALU_CYCLE_1)
	s_and_saveexec_b32 s4, s5
	s_cbranch_execz .LBB37_6
; %bb.53:                               ;   in Loop: Header=BB37_7 Depth=2
	v_lshl_add_u64 v[36:37], v[12:13], 3, v[36:37]
	global_load_b64 v[40:41], v[36:37], off
	s_wait_loadcnt 0x0
	v_fmac_f64_e32 v[40:41], s[36:37], v[38:39]
	global_store_b64 v[36:37], v[40:41], off
	s_branch .LBB37_6
.LBB37_54:
	s_sendmsg sendmsg(MSG_DEALLOC_VGPRS)
	s_endpgm
	.section	.rodata,"a",@progbits
	.p2align	6, 0x0
	.amdhsa_kernel _ZL30rocblas_trmm_outofplace_kernelIdLi32ELi2ELb1ELb0ELb0ELb0EdKddEv17rocblas_diagonal_iiT6_lPT7_lllS4_lllPT8_llli
		.amdhsa_group_segment_fixed_size 16384
		.amdhsa_private_segment_fixed_size 0
		.amdhsa_kernarg_size 392
		.amdhsa_user_sgpr_count 2
		.amdhsa_user_sgpr_dispatch_ptr 0
		.amdhsa_user_sgpr_queue_ptr 0
		.amdhsa_user_sgpr_kernarg_segment_ptr 1
		.amdhsa_user_sgpr_dispatch_id 0
		.amdhsa_user_sgpr_kernarg_preload_length 0
		.amdhsa_user_sgpr_kernarg_preload_offset 0
		.amdhsa_user_sgpr_private_segment_size 0
		.amdhsa_wavefront_size32 1
		.amdhsa_uses_dynamic_stack 0
		.amdhsa_enable_private_segment 0
		.amdhsa_system_sgpr_workgroup_id_x 1
		.amdhsa_system_sgpr_workgroup_id_y 1
		.amdhsa_system_sgpr_workgroup_id_z 1
		.amdhsa_system_sgpr_workgroup_info 0
		.amdhsa_system_vgpr_workitem_id 1
		.amdhsa_next_free_vgpr 82
		.amdhsa_next_free_sgpr 55
		.amdhsa_named_barrier_count 0
		.amdhsa_reserve_vcc 1
		.amdhsa_float_round_mode_32 0
		.amdhsa_float_round_mode_16_64 0
		.amdhsa_float_denorm_mode_32 3
		.amdhsa_float_denorm_mode_16_64 3
		.amdhsa_fp16_overflow 0
		.amdhsa_memory_ordered 1
		.amdhsa_forward_progress 1
		.amdhsa_inst_pref_size 26
		.amdhsa_round_robin_scheduling 0
		.amdhsa_exception_fp_ieee_invalid_op 0
		.amdhsa_exception_fp_denorm_src 0
		.amdhsa_exception_fp_ieee_div_zero 0
		.amdhsa_exception_fp_ieee_overflow 0
		.amdhsa_exception_fp_ieee_underflow 0
		.amdhsa_exception_fp_ieee_inexact 0
		.amdhsa_exception_int_div_zero 0
	.end_amdhsa_kernel
	.section	.text._ZL30rocblas_trmm_outofplace_kernelIdLi32ELi2ELb1ELb0ELb0ELb0EdKddEv17rocblas_diagonal_iiT6_lPT7_lllS4_lllPT8_llli,"axG",@progbits,_ZL30rocblas_trmm_outofplace_kernelIdLi32ELi2ELb1ELb0ELb0ELb0EdKddEv17rocblas_diagonal_iiT6_lPT7_lllS4_lllPT8_llli,comdat
.Lfunc_end37:
	.size	_ZL30rocblas_trmm_outofplace_kernelIdLi32ELi2ELb1ELb0ELb0ELb0EdKddEv17rocblas_diagonal_iiT6_lPT7_lllS4_lllPT8_llli, .Lfunc_end37-_ZL30rocblas_trmm_outofplace_kernelIdLi32ELi2ELb1ELb0ELb0ELb0EdKddEv17rocblas_diagonal_iiT6_lPT7_lllS4_lllPT8_llli
                                        ; -- End function
	.set _ZL30rocblas_trmm_outofplace_kernelIdLi32ELi2ELb1ELb0ELb0ELb0EdKddEv17rocblas_diagonal_iiT6_lPT7_lllS4_lllPT8_llli.num_vgpr, 82
	.set _ZL30rocblas_trmm_outofplace_kernelIdLi32ELi2ELb1ELb0ELb0ELb0EdKddEv17rocblas_diagonal_iiT6_lPT7_lllS4_lllPT8_llli.num_agpr, 0
	.set _ZL30rocblas_trmm_outofplace_kernelIdLi32ELi2ELb1ELb0ELb0ELb0EdKddEv17rocblas_diagonal_iiT6_lPT7_lllS4_lllPT8_llli.numbered_sgpr, 55
	.set _ZL30rocblas_trmm_outofplace_kernelIdLi32ELi2ELb1ELb0ELb0ELb0EdKddEv17rocblas_diagonal_iiT6_lPT7_lllS4_lllPT8_llli.num_named_barrier, 0
	.set _ZL30rocblas_trmm_outofplace_kernelIdLi32ELi2ELb1ELb0ELb0ELb0EdKddEv17rocblas_diagonal_iiT6_lPT7_lllS4_lllPT8_llli.private_seg_size, 0
	.set _ZL30rocblas_trmm_outofplace_kernelIdLi32ELi2ELb1ELb0ELb0ELb0EdKddEv17rocblas_diagonal_iiT6_lPT7_lllS4_lllPT8_llli.uses_vcc, 1
	.set _ZL30rocblas_trmm_outofplace_kernelIdLi32ELi2ELb1ELb0ELb0ELb0EdKddEv17rocblas_diagonal_iiT6_lPT7_lllS4_lllPT8_llli.uses_flat_scratch, 0
	.set _ZL30rocblas_trmm_outofplace_kernelIdLi32ELi2ELb1ELb0ELb0ELb0EdKddEv17rocblas_diagonal_iiT6_lPT7_lllS4_lllPT8_llli.has_dyn_sized_stack, 0
	.set _ZL30rocblas_trmm_outofplace_kernelIdLi32ELi2ELb1ELb0ELb0ELb0EdKddEv17rocblas_diagonal_iiT6_lPT7_lllS4_lllPT8_llli.has_recursion, 0
	.set _ZL30rocblas_trmm_outofplace_kernelIdLi32ELi2ELb1ELb0ELb0ELb0EdKddEv17rocblas_diagonal_iiT6_lPT7_lllS4_lllPT8_llli.has_indirect_call, 0
	.section	.AMDGPU.csdata,"",@progbits
; Kernel info:
; codeLenInByte = 3220
; TotalNumSgprs: 57
; NumVgprs: 82
; ScratchSize: 0
; MemoryBound: 0
; FloatMode: 240
; IeeeMode: 1
; LDSByteSize: 16384 bytes/workgroup (compile time only)
; SGPRBlocks: 0
; VGPRBlocks: 5
; NumSGPRsForWavesPerEU: 57
; NumVGPRsForWavesPerEU: 82
; NamedBarCnt: 0
; Occupancy: 10
; WaveLimiterHint : 0
; COMPUTE_PGM_RSRC2:SCRATCH_EN: 0
; COMPUTE_PGM_RSRC2:USER_SGPR: 2
; COMPUTE_PGM_RSRC2:TRAP_HANDLER: 0
; COMPUTE_PGM_RSRC2:TGID_X_EN: 1
; COMPUTE_PGM_RSRC2:TGID_Y_EN: 1
; COMPUTE_PGM_RSRC2:TGID_Z_EN: 1
; COMPUTE_PGM_RSRC2:TIDIG_COMP_CNT: 1
	.section	.text._ZL30rocblas_trmm_outofplace_kernelIdLi32ELi2ELb1ELb1ELb0ELb0EPKdS0_dEv17rocblas_diagonal_iiT6_lPT7_lllS5_lllPT8_llli,"axG",@progbits,_ZL30rocblas_trmm_outofplace_kernelIdLi32ELi2ELb1ELb1ELb0ELb0EPKdS0_dEv17rocblas_diagonal_iiT6_lPT7_lllS5_lllPT8_llli,comdat
	.globl	_ZL30rocblas_trmm_outofplace_kernelIdLi32ELi2ELb1ELb1ELb0ELb0EPKdS0_dEv17rocblas_diagonal_iiT6_lPT7_lllS5_lllPT8_llli ; -- Begin function _ZL30rocblas_trmm_outofplace_kernelIdLi32ELi2ELb1ELb1ELb0ELb0EPKdS0_dEv17rocblas_diagonal_iiT6_lPT7_lllS5_lllPT8_llli
	.p2align	8
	.type	_ZL30rocblas_trmm_outofplace_kernelIdLi32ELi2ELb1ELb1ELb0ELb0EPKdS0_dEv17rocblas_diagonal_iiT6_lPT7_lllS5_lllPT8_llli,@function
_ZL30rocblas_trmm_outofplace_kernelIdLi32ELi2ELb1ELb1ELb0ELb0EPKdS0_dEv17rocblas_diagonal_iiT6_lPT7_lllS5_lllPT8_llli: ; @_ZL30rocblas_trmm_outofplace_kernelIdLi32ELi2ELb1ELb1ELb0ELb0EPKdS0_dEv17rocblas_diagonal_iiT6_lPT7_lllS5_lllPT8_llli
; %bb.0:
	s_load_b32 s11, s[0:1], 0x80
	s_bfe_u32 s2, ttmp6, 0x40014
	s_lshr_b32 s3, ttmp7, 16
	s_add_co_i32 s2, s2, 1
	s_bfe_u32 s5, ttmp6, 0x40008
	s_mul_i32 s4, s3, s2
	s_getreg_b32 s2, hwreg(HW_REG_IB_STS2, 6, 4)
	s_add_co_i32 s5, s5, s4
	s_cmp_eq_u32 s2, 0
	s_mov_b32 s35, 0
	s_cselect_b32 s34, s3, s5
	s_wait_kmcnt 0x0
	s_cmp_ge_u32 s34, s11
	s_cbranch_scc1 .LBB38_56
; %bb.1:
	s_clause 0x3
	s_load_b96 s[8:10], s[0:1], 0x0
	s_load_b512 s[12:27], s[0:1], 0x10
	s_load_b128 s[28:31], s[0:1], 0x70
	s_load_b256 s[36:43], s[0:1], 0x50
	s_bfe_u32 s4, ttmp6, 0x4000c
	s_bfe_u32 s6, ttmp6, 0x40010
	s_and_b32 s5, ttmp7, 0xffff
	s_add_nc_u64 s[44:45], s[0:1], 0x88
	s_add_co_i32 s4, s4, 1
	s_add_co_i32 s6, s6, 1
	s_and_b32 s3, ttmp6, 15
	s_wait_xcnt 0x0
	s_mul_i32 s0, ttmp9, s4
	s_mul_i32 s4, s5, s6
	s_bfe_u32 s7, ttmp6, 0x40004
	s_add_co_i32 s3, s3, s0
	s_add_co_i32 s7, s7, s4
	v_bfe_u32 v58, v0, 10, 10
	v_and_b32_e32 v1, 0x3ff, v0
	v_mov_b32_e32 v0, 0
	v_mov_b64_e32 v[2:3], 0
	s_wait_kmcnt 0x0
	s_add_co_i32 s1, s10, -1
	v_lshlrev_b32_e32 v7, 8, v58
	s_ashr_i32 s6, s1, 31
	v_mov_b64_e32 v[4:5], 1.0
	s_lshr_b32 s0, s6, 27
	s_delay_alu instid0(VALU_DEP_2)
	v_add_nc_u32_e32 v60, 0x2000, v7
	s_add_co_i32 s4, s1, s0
	s_lshl_b64 s[0:1], s[42:43], 3
	s_ashr_i32 s33, s4, 5
	s_cmp_eq_u32 s2, 0
	s_add_nc_u64 s[40:41], s[40:41], s[0:1]
	s_cselect_b32 s52, s5, s7
	s_cselect_b32 s2, ttmp9, s3
	s_cmp_le_i32 s52, s33
	s_cselect_b32 s53, -1, 0
	s_lshl_b32 s6, s2, 5
	s_delay_alu instid0(SALU_CYCLE_1) | instskip(SKIP_3) | instid1(VALU_DEP_2)
	v_dual_lshlrev_b32 v59, 3, v1 :: v_dual_add_nc_u32 v6, s6, v58
	s_sub_co_i32 s54, s9, s6
	v_add_nc_u32_e32 v8, s6, v1
	s_cmp_gt_i32 s54, 0
	v_dual_add_nc_u32 v61, v59, v7 :: v_dual_ashrrev_i32 v7, 31, v6
	s_cselect_b32 s55, -1, 0
	s_cmp_eq_u32 s8, 0x84
	v_add_nc_u32_e32 v63, v60, v59
	s_cselect_b32 s56, -1, 0
	v_lshl_add_u64 v[20:21], v[6:7], 3, 0x80
	v_mul_u64_e32 v[24:25], s[20:21], v[6:7]
	s_lshl_b64 s[2:3], s[18:19], 3
	v_dual_ashrrev_i32 v9, 31, v8 :: v_dual_add_nc_u32 v12, 16, v8
	s_add_nc_u64 s[4:5], s[16:17], s[2:3]
	s_mov_b32 s18, s9
	v_mad_nc_u64_u32 v[10:11], s20, v20, s[4:5]
	s_delay_alu instid0(VALU_DEP_2)
	v_add_nc_u64_e32 v[14:15], 16, v[8:9]
	v_sub_nc_u64_e32 v[16:17], v[8:9], v[6:7]
	s_ashr_i32 s19, s9, 31
	s_lshl_b64 s[2:3], s[26:27], 3
	v_lshlrev_b64_e32 v[18:19], 3, v[8:9]
	s_add_nc_u64 s[6:7], s[24:25], s[2:3]
	v_add_nc_u32_e32 v62, 0x800, v59
	v_cmp_le_i64_e64 s3, s[18:19], v[14:15]
	v_add_nc_u64_e32 v[22:23], -16, v[16:17]
	v_cmp_le_i32_e64 s0, s9, v8
	v_mad_u32 v1, s21, v20, v11
	v_cmp_gt_i32_e64 s1, s9, v8
	v_cmp_gt_i32_e64 s2, s9, v12
	v_ashrrev_i32_e32 v13, 31, v12
	v_add_nc_u32_e32 v64, 0x1000, v59
	v_add_nc_u32_e32 v65, 0x1800, v59
	s_mov_b32 s16, s10
	s_ashr_i32 s17, s10, 31
	s_lshl_b64 s[42:43], s[20:21], 8
	s_add_nc_u64 s[26:27], s[18:19], -16
	s_add_nc_u64 s[24:25], s[6:7], 0x80
	v_mad_u32 v11, s20, v21, v1
	v_add_nc_u64_e32 v[20:21], 16, v[16:17]
	s_lshl_b64 s[20:21], s[38:39], 3
	s_lshl_b64 s[38:39], s[36:37], 3
	v_lshl_add_u64 v[24:25], v[24:25], 3, s[4:5]
	s_lshl_b64 s[22:23], s[22:23], 3
	s_branch .LBB38_4
.LBB38_2:                               ;   in Loop: Header=BB38_4 Depth=1
	s_add_co_i32 s34, s34, 0x10000
	s_delay_alu instid0(SALU_CYCLE_1)
	s_cmp_ge_u32 s34, s11
	s_cselect_b32 s4, -1, 0
.LBB38_3:                               ;   in Loop: Header=BB38_4 Depth=1
	s_delay_alu instid0(SALU_CYCLE_1)
	s_and_b32 vcc_lo, exec_lo, s4
	s_cbranch_vccnz .LBB38_56
.LBB38_4:                               ; =>This Loop Header: Depth=1
                                        ;     Child Loop BB38_8 Depth 2
                                        ;       Child Loop BB38_11 Depth 3
	s_mul_u64 s[4:5], s[14:15], s[34:35]
	s_delay_alu instid0(SALU_CYCLE_1) | instskip(NEXT) | instid1(SALU_CYCLE_1)
	s_lshl_b64 s[4:5], s[4:5], 3
	s_add_nc_u64 s[4:5], s[12:13], s[4:5]
	global_load_b64 v[26:27], v0, s[4:5]
	s_wait_xcnt 0x0
	s_mov_b32 s4, -1
	s_wait_loadcnt 0x0
	v_cmp_eq_f64_e32 vcc_lo, 0, v[26:27]
	s_cbranch_vccnz .LBB38_3
; %bb.5:                                ;   in Loop: Header=BB38_4 Depth=1
	s_and_not1_b32 vcc_lo, exec_lo, s53
	s_cbranch_vccnz .LBB38_2
; %bb.6:                                ;   in Loop: Header=BB38_4 Depth=1
	s_load_b32 s9, s[44:45], 0x4
	v_mad_nc_u64_u32 v[28:29], s22, s34, v[10:11]
	v_mad_nc_u64_u32 v[30:31], s22, s34, v[24:25]
	s_mul_i32 s8, s23, s34
	s_mul_u64 s[6:7], s[30:31], s[34:35]
	v_lshl_add_u32 v32, s52, 5, v58
	s_mul_u64 s[4:5], s[20:21], s[34:35]
	s_lshl_b64 s[6:7], s[6:7], 3
	s_add_nc_u64 s[46:47], s[24:25], s[4:5]
	s_add_nc_u64 s[48:49], s[40:41], s[6:7]
	s_mov_b32 s58, s52
	s_delay_alu instid0(VALU_DEP_2)
	v_dual_add_nc_u32 v29, s8, v29 :: v_dual_add_nc_u32 v31, s8, v31
	s_wait_kmcnt 0x0
	s_lshl_b32 s57, s9, 5
	s_branch .LBB38_8
.LBB38_7:                               ;   in Loop: Header=BB38_8 Depth=2
	s_wait_xcnt 0x0
	s_or_b32 exec_lo, exec_lo, s4
	v_add_nc_u32_e32 v32, s57, v32
	s_add_co_i32 s58, s9, s58
	s_delay_alu instid0(SALU_CYCLE_1)
	s_cmp_gt_i32 s58, s33
	s_cbranch_scc1 .LBB38_2
.LBB38_8:                               ;   Parent Loop BB38_4 Depth=1
                                        ; =>  This Loop Header: Depth=2
                                        ;       Child Loop BB38_11 Depth 3
	v_lshl_add_u32 v34, s58, 5, v58
	s_and_not1_b32 vcc_lo, exec_lo, s55
	s_delay_alu instid0(VALU_DEP_1)
	v_ashrrev_i32_e32 v35, 31, v34
	s_cbranch_vccnz .LBB38_47
; %bb.9:                                ;   in Loop: Header=BB38_8 Depth=2
	v_ashrrev_i32_e32 v33, 31, v32
	v_mad_nc_u64_u32 v[44:45], s38, v32, s[46:47]
	s_delay_alu instid0(VALU_DEP_3)
	v_sub_nc_u64_e32 v[38:39], s[16:17], v[34:35]
	v_mov_b64_e32 v[40:41], 0
	v_mov_b64_e32 v[42:43], 0
	v_lshl_add_u64 v[36:37], v[32:33], 3, 0x80
	v_mov_b64_e32 v[48:49], v[30:31]
	v_mov_b64_e32 v[50:51], v[28:29]
	s_mov_b64 s[50:51], 0
	v_cmp_lt_i64_e32 vcc_lo, 0, v[38:39]
	v_mad_nc_u64_u32 v[46:47], s36, v36, s[46:47]
	v_cmp_lt_i64_e64 s4, 16, v[38:39]
	v_mad_u32 v1, s39, v32, v45
	v_mov_b64_e32 v[38:39], 0
	s_delay_alu instid0(VALU_DEP_4) | instskip(NEXT) | instid1(VALU_DEP_3)
	v_mad_u32 v36, s37, v36, v47
	v_mad_u32 v45, s38, v33, v1
	s_delay_alu instid0(VALU_DEP_2)
	v_mad_u32 v47, s36, v37, v36
	v_mov_b64_e32 v[36:37], 0
	s_branch .LBB38_11
.LBB38_10:                              ;   in Loop: Header=BB38_11 Depth=3
	s_wait_xcnt 0x0
	s_or_b32 exec_lo, exec_lo, s5
	s_wait_dscnt 0x0
	s_barrier_signal -1
	s_barrier_wait -1
	ds_load_b128 v[52:55], v60
	ds_load_2addr_b64 v[66:69], v59 offset1:16
	ds_load_b128 v[70:73], v60 offset:4096
	ds_load_b128 v[74:77], v60 offset:16
	;; [unrolled: 1-line block ×3, first 2 shown]
	v_add_nc_u64_e32 v[44:45], 0x100, v[44:45]
	v_add_nc_u64_e32 v[50:51], s[42:43], v[50:51]
	;; [unrolled: 1-line block ×4, first 2 shown]
	s_add_nc_u64 s[50:51], s[50:51], 32
	s_delay_alu instid0(SALU_CYCLE_1)
	s_cmp_ge_i32 s50, s54
	s_wait_dscnt 0x3
	v_fmac_f64_e32 v[42:43], v[66:67], v[52:53]
	v_fmac_f64_e32 v[40:41], v[68:69], v[52:53]
	s_wait_dscnt 0x2
	v_fmac_f64_e32 v[38:39], v[66:67], v[70:71]
	v_fmac_f64_e32 v[36:37], v[68:69], v[70:71]
	ds_load_2addr_b64 v[66:69], v59 offset0:32 offset1:48
	s_wait_dscnt 0x0
	v_fmac_f64_e32 v[42:43], v[66:67], v[54:55]
	v_fmac_f64_e32 v[40:41], v[68:69], v[54:55]
	v_fmac_f64_e32 v[38:39], v[66:67], v[72:73]
	v_fmac_f64_e32 v[36:37], v[68:69], v[72:73]
	ds_load_2addr_b64 v[52:55], v59 offset0:64 offset1:80
	s_wait_dscnt 0x0
	v_fmac_f64_e32 v[42:43], v[52:53], v[74:75]
	v_fmac_f64_e32 v[40:41], v[54:55], v[74:75]
	v_fmac_f64_e32 v[38:39], v[52:53], v[78:79]
	v_fmac_f64_e32 v[36:37], v[54:55], v[78:79]
	ds_load_2addr_b64 v[52:55], v59 offset0:96 offset1:112
	s_wait_dscnt 0x0
	v_fmac_f64_e32 v[42:43], v[52:53], v[76:77]
	v_fmac_f64_e32 v[40:41], v[54:55], v[76:77]
	v_fmac_f64_e32 v[38:39], v[52:53], v[80:81]
	v_fmac_f64_e32 v[36:37], v[54:55], v[80:81]
	ds_load_b128 v[52:55], v60 offset:32
	ds_load_2addr_b64 v[66:69], v59 offset0:128 offset1:144
	ds_load_b128 v[70:73], v60 offset:4128
	ds_load_b128 v[74:77], v60 offset:48
	ds_load_b128 v[78:81], v60 offset:4144
	s_wait_dscnt 0x3
	v_fmac_f64_e32 v[42:43], v[66:67], v[52:53]
	v_fmac_f64_e32 v[40:41], v[68:69], v[52:53]
	s_wait_dscnt 0x2
	v_fmac_f64_e32 v[38:39], v[66:67], v[70:71]
	v_fmac_f64_e32 v[36:37], v[68:69], v[70:71]
	ds_load_2addr_b64 v[66:69], v59 offset0:160 offset1:176
	s_wait_dscnt 0x0
	v_fmac_f64_e32 v[42:43], v[66:67], v[54:55]
	v_fmac_f64_e32 v[40:41], v[68:69], v[54:55]
	v_fmac_f64_e32 v[38:39], v[66:67], v[72:73]
	v_fmac_f64_e32 v[36:37], v[68:69], v[72:73]
	ds_load_2addr_b64 v[52:55], v59 offset0:192 offset1:208
	s_wait_dscnt 0x0
	v_fmac_f64_e32 v[42:43], v[52:53], v[74:75]
	v_fmac_f64_e32 v[40:41], v[54:55], v[74:75]
	v_fmac_f64_e32 v[38:39], v[52:53], v[78:79]
	v_fmac_f64_e32 v[36:37], v[54:55], v[78:79]
	ds_load_2addr_b64 v[52:55], v59 offset0:224 offset1:240
	s_wait_dscnt 0x0
	v_fmac_f64_e32 v[42:43], v[52:53], v[76:77]
	v_fmac_f64_e32 v[40:41], v[54:55], v[76:77]
	v_fmac_f64_e32 v[38:39], v[52:53], v[80:81]
	v_fmac_f64_e32 v[36:37], v[54:55], v[80:81]
	ds_load_b128 v[52:55], v60 offset:64
	ds_load_2addr_b64 v[66:69], v62 offset1:16
	ds_load_b128 v[70:73], v60 offset:4160
	ds_load_b128 v[74:77], v60 offset:80
	ds_load_b128 v[78:81], v60 offset:4176
	s_wait_dscnt 0x3
	v_fmac_f64_e32 v[42:43], v[66:67], v[52:53]
	v_fmac_f64_e32 v[40:41], v[68:69], v[52:53]
	s_wait_dscnt 0x2
	v_fmac_f64_e32 v[38:39], v[66:67], v[70:71]
	v_fmac_f64_e32 v[36:37], v[68:69], v[70:71]
	ds_load_2addr_b64 v[66:69], v62 offset0:32 offset1:48
	s_wait_dscnt 0x0
	v_fmac_f64_e32 v[42:43], v[66:67], v[54:55]
	v_fmac_f64_e32 v[40:41], v[68:69], v[54:55]
	v_fmac_f64_e32 v[38:39], v[66:67], v[72:73]
	v_fmac_f64_e32 v[36:37], v[68:69], v[72:73]
	ds_load_2addr_b64 v[52:55], v62 offset0:64 offset1:80
	s_wait_dscnt 0x0
	v_fmac_f64_e32 v[42:43], v[52:53], v[74:75]
	v_fmac_f64_e32 v[40:41], v[54:55], v[74:75]
	v_fmac_f64_e32 v[38:39], v[52:53], v[78:79]
	v_fmac_f64_e32 v[36:37], v[54:55], v[78:79]
	ds_load_2addr_b64 v[52:55], v62 offset0:96 offset1:112
	s_wait_dscnt 0x0
	v_fmac_f64_e32 v[42:43], v[52:53], v[76:77]
	v_fmac_f64_e32 v[40:41], v[54:55], v[76:77]
	v_fmac_f64_e32 v[38:39], v[52:53], v[80:81]
	v_fmac_f64_e32 v[36:37], v[54:55], v[80:81]
	ds_load_b128 v[52:55], v60 offset:96
	ds_load_2addr_b64 v[66:69], v62 offset0:128 offset1:144
	ds_load_b128 v[70:73], v60 offset:4192
	ds_load_b128 v[74:77], v60 offset:112
	ds_load_b128 v[78:81], v60 offset:4208
	s_wait_dscnt 0x3
	v_fmac_f64_e32 v[42:43], v[66:67], v[52:53]
	v_fmac_f64_e32 v[40:41], v[68:69], v[52:53]
	s_wait_dscnt 0x2
	v_fmac_f64_e32 v[38:39], v[66:67], v[70:71]
	v_fmac_f64_e32 v[36:37], v[68:69], v[70:71]
	ds_load_2addr_b64 v[66:69], v62 offset0:160 offset1:176
	s_wait_dscnt 0x0
	v_fmac_f64_e32 v[42:43], v[66:67], v[54:55]
	v_fmac_f64_e32 v[40:41], v[68:69], v[54:55]
	v_fmac_f64_e32 v[38:39], v[66:67], v[72:73]
	v_fmac_f64_e32 v[36:37], v[68:69], v[72:73]
	ds_load_2addr_b64 v[52:55], v62 offset0:192 offset1:208
	s_wait_dscnt 0x0
	v_fmac_f64_e32 v[42:43], v[52:53], v[74:75]
	v_fmac_f64_e32 v[40:41], v[54:55], v[74:75]
	v_fmac_f64_e32 v[38:39], v[52:53], v[78:79]
	v_fmac_f64_e32 v[36:37], v[54:55], v[78:79]
	ds_load_2addr_b64 v[52:55], v62 offset0:224 offset1:240
	s_wait_dscnt 0x0
	v_fmac_f64_e32 v[42:43], v[52:53], v[76:77]
	v_fmac_f64_e32 v[40:41], v[54:55], v[76:77]
	v_fmac_f64_e32 v[38:39], v[52:53], v[80:81]
	v_fmac_f64_e32 v[36:37], v[54:55], v[80:81]
	ds_load_b128 v[52:55], v60 offset:128
	ds_load_2addr_b64 v[66:69], v64 offset1:16
	ds_load_b128 v[70:73], v60 offset:4224
	ds_load_b128 v[74:77], v60 offset:144
	ds_load_b128 v[78:81], v60 offset:4240
	;; [unrolled: 58-line block ×3, first 2 shown]
	s_wait_dscnt 0x3
	v_fmac_f64_e32 v[42:43], v[66:67], v[52:53]
	v_fmac_f64_e32 v[40:41], v[68:69], v[52:53]
	s_wait_dscnt 0x2
	v_fmac_f64_e32 v[38:39], v[66:67], v[70:71]
	v_fmac_f64_e32 v[36:37], v[68:69], v[70:71]
	ds_load_2addr_b64 v[66:69], v65 offset0:32 offset1:48
	s_wait_dscnt 0x0
	v_fmac_f64_e32 v[42:43], v[66:67], v[54:55]
	v_fmac_f64_e32 v[40:41], v[68:69], v[54:55]
	v_fmac_f64_e32 v[38:39], v[66:67], v[72:73]
	v_fmac_f64_e32 v[36:37], v[68:69], v[72:73]
	ds_load_2addr_b64 v[52:55], v65 offset0:64 offset1:80
	s_wait_dscnt 0x0
	v_fmac_f64_e32 v[42:43], v[52:53], v[74:75]
	v_fmac_f64_e32 v[40:41], v[54:55], v[74:75]
	v_fmac_f64_e32 v[38:39], v[52:53], v[78:79]
	v_fmac_f64_e32 v[36:37], v[54:55], v[78:79]
	ds_load_2addr_b64 v[52:55], v65 offset0:96 offset1:112
	s_wait_dscnt 0x0
	v_fmac_f64_e32 v[42:43], v[52:53], v[76:77]
	v_fmac_f64_e32 v[40:41], v[54:55], v[76:77]
	v_fmac_f64_e32 v[38:39], v[52:53], v[80:81]
	v_fmac_f64_e32 v[36:37], v[54:55], v[80:81]
	ds_load_b128 v[52:55], v60 offset:224
	ds_load_2addr_b64 v[66:69], v65 offset0:128 offset1:144
	ds_load_b128 v[70:73], v60 offset:4320
	ds_load_b128 v[74:77], v60 offset:240
	;; [unrolled: 1-line block ×3, first 2 shown]
	s_wait_dscnt 0x3
	v_fmac_f64_e32 v[42:43], v[66:67], v[52:53]
	v_fmac_f64_e32 v[40:41], v[68:69], v[52:53]
	s_wait_dscnt 0x2
	v_fmac_f64_e32 v[38:39], v[66:67], v[70:71]
	v_fmac_f64_e32 v[36:37], v[68:69], v[70:71]
	ds_load_2addr_b64 v[66:69], v65 offset0:160 offset1:176
	s_wait_dscnt 0x0
	v_fmac_f64_e32 v[42:43], v[66:67], v[54:55]
	v_fmac_f64_e32 v[40:41], v[68:69], v[54:55]
	;; [unrolled: 1-line block ×4, first 2 shown]
	ds_load_2addr_b64 v[52:55], v65 offset0:192 offset1:208
	s_wait_dscnt 0x0
	v_fmac_f64_e32 v[42:43], v[52:53], v[74:75]
	v_fmac_f64_e32 v[40:41], v[54:55], v[74:75]
	;; [unrolled: 1-line block ×4, first 2 shown]
	ds_load_2addr_b64 v[52:55], v65 offset0:224 offset1:240
	s_wait_dscnt 0x0
	s_barrier_signal -1
	s_barrier_wait -1
	v_fmac_f64_e32 v[42:43], v[52:53], v[76:77]
	v_fmac_f64_e32 v[40:41], v[54:55], v[76:77]
	;; [unrolled: 1-line block ×4, first 2 shown]
	s_cbranch_scc1 .LBB38_48
.LBB38_11:                              ;   Parent Loop BB38_4 Depth=1
                                        ;     Parent Loop BB38_8 Depth=2
                                        ; =>    This Inner Loop Header: Depth=3
	v_add_nc_u64_e32 v[52:53], s[50:51], v[6:7]
	v_cmp_eq_u64_e64 s7, s[50:51], v[16:17]
	v_add_nc_u64_e32 v[54:55], v[48:49], v[18:19]
                                        ; implicit-def: $vgpr56_vgpr57
	s_delay_alu instid0(VALU_DEP_3) | instskip(SKIP_3) | instid1(SALU_CYCLE_1)
	v_cmp_le_i64_e64 s6, s[18:19], v[52:53]
	v_cmp_lt_i64_e64 s5, v[52:53], v[8:9]
	s_and_b32 s59, s56, s7
	s_or_b32 s7, s6, s5
	s_or_b32 s7, s7, s59
	s_delay_alu instid0(SALU_CYCLE_1) | instskip(NEXT) | instid1(SALU_CYCLE_1)
	s_nor_b32 s7, s0, s7
	s_and_saveexec_b32 s8, s7
	s_delay_alu instid0(SALU_CYCLE_1)
	s_xor_b32 s7, exec_lo, s8
	s_cbranch_execz .LBB38_13
; %bb.12:                               ;   in Loop: Header=BB38_11 Depth=3
	global_load_b64 v[56:57], v[54:55], off
.LBB38_13:                              ;   in Loop: Header=BB38_11 Depth=3
	s_wait_xcnt 0x0
	s_and_not1_saveexec_b32 s7, s7
	s_cbranch_execz .LBB38_15
; %bb.14:                               ;   in Loop: Header=BB38_11 Depth=3
	v_cndmask_b32_e64 v1, 0, 0x3ff00000, s59
	s_wait_loadcnt 0x0
	s_delay_alu instid0(VALU_DEP_1)
	v_mov_b64_e32 v[56:57], v[0:1]
.LBB38_15:                              ;   in Loop: Header=BB38_11 Depth=3
	s_or_b32 exec_lo, exec_lo, s7
	v_cmp_eq_u64_e64 s7, s[50:51], v[20:21]
	v_cmp_gt_i64_e64 s8, v[14:15], v[52:53]
	s_wait_loadcnt 0x0
	ds_store_b64 v61, v[56:57]
	s_and_b32 s7, s56, s7
	s_or_b32 s6, s6, s8
	s_delay_alu instid0(SALU_CYCLE_1) | instskip(NEXT) | instid1(SALU_CYCLE_1)
	s_or_b32 s6, s6, s7
	s_nor_b32 s6, s3, s6
	s_delay_alu instid0(SALU_CYCLE_1) | instskip(NEXT) | instid1(SALU_CYCLE_1)
	s_and_saveexec_b32 s8, s6
	s_xor_b32 s6, exec_lo, s8
	s_cbranch_execz .LBB38_17
; %bb.16:                               ;   in Loop: Header=BB38_11 Depth=3
	global_load_b64 v[54:55], v[54:55], off offset:128
	s_wait_loadcnt 0x0
	ds_store_b64 v61, v[54:55] offset:128
.LBB38_17:                              ;   in Loop: Header=BB38_11 Depth=3
	s_wait_xcnt 0x0
	s_and_not1_saveexec_b32 s6, s6
	s_cbranch_execz .LBB38_23
; %bb.18:                               ;   in Loop: Header=BB38_11 Depth=3
	s_xor_b32 s7, s7, -1
	s_delay_alu instid0(SALU_CYCLE_1) | instskip(NEXT) | instid1(SALU_CYCLE_1)
	s_and_saveexec_b32 s8, s7
	s_xor_b32 s7, exec_lo, s8
; %bb.19:                               ;   in Loop: Header=BB38_11 Depth=3
	ds_store_b64 v61, v[2:3] offset:128
; %bb.20:                               ;   in Loop: Header=BB38_11 Depth=3
	s_and_not1_saveexec_b32 s7, s7
; %bb.21:                               ;   in Loop: Header=BB38_11 Depth=3
	ds_store_b64 v61, v[4:5] offset:128
; %bb.22:                               ;   in Loop: Header=BB38_11 Depth=3
	s_or_b32 exec_lo, exec_lo, s7
.LBB38_23:                              ;   in Loop: Header=BB38_11 Depth=3
	s_delay_alu instid0(SALU_CYCLE_1) | instskip(SKIP_2) | instid1(VALU_DEP_2)
	s_or_b32 exec_lo, exec_lo, s6
	v_add_nc_u64_e32 v[52:53], 16, v[52:53]
	v_cmp_eq_u64_e64 s7, s[50:51], v[22:23]
                                        ; implicit-def: $vgpr54_vgpr55
	v_cmp_le_i64_e64 s6, s[18:19], v[52:53]
	v_cmp_lt_i64_e64 s8, v[52:53], v[8:9]
	v_add_nc_u64_e32 v[52:53], v[50:51], v[18:19]
	s_and_b32 s7, s56, s7
	s_or_b32 s8, s6, s8
	s_delay_alu instid0(SALU_CYCLE_1) | instskip(NEXT) | instid1(SALU_CYCLE_1)
	s_or_b32 s8, s8, s7
	s_nor_b32 s8, s0, s8
	s_delay_alu instid0(SALU_CYCLE_1) | instskip(NEXT) | instid1(SALU_CYCLE_1)
	s_and_saveexec_b32 s60, s8
	s_xor_b32 s8, exec_lo, s60
	s_cbranch_execz .LBB38_25
; %bb.24:                               ;   in Loop: Header=BB38_11 Depth=3
	global_load_b64 v[54:55], v[52:53], off
.LBB38_25:                              ;   in Loop: Header=BB38_11 Depth=3
	s_wait_xcnt 0x0
	s_and_not1_saveexec_b32 s8, s8
	s_cbranch_execz .LBB38_27
; %bb.26:                               ;   in Loop: Header=BB38_11 Depth=3
	v_cndmask_b32_e64 v1, 0, 0x3ff00000, s7
	s_wait_loadcnt 0x0
	s_delay_alu instid0(VALU_DEP_1)
	v_mov_b64_e32 v[54:55], v[0:1]
.LBB38_27:                              ;   in Loop: Header=BB38_11 Depth=3
	s_or_b32 exec_lo, exec_lo, s8
	s_or_b32 s5, s6, s5
	s_wait_loadcnt 0x0
	ds_store_b64 v61, v[54:55] offset:4096
	s_or_b32 s5, s5, s59
	s_delay_alu instid0(SALU_CYCLE_1) | instskip(NEXT) | instid1(SALU_CYCLE_1)
	s_nor_b32 s5, s3, s5
	s_and_saveexec_b32 s6, s5
	s_delay_alu instid0(SALU_CYCLE_1)
	s_xor_b32 s5, exec_lo, s6
	s_cbranch_execz .LBB38_29
; %bb.28:                               ;   in Loop: Header=BB38_11 Depth=3
	global_load_b64 v[52:53], v[52:53], off offset:128
	s_wait_loadcnt 0x0
	ds_store_b64 v61, v[52:53] offset:4224
.LBB38_29:                              ;   in Loop: Header=BB38_11 Depth=3
	s_wait_xcnt 0x0
	s_and_not1_saveexec_b32 s5, s5
	s_cbranch_execz .LBB38_35
; %bb.30:                               ;   in Loop: Header=BB38_11 Depth=3
	s_xor_b32 s6, s59, -1
	s_delay_alu instid0(SALU_CYCLE_1) | instskip(NEXT) | instid1(SALU_CYCLE_1)
	s_and_saveexec_b32 s7, s6
	s_xor_b32 s6, exec_lo, s7
; %bb.31:                               ;   in Loop: Header=BB38_11 Depth=3
	ds_store_b64 v61, v[2:3] offset:4224
; %bb.32:                               ;   in Loop: Header=BB38_11 Depth=3
	s_and_not1_saveexec_b32 s6, s6
; %bb.33:                               ;   in Loop: Header=BB38_11 Depth=3
	ds_store_b64 v61, v[4:5] offset:4224
; %bb.34:                               ;   in Loop: Header=BB38_11 Depth=3
	s_or_b32 exec_lo, exec_lo, s6
.LBB38_35:                              ;   in Loop: Header=BB38_11 Depth=3
	s_delay_alu instid0(SALU_CYCLE_1) | instskip(SKIP_3) | instid1(VALU_DEP_3)
	s_or_b32 exec_lo, exec_lo, s5
	v_add_nc_u64_e32 v[54:55], s[50:51], v[8:9]
	v_add_nc_u64_e32 v[52:53], v[44:45], v[18:19]
	v_mov_b64_e32 v[56:57], 0
	v_cmp_gt_i64_e64 s5, s[18:19], v[54:55]
	s_and_b32 s7, vcc_lo, s5
	s_delay_alu instid0(SALU_CYCLE_1)
	s_and_saveexec_b32 s6, s7
	s_cbranch_execz .LBB38_37
; %bb.36:                               ;   in Loop: Header=BB38_11 Depth=3
	global_load_b64 v[56:57], v[52:53], off offset:-128
.LBB38_37:                              ;   in Loop: Header=BB38_11 Depth=3
	s_wait_xcnt 0x0
	s_or_b32 exec_lo, exec_lo, s6
	v_cmp_gt_i64_e64 s6, s[26:27], v[54:55]
	s_wait_loadcnt 0x0
	ds_store_b64 v63, v[56:57]
	s_and_b32 s7, vcc_lo, s6
	s_delay_alu instid0(SALU_CYCLE_1) | instskip(NEXT) | instid1(SALU_CYCLE_1)
	s_xor_b32 s7, s7, -1
	s_and_saveexec_b32 s8, s7
	s_delay_alu instid0(SALU_CYCLE_1)
	s_xor_b32 s7, exec_lo, s8
; %bb.38:                               ;   in Loop: Header=BB38_11 Depth=3
	ds_store_b64 v63, v[2:3] offset:128
                                        ; implicit-def: $vgpr52_vgpr53
; %bb.39:                               ;   in Loop: Header=BB38_11 Depth=3
	s_and_not1_saveexec_b32 s7, s7
	s_cbranch_execz .LBB38_41
; %bb.40:                               ;   in Loop: Header=BB38_11 Depth=3
	global_load_b64 v[52:53], v[52:53], off
	s_wait_loadcnt 0x0
	ds_store_b64 v63, v[52:53] offset:128
.LBB38_41:                              ;   in Loop: Header=BB38_11 Depth=3
	s_wait_xcnt 0x0
	s_or_b32 exec_lo, exec_lo, s7
	v_add_nc_u64_e32 v[52:53], v[46:47], v[18:19]
	v_mov_b64_e32 v[54:55], 0
	s_and_b32 s7, s4, s5
	s_delay_alu instid0(SALU_CYCLE_1)
	s_and_saveexec_b32 s5, s7
	s_cbranch_execz .LBB38_43
; %bb.42:                               ;   in Loop: Header=BB38_11 Depth=3
	global_load_b64 v[54:55], v[52:53], off offset:-128
.LBB38_43:                              ;   in Loop: Header=BB38_11 Depth=3
	s_wait_xcnt 0x0
	s_or_b32 exec_lo, exec_lo, s5
	s_and_b32 s5, s4, s6
	s_wait_loadcnt 0x0
	ds_store_b64 v63, v[54:55] offset:4096
	s_xor_b32 s5, s5, -1
	s_delay_alu instid0(SALU_CYCLE_1) | instskip(NEXT) | instid1(SALU_CYCLE_1)
	s_and_saveexec_b32 s6, s5
	s_xor_b32 s5, exec_lo, s6
; %bb.44:                               ;   in Loop: Header=BB38_11 Depth=3
	ds_store_b64 v63, v[2:3] offset:4224
                                        ; implicit-def: $vgpr52_vgpr53
; %bb.45:                               ;   in Loop: Header=BB38_11 Depth=3
	s_and_not1_saveexec_b32 s5, s5
	s_cbranch_execz .LBB38_10
; %bb.46:                               ;   in Loop: Header=BB38_11 Depth=3
	global_load_b64 v[52:53], v[52:53], off
	s_wait_loadcnt 0x0
	ds_store_b64 v63, v[52:53] offset:4224
	s_branch .LBB38_10
.LBB38_47:                              ;   in Loop: Header=BB38_8 Depth=2
	v_mov_b64_e32 v[42:43], 0
	v_mov_b64_e32 v[40:41], 0
	;; [unrolled: 1-line block ×4, first 2 shown]
.LBB38_48:                              ;   in Loop: Header=BB38_8 Depth=2
	v_mul_u64_e32 v[44:45], s[28:29], v[34:35]
	v_cmp_gt_i32_e32 vcc_lo, s10, v34
	s_and_b32 s5, s1, vcc_lo
	s_delay_alu instid0(VALU_DEP_2)
	v_lshl_add_u64 v[44:45], v[44:45], 3, s[48:49]
	s_and_saveexec_b32 s4, s5
	s_cbranch_execz .LBB38_50
; %bb.49:                               ;   in Loop: Header=BB38_8 Depth=2
	s_delay_alu instid0(VALU_DEP_1)
	v_lshl_add_u64 v[46:47], v[8:9], 3, v[44:45]
	global_load_b64 v[48:49], v[46:47], off
	s_wait_loadcnt 0x0
	v_fmac_f64_e32 v[48:49], v[26:27], v[42:43]
	global_store_b64 v[46:47], v[48:49], off
.LBB38_50:                              ;   in Loop: Header=BB38_8 Depth=2
	s_wait_xcnt 0x0
	s_or_b32 exec_lo, exec_lo, s4
	s_and_b32 s5, s2, vcc_lo
	s_delay_alu instid0(SALU_CYCLE_1)
	s_and_saveexec_b32 s4, s5
	s_cbranch_execz .LBB38_52
; %bb.51:                               ;   in Loop: Header=BB38_8 Depth=2
	v_lshl_add_u64 v[42:43], v[12:13], 3, v[44:45]
	global_load_b64 v[44:45], v[42:43], off
	s_wait_loadcnt 0x0
	v_fmac_f64_e32 v[44:45], v[26:27], v[40:41]
	global_store_b64 v[42:43], v[44:45], off
.LBB38_52:                              ;   in Loop: Header=BB38_8 Depth=2
	s_wait_xcnt 0x0
	s_or_b32 exec_lo, exec_lo, s4
	v_add_nc_u32_e32 v34, 16, v34
	s_delay_alu instid0(VALU_DEP_1) | instskip(SKIP_1) | instid1(VALU_DEP_2)
	v_ashrrev_i32_e32 v35, 31, v34
	v_cmp_gt_i32_e32 vcc_lo, s10, v34
	v_mul_u64_e32 v[40:41], s[28:29], v[34:35]
	s_and_b32 s5, s1, vcc_lo
	s_delay_alu instid0(VALU_DEP_1)
	v_lshl_add_u64 v[34:35], v[40:41], 3, s[48:49]
	s_and_saveexec_b32 s4, s5
	s_cbranch_execz .LBB38_54
; %bb.53:                               ;   in Loop: Header=BB38_8 Depth=2
	s_delay_alu instid0(VALU_DEP_1)
	v_lshl_add_u64 v[40:41], v[8:9], 3, v[34:35]
	global_load_b64 v[42:43], v[40:41], off
	s_wait_loadcnt 0x0
	v_fmac_f64_e32 v[42:43], v[26:27], v[38:39]
	global_store_b64 v[40:41], v[42:43], off
.LBB38_54:                              ;   in Loop: Header=BB38_8 Depth=2
	s_wait_xcnt 0x0
	s_or_b32 exec_lo, exec_lo, s4
	s_and_b32 s5, s2, vcc_lo
	s_delay_alu instid0(SALU_CYCLE_1)
	s_and_saveexec_b32 s4, s5
	s_cbranch_execz .LBB38_7
; %bb.55:                               ;   in Loop: Header=BB38_8 Depth=2
	v_lshl_add_u64 v[34:35], v[12:13], 3, v[34:35]
	global_load_b64 v[38:39], v[34:35], off
	s_wait_loadcnt 0x0
	v_fmac_f64_e32 v[38:39], v[26:27], v[36:37]
	global_store_b64 v[34:35], v[38:39], off
	s_branch .LBB38_7
.LBB38_56:
	s_sendmsg sendmsg(MSG_DEALLOC_VGPRS)
	s_endpgm
	.section	.rodata,"a",@progbits
	.p2align	6, 0x0
	.amdhsa_kernel _ZL30rocblas_trmm_outofplace_kernelIdLi32ELi2ELb1ELb1ELb0ELb0EPKdS0_dEv17rocblas_diagonal_iiT6_lPT7_lllS5_lllPT8_llli
		.amdhsa_group_segment_fixed_size 16384
		.amdhsa_private_segment_fixed_size 0
		.amdhsa_kernarg_size 392
		.amdhsa_user_sgpr_count 2
		.amdhsa_user_sgpr_dispatch_ptr 0
		.amdhsa_user_sgpr_queue_ptr 0
		.amdhsa_user_sgpr_kernarg_segment_ptr 1
		.amdhsa_user_sgpr_dispatch_id 0
		.amdhsa_user_sgpr_kernarg_preload_length 0
		.amdhsa_user_sgpr_kernarg_preload_offset 0
		.amdhsa_user_sgpr_private_segment_size 0
		.amdhsa_wavefront_size32 1
		.amdhsa_uses_dynamic_stack 0
		.amdhsa_enable_private_segment 0
		.amdhsa_system_sgpr_workgroup_id_x 1
		.amdhsa_system_sgpr_workgroup_id_y 1
		.amdhsa_system_sgpr_workgroup_id_z 1
		.amdhsa_system_sgpr_workgroup_info 0
		.amdhsa_system_vgpr_workitem_id 1
		.amdhsa_next_free_vgpr 82
		.amdhsa_next_free_sgpr 61
		.amdhsa_named_barrier_count 0
		.amdhsa_reserve_vcc 1
		.amdhsa_float_round_mode_32 0
		.amdhsa_float_round_mode_16_64 0
		.amdhsa_float_denorm_mode_32 3
		.amdhsa_float_denorm_mode_16_64 3
		.amdhsa_fp16_overflow 0
		.amdhsa_memory_ordered 1
		.amdhsa_forward_progress 1
		.amdhsa_inst_pref_size 26
		.amdhsa_round_robin_scheduling 0
		.amdhsa_exception_fp_ieee_invalid_op 0
		.amdhsa_exception_fp_denorm_src 0
		.amdhsa_exception_fp_ieee_div_zero 0
		.amdhsa_exception_fp_ieee_overflow 0
		.amdhsa_exception_fp_ieee_underflow 0
		.amdhsa_exception_fp_ieee_inexact 0
		.amdhsa_exception_int_div_zero 0
	.end_amdhsa_kernel
	.section	.text._ZL30rocblas_trmm_outofplace_kernelIdLi32ELi2ELb1ELb1ELb0ELb0EPKdS0_dEv17rocblas_diagonal_iiT6_lPT7_lllS5_lllPT8_llli,"axG",@progbits,_ZL30rocblas_trmm_outofplace_kernelIdLi32ELi2ELb1ELb1ELb0ELb0EPKdS0_dEv17rocblas_diagonal_iiT6_lPT7_lllS5_lllPT8_llli,comdat
.Lfunc_end38:
	.size	_ZL30rocblas_trmm_outofplace_kernelIdLi32ELi2ELb1ELb1ELb0ELb0EPKdS0_dEv17rocblas_diagonal_iiT6_lPT7_lllS5_lllPT8_llli, .Lfunc_end38-_ZL30rocblas_trmm_outofplace_kernelIdLi32ELi2ELb1ELb1ELb0ELb0EPKdS0_dEv17rocblas_diagonal_iiT6_lPT7_lllS5_lllPT8_llli
                                        ; -- End function
	.set _ZL30rocblas_trmm_outofplace_kernelIdLi32ELi2ELb1ELb1ELb0ELb0EPKdS0_dEv17rocblas_diagonal_iiT6_lPT7_lllS5_lllPT8_llli.num_vgpr, 82
	.set _ZL30rocblas_trmm_outofplace_kernelIdLi32ELi2ELb1ELb1ELb0ELb0EPKdS0_dEv17rocblas_diagonal_iiT6_lPT7_lllS5_lllPT8_llli.num_agpr, 0
	.set _ZL30rocblas_trmm_outofplace_kernelIdLi32ELi2ELb1ELb1ELb0ELb0EPKdS0_dEv17rocblas_diagonal_iiT6_lPT7_lllS5_lllPT8_llli.numbered_sgpr, 61
	.set _ZL30rocblas_trmm_outofplace_kernelIdLi32ELi2ELb1ELb1ELb0ELb0EPKdS0_dEv17rocblas_diagonal_iiT6_lPT7_lllS5_lllPT8_llli.num_named_barrier, 0
	.set _ZL30rocblas_trmm_outofplace_kernelIdLi32ELi2ELb1ELb1ELb0ELb0EPKdS0_dEv17rocblas_diagonal_iiT6_lPT7_lllS5_lllPT8_llli.private_seg_size, 0
	.set _ZL30rocblas_trmm_outofplace_kernelIdLi32ELi2ELb1ELb1ELb0ELb0EPKdS0_dEv17rocblas_diagonal_iiT6_lPT7_lllS5_lllPT8_llli.uses_vcc, 1
	.set _ZL30rocblas_trmm_outofplace_kernelIdLi32ELi2ELb1ELb1ELb0ELb0EPKdS0_dEv17rocblas_diagonal_iiT6_lPT7_lllS5_lllPT8_llli.uses_flat_scratch, 0
	.set _ZL30rocblas_trmm_outofplace_kernelIdLi32ELi2ELb1ELb1ELb0ELb0EPKdS0_dEv17rocblas_diagonal_iiT6_lPT7_lllS5_lllPT8_llli.has_dyn_sized_stack, 0
	.set _ZL30rocblas_trmm_outofplace_kernelIdLi32ELi2ELb1ELb1ELb0ELb0EPKdS0_dEv17rocblas_diagonal_iiT6_lPT7_lllS5_lllPT8_llli.has_recursion, 0
	.set _ZL30rocblas_trmm_outofplace_kernelIdLi32ELi2ELb1ELb1ELb0ELb0EPKdS0_dEv17rocblas_diagonal_iiT6_lPT7_lllS5_lllPT8_llli.has_indirect_call, 0
	.section	.AMDGPU.csdata,"",@progbits
; Kernel info:
; codeLenInByte = 3264
; TotalNumSgprs: 63
; NumVgprs: 82
; ScratchSize: 0
; MemoryBound: 0
; FloatMode: 240
; IeeeMode: 1
; LDSByteSize: 16384 bytes/workgroup (compile time only)
; SGPRBlocks: 0
; VGPRBlocks: 5
; NumSGPRsForWavesPerEU: 63
; NumVGPRsForWavesPerEU: 82
; NamedBarCnt: 0
; Occupancy: 10
; WaveLimiterHint : 0
; COMPUTE_PGM_RSRC2:SCRATCH_EN: 0
; COMPUTE_PGM_RSRC2:USER_SGPR: 2
; COMPUTE_PGM_RSRC2:TRAP_HANDLER: 0
; COMPUTE_PGM_RSRC2:TGID_X_EN: 1
; COMPUTE_PGM_RSRC2:TGID_Y_EN: 1
; COMPUTE_PGM_RSRC2:TGID_Z_EN: 1
; COMPUTE_PGM_RSRC2:TIDIG_COMP_CNT: 1
	.section	.text._ZL30rocblas_trmm_outofplace_kernelIdLi32ELi2ELb1ELb1ELb0ELb0EdKddEv17rocblas_diagonal_iiT6_lPT7_lllS4_lllPT8_llli,"axG",@progbits,_ZL30rocblas_trmm_outofplace_kernelIdLi32ELi2ELb1ELb1ELb0ELb0EdKddEv17rocblas_diagonal_iiT6_lPT7_lllS4_lllPT8_llli,comdat
	.globl	_ZL30rocblas_trmm_outofplace_kernelIdLi32ELi2ELb1ELb1ELb0ELb0EdKddEv17rocblas_diagonal_iiT6_lPT7_lllS4_lllPT8_llli ; -- Begin function _ZL30rocblas_trmm_outofplace_kernelIdLi32ELi2ELb1ELb1ELb0ELb0EdKddEv17rocblas_diagonal_iiT6_lPT7_lllS4_lllPT8_llli
	.p2align	8
	.type	_ZL30rocblas_trmm_outofplace_kernelIdLi32ELi2ELb1ELb1ELb0ELb0EdKddEv17rocblas_diagonal_iiT6_lPT7_lllS4_lllPT8_llli,@function
_ZL30rocblas_trmm_outofplace_kernelIdLi32ELi2ELb1ELb1ELb0ELb0EdKddEv17rocblas_diagonal_iiT6_lPT7_lllS4_lllPT8_llli: ; @_ZL30rocblas_trmm_outofplace_kernelIdLi32ELi2ELb1ELb1ELb0ELb0EdKddEv17rocblas_diagonal_iiT6_lPT7_lllS4_lllPT8_llli
; %bb.0:
	s_load_b32 s31, s[0:1], 0x80
	s_bfe_u32 s2, ttmp6, 0x40014
	s_lshr_b32 s3, ttmp7, 16
	s_add_co_i32 s2, s2, 1
	s_bfe_u32 s5, ttmp6, 0x40008
	s_mul_i32 s4, s3, s2
	s_getreg_b32 s2, hwreg(HW_REG_IB_STS2, 6, 4)
	s_add_co_i32 s5, s5, s4
	s_cmp_eq_u32 s2, 0
	s_cselect_b32 s34, s3, s5
	s_wait_kmcnt 0x0
	s_cmp_ge_u32 s34, s31
	s_cbranch_scc1 .LBB39_55
; %bb.1:
	s_load_b64 s[36:37], s[0:1], 0x10
	s_wait_kmcnt 0x0
	v_cmp_eq_f64_e64 s3, s[36:37], 0
	s_and_b32 vcc_lo, exec_lo, s3
	s_cbranch_vccnz .LBB39_55
; %bb.2:
	s_clause 0x1
	s_load_b96 s[28:30], s[0:1], 0x0
	s_load_b512 s[4:19], s[0:1], 0x20
	s_bfe_u32 s33, ttmp6, 0x4000c
	s_bfe_u32 s41, ttmp6, 0x40010
	s_add_co_i32 s33, s33, 1
	s_and_b32 s40, ttmp7, 0xffff
	s_add_nc_u64 s[38:39], s[0:1], 0x88
	s_load_b256 s[20:27], s[0:1], 0x60
	s_add_co_i32 s41, s41, 1
	s_wait_xcnt 0x0
	s_mul_i32 s0, ttmp9, s33
	s_mul_i32 s1, s40, s41
	s_and_b32 s3, ttmp6, 15
	s_bfe_u32 s42, ttmp6, 0x40004
	s_add_co_i32 s3, s3, s0
	s_add_co_i32 s42, s42, s1
	v_bfe_u32 v56, v0, 10, 10
	v_and_b32_e32 v1, 0x3ff, v0
	v_mov_b32_e32 v0, 0
	v_mov_b64_e32 v[2:3], 0
	v_mov_b64_e32 v[4:5], 1.0
	s_wait_kmcnt 0x0
	s_add_co_i32 s33, s30, -1
	v_lshlrev_b32_e32 v6, 8, v56
	s_ashr_i32 s41, s33, 31
	s_mov_b32 s35, 0
	s_lshr_b32 s41, s41, 27
	s_delay_alu instid0(VALU_DEP_1) | instskip(SKIP_1) | instid1(SALU_CYCLE_1)
	v_add_nc_u32_e32 v59, 0x2000, v6
	s_add_co_i32 s33, s33, s41
	s_ashr_i32 s33, s33, 5
	s_cmp_eq_u32 s2, 0
	s_cselect_b32 s50, s40, s42
	s_cselect_b32 s0, ttmp9, s3
	s_cmp_le_i32 s50, s33
	s_mov_b32 s40, s29
	s_cselect_b32 s51, -1, 0
	s_lshl_b32 s2, s0, 5
	v_lshlrev_b32_e32 v57, 3, v1
	s_sub_co_i32 s52, s29, s2
	v_lshl_add_u32 v62, s50, 5, v56
	s_cmp_gt_i32 s52, 0
	s_mov_b32 s42, s30
	v_dual_add_nc_u32 v58, v57, v6 :: v_dual_add_nc_u32 v6, s2, v56
	s_cselect_b32 s53, -1, 0
	s_cmp_eq_u32 s28, 0x84
	v_add_nc_u32_e32 v8, s2, v1
	s_cselect_b32 s54, -1, 0
	v_ashrrev_i32_e32 v7, 31, v6
	s_lshl_b64 s[0:1], s[6:7], 3
	s_ashr_i32 s41, s29, 31
	s_add_nc_u64 s[4:5], s[4:5], s[0:1]
	v_dual_ashrrev_i32 v9, 31, v8 :: v_dual_add_nc_u32 v12, 16, v8
	v_lshl_add_u64 v[20:21], v[6:7], 3, 0x80
	v_mul_u64_e32 v[24:25], s[8:9], v[6:7]
	s_lshl_b64 s[2:3], s[22:23], 3
	s_delay_alu instid0(VALU_DEP_3)
	v_add_nc_u64_e32 v[14:15], 16, v[8:9]
	v_sub_nc_u64_e32 v[16:17], v[8:9], v[6:7]
	v_mad_nc_u64_u32 v[10:11], s8, v20, s[4:5]
	s_lshl_b64 s[6:7], s[14:15], 3
	s_add_nc_u64 s[14:15], s[20:21], s[2:3]
	v_lshlrev_b64_e32 v[18:19], 3, v[8:9]
	v_add_nc_u32_e32 v60, 0x800, v57
	v_cmp_le_i64_e64 s3, s[40:41], v[14:15]
	v_add_nc_u64_e32 v[22:23], -16, v[16:17]
	v_add_nc_u32_e32 v61, v59, v57
	v_cmp_le_i32_e64 s0, s29, v8
	v_cmp_gt_i32_e64 s1, s29, v8
	v_cmp_gt_i32_e64 s2, s29, v12
	v_mad_u32 v1, s9, v20, v11
	v_ashrrev_i32_e32 v13, 31, v12
	v_add_nc_u32_e32 v63, 0x1000, v57
	v_add_nc_u32_e32 v64, 0x1800, v57
	s_add_nc_u64 s[6:7], s[12:13], s[6:7]
	s_ashr_i32 s43, s30, 31
	s_lshl_b64 s[44:45], s[8:9], 8
	s_add_nc_u64 s[20:21], s[40:41], -16
	s_add_nc_u64 s[12:13], s[6:7], 0x80
	s_lshl_b64 s[18:19], s[18:19], 3
	s_lshl_b64 s[22:23], s[16:17], 3
	v_mad_u32 v11, s8, v21, v1
	v_add_nc_u64_e32 v[20:21], 16, v[16:17]
	s_lshl_b64 s[10:11], s[10:11], 3
	v_lshl_add_u64 v[24:25], v[24:25], 3, s[4:5]
	s_branch .LBB39_4
.LBB39_3:                               ;   in Loop: Header=BB39_4 Depth=1
	s_add_co_i32 s34, s34, 0x10000
	s_delay_alu instid0(SALU_CYCLE_1)
	s_cmp_ge_u32 s34, s31
	s_cbranch_scc1 .LBB39_55
.LBB39_4:                               ; =>This Loop Header: Depth=1
                                        ;     Child Loop BB39_7 Depth 2
                                        ;       Child Loop BB39_10 Depth 3
	s_and_not1_b32 vcc_lo, exec_lo, s51
	s_cbranch_vccnz .LBB39_3
; %bb.5:                                ;   in Loop: Header=BB39_4 Depth=1
	s_load_b32 s9, s[38:39], 0x4
	s_delay_alu instid0(VALU_DEP_3)
	v_mad_nc_u64_u32 v[26:27], s10, s34, v[10:11]
	v_mad_nc_u64_u32 v[28:29], s10, s34, v[24:25]
	s_mul_i32 s8, s11, s34
	s_mul_u64 s[6:7], s[26:27], s[34:35]
	v_mov_b32_e32 v30, v62
	s_mul_u64 s[4:5], s[18:19], s[34:35]
	s_lshl_b64 s[6:7], s[6:7], 3
	s_add_nc_u64 s[28:29], s[12:13], s[4:5]
	s_add_nc_u64 s[46:47], s[14:15], s[6:7]
	s_mov_b32 s56, s50
	s_delay_alu instid0(VALU_DEP_2)
	v_dual_add_nc_u32 v27, s8, v27 :: v_dual_add_nc_u32 v29, s8, v29
	s_wait_kmcnt 0x0
	s_lshl_b32 s55, s9, 5
	s_branch .LBB39_7
.LBB39_6:                               ;   in Loop: Header=BB39_7 Depth=2
	s_wait_xcnt 0x0
	s_or_b32 exec_lo, exec_lo, s4
	v_add_nc_u32_e32 v30, s55, v30
	s_add_co_i32 s56, s9, s56
	s_delay_alu instid0(SALU_CYCLE_1)
	s_cmp_gt_i32 s56, s33
	s_cbranch_scc1 .LBB39_3
.LBB39_7:                               ;   Parent Loop BB39_4 Depth=1
                                        ; =>  This Loop Header: Depth=2
                                        ;       Child Loop BB39_10 Depth 3
	v_lshl_add_u32 v32, s56, 5, v56
	s_and_not1_b32 vcc_lo, exec_lo, s53
	s_delay_alu instid0(VALU_DEP_1)
	v_ashrrev_i32_e32 v33, 31, v32
	s_cbranch_vccnz .LBB39_46
; %bb.8:                                ;   in Loop: Header=BB39_7 Depth=2
	v_ashrrev_i32_e32 v31, 31, v30
	v_mad_nc_u64_u32 v[42:43], s22, v30, s[28:29]
	s_delay_alu instid0(VALU_DEP_3)
	v_sub_nc_u64_e32 v[36:37], s[42:43], v[32:33]
	v_mov_b64_e32 v[38:39], 0
	v_mov_b64_e32 v[40:41], 0
	v_lshl_add_u64 v[34:35], v[30:31], 3, 0x80
	v_mov_b64_e32 v[46:47], v[28:29]
	v_mov_b64_e32 v[48:49], v[26:27]
	s_mov_b64 s[48:49], 0
	v_cmp_lt_i64_e32 vcc_lo, 0, v[36:37]
	v_mad_nc_u64_u32 v[44:45], s16, v34, s[28:29]
	v_cmp_lt_i64_e64 s4, 16, v[36:37]
	v_mad_u32 v1, s23, v30, v43
	v_mov_b64_e32 v[36:37], 0
	s_delay_alu instid0(VALU_DEP_4) | instskip(NEXT) | instid1(VALU_DEP_3)
	v_mad_u32 v34, s17, v34, v45
	v_mad_u32 v43, s22, v31, v1
	s_delay_alu instid0(VALU_DEP_2)
	v_mad_u32 v45, s16, v35, v34
	v_mov_b64_e32 v[34:35], 0
	s_branch .LBB39_10
.LBB39_9:                               ;   in Loop: Header=BB39_10 Depth=3
	s_wait_xcnt 0x0
	s_or_b32 exec_lo, exec_lo, s5
	s_wait_dscnt 0x0
	s_barrier_signal -1
	s_barrier_wait -1
	ds_load_b128 v[50:53], v59
	ds_load_2addr_b64 v[66:69], v57 offset1:16
	ds_load_b128 v[70:73], v59 offset:4096
	ds_load_b128 v[74:77], v59 offset:16
	;; [unrolled: 1-line block ×3, first 2 shown]
	v_add_nc_u64_e32 v[42:43], 0x100, v[42:43]
	v_add_nc_u64_e32 v[48:49], s[44:45], v[48:49]
	v_add_nc_u64_e32 v[44:45], 0x100, v[44:45]
	v_add_nc_u64_e32 v[46:47], s[44:45], v[46:47]
	s_add_nc_u64 s[48:49], s[48:49], 32
	s_delay_alu instid0(SALU_CYCLE_1)
	s_cmp_ge_i32 s48, s52
	s_wait_dscnt 0x3
	v_fmac_f64_e32 v[40:41], v[66:67], v[50:51]
	v_fmac_f64_e32 v[38:39], v[68:69], v[50:51]
	s_wait_dscnt 0x2
	v_fmac_f64_e32 v[36:37], v[66:67], v[70:71]
	v_fmac_f64_e32 v[34:35], v[68:69], v[70:71]
	ds_load_2addr_b64 v[66:69], v57 offset0:32 offset1:48
	s_wait_dscnt 0x0
	v_fmac_f64_e32 v[40:41], v[66:67], v[52:53]
	v_fmac_f64_e32 v[38:39], v[68:69], v[52:53]
	v_fmac_f64_e32 v[36:37], v[66:67], v[72:73]
	v_fmac_f64_e32 v[34:35], v[68:69], v[72:73]
	ds_load_2addr_b64 v[50:53], v57 offset0:64 offset1:80
	s_wait_dscnt 0x0
	v_fmac_f64_e32 v[40:41], v[50:51], v[74:75]
	v_fmac_f64_e32 v[38:39], v[52:53], v[74:75]
	v_fmac_f64_e32 v[36:37], v[50:51], v[78:79]
	v_fmac_f64_e32 v[34:35], v[52:53], v[78:79]
	ds_load_2addr_b64 v[50:53], v57 offset0:96 offset1:112
	s_wait_dscnt 0x0
	v_fmac_f64_e32 v[40:41], v[50:51], v[76:77]
	v_fmac_f64_e32 v[38:39], v[52:53], v[76:77]
	v_fmac_f64_e32 v[36:37], v[50:51], v[80:81]
	v_fmac_f64_e32 v[34:35], v[52:53], v[80:81]
	ds_load_b128 v[50:53], v59 offset:32
	ds_load_2addr_b64 v[66:69], v57 offset0:128 offset1:144
	ds_load_b128 v[70:73], v59 offset:4128
	ds_load_b128 v[74:77], v59 offset:48
	ds_load_b128 v[78:81], v59 offset:4144
	s_wait_dscnt 0x3
	v_fmac_f64_e32 v[40:41], v[66:67], v[50:51]
	v_fmac_f64_e32 v[38:39], v[68:69], v[50:51]
	s_wait_dscnt 0x2
	v_fmac_f64_e32 v[36:37], v[66:67], v[70:71]
	v_fmac_f64_e32 v[34:35], v[68:69], v[70:71]
	ds_load_2addr_b64 v[66:69], v57 offset0:160 offset1:176
	s_wait_dscnt 0x0
	v_fmac_f64_e32 v[40:41], v[66:67], v[52:53]
	v_fmac_f64_e32 v[38:39], v[68:69], v[52:53]
	v_fmac_f64_e32 v[36:37], v[66:67], v[72:73]
	v_fmac_f64_e32 v[34:35], v[68:69], v[72:73]
	ds_load_2addr_b64 v[50:53], v57 offset0:192 offset1:208
	s_wait_dscnt 0x0
	v_fmac_f64_e32 v[40:41], v[50:51], v[74:75]
	v_fmac_f64_e32 v[38:39], v[52:53], v[74:75]
	v_fmac_f64_e32 v[36:37], v[50:51], v[78:79]
	v_fmac_f64_e32 v[34:35], v[52:53], v[78:79]
	ds_load_2addr_b64 v[50:53], v57 offset0:224 offset1:240
	s_wait_dscnt 0x0
	v_fmac_f64_e32 v[40:41], v[50:51], v[76:77]
	v_fmac_f64_e32 v[38:39], v[52:53], v[76:77]
	v_fmac_f64_e32 v[36:37], v[50:51], v[80:81]
	v_fmac_f64_e32 v[34:35], v[52:53], v[80:81]
	ds_load_b128 v[50:53], v59 offset:64
	ds_load_2addr_b64 v[66:69], v60 offset1:16
	ds_load_b128 v[70:73], v59 offset:4160
	ds_load_b128 v[74:77], v59 offset:80
	ds_load_b128 v[78:81], v59 offset:4176
	s_wait_dscnt 0x3
	v_fmac_f64_e32 v[40:41], v[66:67], v[50:51]
	v_fmac_f64_e32 v[38:39], v[68:69], v[50:51]
	s_wait_dscnt 0x2
	v_fmac_f64_e32 v[36:37], v[66:67], v[70:71]
	v_fmac_f64_e32 v[34:35], v[68:69], v[70:71]
	ds_load_2addr_b64 v[66:69], v60 offset0:32 offset1:48
	s_wait_dscnt 0x0
	v_fmac_f64_e32 v[40:41], v[66:67], v[52:53]
	v_fmac_f64_e32 v[38:39], v[68:69], v[52:53]
	v_fmac_f64_e32 v[36:37], v[66:67], v[72:73]
	v_fmac_f64_e32 v[34:35], v[68:69], v[72:73]
	ds_load_2addr_b64 v[50:53], v60 offset0:64 offset1:80
	s_wait_dscnt 0x0
	v_fmac_f64_e32 v[40:41], v[50:51], v[74:75]
	v_fmac_f64_e32 v[38:39], v[52:53], v[74:75]
	v_fmac_f64_e32 v[36:37], v[50:51], v[78:79]
	v_fmac_f64_e32 v[34:35], v[52:53], v[78:79]
	ds_load_2addr_b64 v[50:53], v60 offset0:96 offset1:112
	s_wait_dscnt 0x0
	v_fmac_f64_e32 v[40:41], v[50:51], v[76:77]
	v_fmac_f64_e32 v[38:39], v[52:53], v[76:77]
	v_fmac_f64_e32 v[36:37], v[50:51], v[80:81]
	v_fmac_f64_e32 v[34:35], v[52:53], v[80:81]
	ds_load_b128 v[50:53], v59 offset:96
	ds_load_2addr_b64 v[66:69], v60 offset0:128 offset1:144
	ds_load_b128 v[70:73], v59 offset:4192
	ds_load_b128 v[74:77], v59 offset:112
	ds_load_b128 v[78:81], v59 offset:4208
	s_wait_dscnt 0x3
	v_fmac_f64_e32 v[40:41], v[66:67], v[50:51]
	v_fmac_f64_e32 v[38:39], v[68:69], v[50:51]
	s_wait_dscnt 0x2
	v_fmac_f64_e32 v[36:37], v[66:67], v[70:71]
	v_fmac_f64_e32 v[34:35], v[68:69], v[70:71]
	ds_load_2addr_b64 v[66:69], v60 offset0:160 offset1:176
	s_wait_dscnt 0x0
	v_fmac_f64_e32 v[40:41], v[66:67], v[52:53]
	v_fmac_f64_e32 v[38:39], v[68:69], v[52:53]
	v_fmac_f64_e32 v[36:37], v[66:67], v[72:73]
	v_fmac_f64_e32 v[34:35], v[68:69], v[72:73]
	ds_load_2addr_b64 v[50:53], v60 offset0:192 offset1:208
	s_wait_dscnt 0x0
	v_fmac_f64_e32 v[40:41], v[50:51], v[74:75]
	v_fmac_f64_e32 v[38:39], v[52:53], v[74:75]
	v_fmac_f64_e32 v[36:37], v[50:51], v[78:79]
	v_fmac_f64_e32 v[34:35], v[52:53], v[78:79]
	ds_load_2addr_b64 v[50:53], v60 offset0:224 offset1:240
	s_wait_dscnt 0x0
	v_fmac_f64_e32 v[40:41], v[50:51], v[76:77]
	v_fmac_f64_e32 v[38:39], v[52:53], v[76:77]
	v_fmac_f64_e32 v[36:37], v[50:51], v[80:81]
	v_fmac_f64_e32 v[34:35], v[52:53], v[80:81]
	ds_load_b128 v[50:53], v59 offset:128
	ds_load_2addr_b64 v[66:69], v63 offset1:16
	ds_load_b128 v[70:73], v59 offset:4224
	ds_load_b128 v[74:77], v59 offset:144
	ds_load_b128 v[78:81], v59 offset:4240
	;; [unrolled: 58-line block ×3, first 2 shown]
	s_wait_dscnt 0x3
	v_fmac_f64_e32 v[40:41], v[66:67], v[50:51]
	v_fmac_f64_e32 v[38:39], v[68:69], v[50:51]
	s_wait_dscnt 0x2
	v_fmac_f64_e32 v[36:37], v[66:67], v[70:71]
	v_fmac_f64_e32 v[34:35], v[68:69], v[70:71]
	ds_load_2addr_b64 v[66:69], v64 offset0:32 offset1:48
	s_wait_dscnt 0x0
	v_fmac_f64_e32 v[40:41], v[66:67], v[52:53]
	v_fmac_f64_e32 v[38:39], v[68:69], v[52:53]
	v_fmac_f64_e32 v[36:37], v[66:67], v[72:73]
	v_fmac_f64_e32 v[34:35], v[68:69], v[72:73]
	ds_load_2addr_b64 v[50:53], v64 offset0:64 offset1:80
	s_wait_dscnt 0x0
	v_fmac_f64_e32 v[40:41], v[50:51], v[74:75]
	v_fmac_f64_e32 v[38:39], v[52:53], v[74:75]
	;; [unrolled: 6-line block ×3, first 2 shown]
	v_fmac_f64_e32 v[36:37], v[50:51], v[80:81]
	v_fmac_f64_e32 v[34:35], v[52:53], v[80:81]
	ds_load_b128 v[50:53], v59 offset:224
	ds_load_2addr_b64 v[66:69], v64 offset0:128 offset1:144
	ds_load_b128 v[70:73], v59 offset:4320
	ds_load_b128 v[74:77], v59 offset:240
	ds_load_b128 v[78:81], v59 offset:4336
	s_wait_dscnt 0x3
	v_fmac_f64_e32 v[40:41], v[66:67], v[50:51]
	v_fmac_f64_e32 v[38:39], v[68:69], v[50:51]
	s_wait_dscnt 0x2
	v_fmac_f64_e32 v[36:37], v[66:67], v[70:71]
	v_fmac_f64_e32 v[34:35], v[68:69], v[70:71]
	ds_load_2addr_b64 v[66:69], v64 offset0:160 offset1:176
	s_wait_dscnt 0x0
	v_fmac_f64_e32 v[40:41], v[66:67], v[52:53]
	v_fmac_f64_e32 v[38:39], v[68:69], v[52:53]
	;; [unrolled: 1-line block ×4, first 2 shown]
	ds_load_2addr_b64 v[50:53], v64 offset0:192 offset1:208
	s_wait_dscnt 0x0
	v_fmac_f64_e32 v[40:41], v[50:51], v[74:75]
	v_fmac_f64_e32 v[38:39], v[52:53], v[74:75]
	;; [unrolled: 1-line block ×4, first 2 shown]
	ds_load_2addr_b64 v[50:53], v64 offset0:224 offset1:240
	s_wait_dscnt 0x0
	s_barrier_signal -1
	s_barrier_wait -1
	v_fmac_f64_e32 v[40:41], v[50:51], v[76:77]
	v_fmac_f64_e32 v[38:39], v[52:53], v[76:77]
	;; [unrolled: 1-line block ×4, first 2 shown]
	s_cbranch_scc1 .LBB39_47
.LBB39_10:                              ;   Parent Loop BB39_4 Depth=1
                                        ;     Parent Loop BB39_7 Depth=2
                                        ; =>    This Inner Loop Header: Depth=3
	v_add_nc_u64_e32 v[50:51], s[48:49], v[6:7]
	v_cmp_eq_u64_e64 s7, s[48:49], v[16:17]
	v_add_nc_u64_e32 v[52:53], v[46:47], v[18:19]
                                        ; implicit-def: $vgpr54_vgpr55
	s_delay_alu instid0(VALU_DEP_3) | instskip(SKIP_3) | instid1(SALU_CYCLE_1)
	v_cmp_le_i64_e64 s6, s[40:41], v[50:51]
	v_cmp_lt_i64_e64 s5, v[50:51], v[8:9]
	s_and_b32 s57, s54, s7
	s_or_b32 s7, s6, s5
	s_or_b32 s7, s7, s57
	s_delay_alu instid0(SALU_CYCLE_1) | instskip(NEXT) | instid1(SALU_CYCLE_1)
	s_nor_b32 s7, s0, s7
	s_and_saveexec_b32 s8, s7
	s_delay_alu instid0(SALU_CYCLE_1)
	s_xor_b32 s7, exec_lo, s8
	s_cbranch_execz .LBB39_12
; %bb.11:                               ;   in Loop: Header=BB39_10 Depth=3
	global_load_b64 v[54:55], v[52:53], off
.LBB39_12:                              ;   in Loop: Header=BB39_10 Depth=3
	s_wait_xcnt 0x0
	s_and_not1_saveexec_b32 s7, s7
	s_cbranch_execz .LBB39_14
; %bb.13:                               ;   in Loop: Header=BB39_10 Depth=3
	v_cndmask_b32_e64 v1, 0, 0x3ff00000, s57
	s_wait_loadcnt 0x0
	s_delay_alu instid0(VALU_DEP_1)
	v_mov_b64_e32 v[54:55], v[0:1]
.LBB39_14:                              ;   in Loop: Header=BB39_10 Depth=3
	s_or_b32 exec_lo, exec_lo, s7
	v_cmp_eq_u64_e64 s7, s[48:49], v[20:21]
	v_cmp_gt_i64_e64 s8, v[14:15], v[50:51]
	s_wait_loadcnt 0x0
	ds_store_b64 v58, v[54:55]
	s_and_b32 s7, s54, s7
	s_or_b32 s6, s6, s8
	s_delay_alu instid0(SALU_CYCLE_1) | instskip(NEXT) | instid1(SALU_CYCLE_1)
	s_or_b32 s6, s6, s7
	s_nor_b32 s6, s3, s6
	s_delay_alu instid0(SALU_CYCLE_1) | instskip(NEXT) | instid1(SALU_CYCLE_1)
	s_and_saveexec_b32 s8, s6
	s_xor_b32 s6, exec_lo, s8
	s_cbranch_execz .LBB39_16
; %bb.15:                               ;   in Loop: Header=BB39_10 Depth=3
	global_load_b64 v[52:53], v[52:53], off offset:128
	s_wait_loadcnt 0x0
	ds_store_b64 v58, v[52:53] offset:128
.LBB39_16:                              ;   in Loop: Header=BB39_10 Depth=3
	s_wait_xcnt 0x0
	s_and_not1_saveexec_b32 s6, s6
	s_cbranch_execz .LBB39_22
; %bb.17:                               ;   in Loop: Header=BB39_10 Depth=3
	s_xor_b32 s7, s7, -1
	s_delay_alu instid0(SALU_CYCLE_1) | instskip(NEXT) | instid1(SALU_CYCLE_1)
	s_and_saveexec_b32 s8, s7
	s_xor_b32 s7, exec_lo, s8
; %bb.18:                               ;   in Loop: Header=BB39_10 Depth=3
	ds_store_b64 v58, v[2:3] offset:128
; %bb.19:                               ;   in Loop: Header=BB39_10 Depth=3
	s_and_not1_saveexec_b32 s7, s7
; %bb.20:                               ;   in Loop: Header=BB39_10 Depth=3
	ds_store_b64 v58, v[4:5] offset:128
; %bb.21:                               ;   in Loop: Header=BB39_10 Depth=3
	s_or_b32 exec_lo, exec_lo, s7
.LBB39_22:                              ;   in Loop: Header=BB39_10 Depth=3
	s_delay_alu instid0(SALU_CYCLE_1) | instskip(SKIP_2) | instid1(VALU_DEP_2)
	s_or_b32 exec_lo, exec_lo, s6
	v_add_nc_u64_e32 v[50:51], 16, v[50:51]
	v_cmp_eq_u64_e64 s7, s[48:49], v[22:23]
                                        ; implicit-def: $vgpr52_vgpr53
	v_cmp_le_i64_e64 s6, s[40:41], v[50:51]
	v_cmp_lt_i64_e64 s8, v[50:51], v[8:9]
	v_add_nc_u64_e32 v[50:51], v[48:49], v[18:19]
	s_and_b32 s7, s54, s7
	s_or_b32 s8, s6, s8
	s_delay_alu instid0(SALU_CYCLE_1) | instskip(NEXT) | instid1(SALU_CYCLE_1)
	s_or_b32 s8, s8, s7
	s_nor_b32 s8, s0, s8
	s_delay_alu instid0(SALU_CYCLE_1) | instskip(NEXT) | instid1(SALU_CYCLE_1)
	s_and_saveexec_b32 s58, s8
	s_xor_b32 s8, exec_lo, s58
	s_cbranch_execz .LBB39_24
; %bb.23:                               ;   in Loop: Header=BB39_10 Depth=3
	global_load_b64 v[52:53], v[50:51], off
.LBB39_24:                              ;   in Loop: Header=BB39_10 Depth=3
	s_wait_xcnt 0x0
	s_and_not1_saveexec_b32 s8, s8
	s_cbranch_execz .LBB39_26
; %bb.25:                               ;   in Loop: Header=BB39_10 Depth=3
	v_cndmask_b32_e64 v1, 0, 0x3ff00000, s7
	s_wait_loadcnt 0x0
	s_delay_alu instid0(VALU_DEP_1)
	v_mov_b64_e32 v[52:53], v[0:1]
.LBB39_26:                              ;   in Loop: Header=BB39_10 Depth=3
	s_or_b32 exec_lo, exec_lo, s8
	s_or_b32 s5, s6, s5
	s_wait_loadcnt 0x0
	ds_store_b64 v58, v[52:53] offset:4096
	s_or_b32 s5, s5, s57
	s_delay_alu instid0(SALU_CYCLE_1) | instskip(NEXT) | instid1(SALU_CYCLE_1)
	s_nor_b32 s5, s3, s5
	s_and_saveexec_b32 s6, s5
	s_delay_alu instid0(SALU_CYCLE_1)
	s_xor_b32 s5, exec_lo, s6
	s_cbranch_execz .LBB39_28
; %bb.27:                               ;   in Loop: Header=BB39_10 Depth=3
	global_load_b64 v[50:51], v[50:51], off offset:128
	s_wait_loadcnt 0x0
	ds_store_b64 v58, v[50:51] offset:4224
.LBB39_28:                              ;   in Loop: Header=BB39_10 Depth=3
	s_wait_xcnt 0x0
	s_and_not1_saveexec_b32 s5, s5
	s_cbranch_execz .LBB39_34
; %bb.29:                               ;   in Loop: Header=BB39_10 Depth=3
	s_xor_b32 s6, s57, -1
	s_delay_alu instid0(SALU_CYCLE_1) | instskip(NEXT) | instid1(SALU_CYCLE_1)
	s_and_saveexec_b32 s7, s6
	s_xor_b32 s6, exec_lo, s7
; %bb.30:                               ;   in Loop: Header=BB39_10 Depth=3
	ds_store_b64 v58, v[2:3] offset:4224
; %bb.31:                               ;   in Loop: Header=BB39_10 Depth=3
	s_and_not1_saveexec_b32 s6, s6
; %bb.32:                               ;   in Loop: Header=BB39_10 Depth=3
	ds_store_b64 v58, v[4:5] offset:4224
; %bb.33:                               ;   in Loop: Header=BB39_10 Depth=3
	s_or_b32 exec_lo, exec_lo, s6
.LBB39_34:                              ;   in Loop: Header=BB39_10 Depth=3
	s_delay_alu instid0(SALU_CYCLE_1) | instskip(SKIP_3) | instid1(VALU_DEP_3)
	s_or_b32 exec_lo, exec_lo, s5
	v_add_nc_u64_e32 v[52:53], s[48:49], v[8:9]
	v_add_nc_u64_e32 v[50:51], v[42:43], v[18:19]
	v_mov_b64_e32 v[54:55], 0
	v_cmp_gt_i64_e64 s5, s[40:41], v[52:53]
	s_and_b32 s7, vcc_lo, s5
	s_delay_alu instid0(SALU_CYCLE_1)
	s_and_saveexec_b32 s6, s7
	s_cbranch_execz .LBB39_36
; %bb.35:                               ;   in Loop: Header=BB39_10 Depth=3
	global_load_b64 v[54:55], v[50:51], off offset:-128
.LBB39_36:                              ;   in Loop: Header=BB39_10 Depth=3
	s_wait_xcnt 0x0
	s_or_b32 exec_lo, exec_lo, s6
	v_cmp_gt_i64_e64 s6, s[20:21], v[52:53]
	s_wait_loadcnt 0x0
	ds_store_b64 v61, v[54:55]
	s_and_b32 s7, vcc_lo, s6
	s_delay_alu instid0(SALU_CYCLE_1) | instskip(NEXT) | instid1(SALU_CYCLE_1)
	s_xor_b32 s7, s7, -1
	s_and_saveexec_b32 s8, s7
	s_delay_alu instid0(SALU_CYCLE_1)
	s_xor_b32 s7, exec_lo, s8
; %bb.37:                               ;   in Loop: Header=BB39_10 Depth=3
	ds_store_b64 v61, v[2:3] offset:128
                                        ; implicit-def: $vgpr50_vgpr51
; %bb.38:                               ;   in Loop: Header=BB39_10 Depth=3
	s_and_not1_saveexec_b32 s7, s7
	s_cbranch_execz .LBB39_40
; %bb.39:                               ;   in Loop: Header=BB39_10 Depth=3
	global_load_b64 v[50:51], v[50:51], off
	s_wait_loadcnt 0x0
	ds_store_b64 v61, v[50:51] offset:128
.LBB39_40:                              ;   in Loop: Header=BB39_10 Depth=3
	s_wait_xcnt 0x0
	s_or_b32 exec_lo, exec_lo, s7
	v_add_nc_u64_e32 v[50:51], v[44:45], v[18:19]
	v_mov_b64_e32 v[52:53], 0
	s_and_b32 s7, s4, s5
	s_delay_alu instid0(SALU_CYCLE_1)
	s_and_saveexec_b32 s5, s7
	s_cbranch_execz .LBB39_42
; %bb.41:                               ;   in Loop: Header=BB39_10 Depth=3
	global_load_b64 v[52:53], v[50:51], off offset:-128
.LBB39_42:                              ;   in Loop: Header=BB39_10 Depth=3
	s_wait_xcnt 0x0
	s_or_b32 exec_lo, exec_lo, s5
	s_and_b32 s5, s4, s6
	s_wait_loadcnt 0x0
	ds_store_b64 v61, v[52:53] offset:4096
	s_xor_b32 s5, s5, -1
	s_delay_alu instid0(SALU_CYCLE_1) | instskip(NEXT) | instid1(SALU_CYCLE_1)
	s_and_saveexec_b32 s6, s5
	s_xor_b32 s5, exec_lo, s6
; %bb.43:                               ;   in Loop: Header=BB39_10 Depth=3
	ds_store_b64 v61, v[2:3] offset:4224
                                        ; implicit-def: $vgpr50_vgpr51
; %bb.44:                               ;   in Loop: Header=BB39_10 Depth=3
	s_and_not1_saveexec_b32 s5, s5
	s_cbranch_execz .LBB39_9
; %bb.45:                               ;   in Loop: Header=BB39_10 Depth=3
	global_load_b64 v[50:51], v[50:51], off
	s_wait_loadcnt 0x0
	ds_store_b64 v61, v[50:51] offset:4224
	s_branch .LBB39_9
.LBB39_46:                              ;   in Loop: Header=BB39_7 Depth=2
	v_mov_b64_e32 v[40:41], 0
	v_mov_b64_e32 v[38:39], 0
	;; [unrolled: 1-line block ×4, first 2 shown]
.LBB39_47:                              ;   in Loop: Header=BB39_7 Depth=2
	v_mul_u64_e32 v[42:43], s[24:25], v[32:33]
	v_cmp_gt_i32_e32 vcc_lo, s30, v32
	s_and_b32 s5, s1, vcc_lo
	s_delay_alu instid0(VALU_DEP_2)
	v_lshl_add_u64 v[42:43], v[42:43], 3, s[46:47]
	s_and_saveexec_b32 s4, s5
	s_cbranch_execz .LBB39_49
; %bb.48:                               ;   in Loop: Header=BB39_7 Depth=2
	s_delay_alu instid0(VALU_DEP_1)
	v_lshl_add_u64 v[44:45], v[8:9], 3, v[42:43]
	global_load_b64 v[46:47], v[44:45], off
	s_wait_loadcnt 0x0
	v_fmac_f64_e32 v[46:47], s[36:37], v[40:41]
	global_store_b64 v[44:45], v[46:47], off
.LBB39_49:                              ;   in Loop: Header=BB39_7 Depth=2
	s_wait_xcnt 0x0
	s_or_b32 exec_lo, exec_lo, s4
	s_and_b32 s5, s2, vcc_lo
	s_delay_alu instid0(SALU_CYCLE_1)
	s_and_saveexec_b32 s4, s5
	s_cbranch_execz .LBB39_51
; %bb.50:                               ;   in Loop: Header=BB39_7 Depth=2
	v_lshl_add_u64 v[40:41], v[12:13], 3, v[42:43]
	global_load_b64 v[42:43], v[40:41], off
	s_wait_loadcnt 0x0
	v_fmac_f64_e32 v[42:43], s[36:37], v[38:39]
	global_store_b64 v[40:41], v[42:43], off
.LBB39_51:                              ;   in Loop: Header=BB39_7 Depth=2
	s_wait_xcnt 0x0
	s_or_b32 exec_lo, exec_lo, s4
	v_add_nc_u32_e32 v32, 16, v32
	s_delay_alu instid0(VALU_DEP_1) | instskip(SKIP_1) | instid1(VALU_DEP_2)
	v_ashrrev_i32_e32 v33, 31, v32
	v_cmp_gt_i32_e32 vcc_lo, s30, v32
	v_mul_u64_e32 v[38:39], s[24:25], v[32:33]
	s_and_b32 s5, s1, vcc_lo
	s_delay_alu instid0(VALU_DEP_1)
	v_lshl_add_u64 v[32:33], v[38:39], 3, s[46:47]
	s_and_saveexec_b32 s4, s5
	s_cbranch_execz .LBB39_53
; %bb.52:                               ;   in Loop: Header=BB39_7 Depth=2
	s_delay_alu instid0(VALU_DEP_1)
	v_lshl_add_u64 v[38:39], v[8:9], 3, v[32:33]
	global_load_b64 v[40:41], v[38:39], off
	s_wait_loadcnt 0x0
	v_fmac_f64_e32 v[40:41], s[36:37], v[36:37]
	global_store_b64 v[38:39], v[40:41], off
.LBB39_53:                              ;   in Loop: Header=BB39_7 Depth=2
	s_wait_xcnt 0x0
	s_or_b32 exec_lo, exec_lo, s4
	s_and_b32 s5, s2, vcc_lo
	s_delay_alu instid0(SALU_CYCLE_1)
	s_and_saveexec_b32 s4, s5
	s_cbranch_execz .LBB39_6
; %bb.54:                               ;   in Loop: Header=BB39_7 Depth=2
	v_lshl_add_u64 v[32:33], v[12:13], 3, v[32:33]
	global_load_b64 v[36:37], v[32:33], off
	s_wait_loadcnt 0x0
	v_fmac_f64_e32 v[36:37], s[36:37], v[34:35]
	global_store_b64 v[32:33], v[36:37], off
	s_branch .LBB39_6
.LBB39_55:
	s_sendmsg sendmsg(MSG_DEALLOC_VGPRS)
	s_endpgm
	.section	.rodata,"a",@progbits
	.p2align	6, 0x0
	.amdhsa_kernel _ZL30rocblas_trmm_outofplace_kernelIdLi32ELi2ELb1ELb1ELb0ELb0EdKddEv17rocblas_diagonal_iiT6_lPT7_lllS4_lllPT8_llli
		.amdhsa_group_segment_fixed_size 16384
		.amdhsa_private_segment_fixed_size 0
		.amdhsa_kernarg_size 392
		.amdhsa_user_sgpr_count 2
		.amdhsa_user_sgpr_dispatch_ptr 0
		.amdhsa_user_sgpr_queue_ptr 0
		.amdhsa_user_sgpr_kernarg_segment_ptr 1
		.amdhsa_user_sgpr_dispatch_id 0
		.amdhsa_user_sgpr_kernarg_preload_length 0
		.amdhsa_user_sgpr_kernarg_preload_offset 0
		.amdhsa_user_sgpr_private_segment_size 0
		.amdhsa_wavefront_size32 1
		.amdhsa_uses_dynamic_stack 0
		.amdhsa_enable_private_segment 0
		.amdhsa_system_sgpr_workgroup_id_x 1
		.amdhsa_system_sgpr_workgroup_id_y 1
		.amdhsa_system_sgpr_workgroup_id_z 1
		.amdhsa_system_sgpr_workgroup_info 0
		.amdhsa_system_vgpr_workitem_id 1
		.amdhsa_next_free_vgpr 82
		.amdhsa_next_free_sgpr 59
		.amdhsa_named_barrier_count 0
		.amdhsa_reserve_vcc 1
		.amdhsa_float_round_mode_32 0
		.amdhsa_float_round_mode_16_64 0
		.amdhsa_float_denorm_mode_32 3
		.amdhsa_float_denorm_mode_16_64 3
		.amdhsa_fp16_overflow 0
		.amdhsa_memory_ordered 1
		.amdhsa_forward_progress 1
		.amdhsa_inst_pref_size 26
		.amdhsa_round_robin_scheduling 0
		.amdhsa_exception_fp_ieee_invalid_op 0
		.amdhsa_exception_fp_denorm_src 0
		.amdhsa_exception_fp_ieee_div_zero 0
		.amdhsa_exception_fp_ieee_overflow 0
		.amdhsa_exception_fp_ieee_underflow 0
		.amdhsa_exception_fp_ieee_inexact 0
		.amdhsa_exception_int_div_zero 0
	.end_amdhsa_kernel
	.section	.text._ZL30rocblas_trmm_outofplace_kernelIdLi32ELi2ELb1ELb1ELb0ELb0EdKddEv17rocblas_diagonal_iiT6_lPT7_lllS4_lllPT8_llli,"axG",@progbits,_ZL30rocblas_trmm_outofplace_kernelIdLi32ELi2ELb1ELb1ELb0ELb0EdKddEv17rocblas_diagonal_iiT6_lPT7_lllS4_lllPT8_llli,comdat
.Lfunc_end39:
	.size	_ZL30rocblas_trmm_outofplace_kernelIdLi32ELi2ELb1ELb1ELb0ELb0EdKddEv17rocblas_diagonal_iiT6_lPT7_lllS4_lllPT8_llli, .Lfunc_end39-_ZL30rocblas_trmm_outofplace_kernelIdLi32ELi2ELb1ELb1ELb0ELb0EdKddEv17rocblas_diagonal_iiT6_lPT7_lllS4_lllPT8_llli
                                        ; -- End function
	.set _ZL30rocblas_trmm_outofplace_kernelIdLi32ELi2ELb1ELb1ELb0ELb0EdKddEv17rocblas_diagonal_iiT6_lPT7_lllS4_lllPT8_llli.num_vgpr, 82
	.set _ZL30rocblas_trmm_outofplace_kernelIdLi32ELi2ELb1ELb1ELb0ELb0EdKddEv17rocblas_diagonal_iiT6_lPT7_lllS4_lllPT8_llli.num_agpr, 0
	.set _ZL30rocblas_trmm_outofplace_kernelIdLi32ELi2ELb1ELb1ELb0ELb0EdKddEv17rocblas_diagonal_iiT6_lPT7_lllS4_lllPT8_llli.numbered_sgpr, 59
	.set _ZL30rocblas_trmm_outofplace_kernelIdLi32ELi2ELb1ELb1ELb0ELb0EdKddEv17rocblas_diagonal_iiT6_lPT7_lllS4_lllPT8_llli.num_named_barrier, 0
	.set _ZL30rocblas_trmm_outofplace_kernelIdLi32ELi2ELb1ELb1ELb0ELb0EdKddEv17rocblas_diagonal_iiT6_lPT7_lllS4_lllPT8_llli.private_seg_size, 0
	.set _ZL30rocblas_trmm_outofplace_kernelIdLi32ELi2ELb1ELb1ELb0ELb0EdKddEv17rocblas_diagonal_iiT6_lPT7_lllS4_lllPT8_llli.uses_vcc, 1
	.set _ZL30rocblas_trmm_outofplace_kernelIdLi32ELi2ELb1ELb1ELb0ELb0EdKddEv17rocblas_diagonal_iiT6_lPT7_lllS4_lllPT8_llli.uses_flat_scratch, 0
	.set _ZL30rocblas_trmm_outofplace_kernelIdLi32ELi2ELb1ELb1ELb0ELb0EdKddEv17rocblas_diagonal_iiT6_lPT7_lllS4_lllPT8_llli.has_dyn_sized_stack, 0
	.set _ZL30rocblas_trmm_outofplace_kernelIdLi32ELi2ELb1ELb1ELb0ELb0EdKddEv17rocblas_diagonal_iiT6_lPT7_lllS4_lllPT8_llli.has_recursion, 0
	.set _ZL30rocblas_trmm_outofplace_kernelIdLi32ELi2ELb1ELb1ELb0ELb0EdKddEv17rocblas_diagonal_iiT6_lPT7_lllS4_lllPT8_llli.has_indirect_call, 0
	.section	.AMDGPU.csdata,"",@progbits
; Kernel info:
; codeLenInByte = 3224
; TotalNumSgprs: 61
; NumVgprs: 82
; ScratchSize: 0
; MemoryBound: 0
; FloatMode: 240
; IeeeMode: 1
; LDSByteSize: 16384 bytes/workgroup (compile time only)
; SGPRBlocks: 0
; VGPRBlocks: 5
; NumSGPRsForWavesPerEU: 61
; NumVGPRsForWavesPerEU: 82
; NamedBarCnt: 0
; Occupancy: 10
; WaveLimiterHint : 0
; COMPUTE_PGM_RSRC2:SCRATCH_EN: 0
; COMPUTE_PGM_RSRC2:USER_SGPR: 2
; COMPUTE_PGM_RSRC2:TRAP_HANDLER: 0
; COMPUTE_PGM_RSRC2:TGID_X_EN: 1
; COMPUTE_PGM_RSRC2:TGID_Y_EN: 1
; COMPUTE_PGM_RSRC2:TGID_Z_EN: 1
; COMPUTE_PGM_RSRC2:TIDIG_COMP_CNT: 1
	.section	.text._ZL30rocblas_trmm_outofplace_kernelIdLi32ELi2ELb1ELb0ELb1ELb0EPKdS0_dEv17rocblas_diagonal_iiT6_lPT7_lllS5_lllPT8_llli,"axG",@progbits,_ZL30rocblas_trmm_outofplace_kernelIdLi32ELi2ELb1ELb0ELb1ELb0EPKdS0_dEv17rocblas_diagonal_iiT6_lPT7_lllS5_lllPT8_llli,comdat
	.globl	_ZL30rocblas_trmm_outofplace_kernelIdLi32ELi2ELb1ELb0ELb1ELb0EPKdS0_dEv17rocblas_diagonal_iiT6_lPT7_lllS5_lllPT8_llli ; -- Begin function _ZL30rocblas_trmm_outofplace_kernelIdLi32ELi2ELb1ELb0ELb1ELb0EPKdS0_dEv17rocblas_diagonal_iiT6_lPT7_lllS5_lllPT8_llli
	.p2align	8
	.type	_ZL30rocblas_trmm_outofplace_kernelIdLi32ELi2ELb1ELb0ELb1ELb0EPKdS0_dEv17rocblas_diagonal_iiT6_lPT7_lllS5_lllPT8_llli,@function
_ZL30rocblas_trmm_outofplace_kernelIdLi32ELi2ELb1ELb0ELb1ELb0EPKdS0_dEv17rocblas_diagonal_iiT6_lPT7_lllS5_lllPT8_llli: ; @_ZL30rocblas_trmm_outofplace_kernelIdLi32ELi2ELb1ELb0ELb1ELb0EPKdS0_dEv17rocblas_diagonal_iiT6_lPT7_lllS5_lllPT8_llli
; %bb.0:
	s_load_b32 s11, s[0:1], 0x80
	s_bfe_u32 s2, ttmp6, 0x40014
	s_lshr_b32 s3, ttmp7, 16
	s_add_co_i32 s2, s2, 1
	s_bfe_u32 s5, ttmp6, 0x40008
	s_mul_i32 s4, s3, s2
	s_getreg_b32 s2, hwreg(HW_REG_IB_STS2, 6, 4)
	s_add_co_i32 s5, s5, s4
	s_cmp_eq_u32 s2, 0
	s_mov_b32 s35, 0
	s_cselect_b32 s34, s3, s5
	s_wait_kmcnt 0x0
	s_cmp_ge_u32 s34, s11
	s_cbranch_scc1 .LBB40_56
; %bb.1:
	s_clause 0x1
	s_load_b96 s[8:10], s[0:1], 0x0
	s_load_b256 s[36:43], s[0:1], 0x50
	s_bfe_u32 s4, ttmp6, 0x4000c
	s_and_b32 s3, ttmp6, 15
	s_add_co_i32 s4, s4, 1
	s_bfe_u32 s5, ttmp6, 0x40010
	s_mul_i32 s4, ttmp9, s4
	s_and_b32 s6, ttmp7, 0xffff
	s_add_co_i32 s5, s5, 1
	s_add_co_i32 s3, s3, s4
	s_bfe_u32 s7, ttmp6, 0x40004
	s_mul_i32 s5, s6, s5
	v_and_b32_e32 v1, 0x3ff, v0
	s_add_co_i32 s7, s7, s5
	v_bfe_u32 v58, v0, 10, 10
	s_load_b128 s[28:31], s[0:1], 0x70
	v_mov_b64_e32 v[4:5], 0
	v_mov_b64_e32 v[6:7], 1.0
	s_delay_alu instid0(VALU_DEP_3)
	v_dual_lshlrev_b32 v59, 3, v1 :: v_dual_lshlrev_b32 v8, 8, v58
	s_wait_kmcnt 0x0
	s_add_co_i32 s12, s10, -1
	v_mov_b32_e32 v0, 0
	s_ashr_i32 s13, s12, 31
	s_mov_b32 s44, s10
	s_lshr_b32 s4, s13, 27
	v_add_nc_u32_e32 v60, 0x2000, v8
	s_add_co_i32 s12, s12, s4
	s_lshl_b64 s[4:5], s[42:43], 3
	s_ashr_i32 s33, s12, 5
	s_cmp_eq_u32 s2, 0
	s_load_b512 s[12:27], s[0:1], 0x10
	s_cselect_b32 s48, s6, s7
	s_cselect_b32 s2, ttmp9, s3
	s_cmp_le_i32 s48, s33
	s_add_nc_u64 s[40:41], s[40:41], s[4:5]
	s_cselect_b32 s49, -1, 0
	s_lshl_b32 s6, s2, 5
	s_mov_b32 s42, s9
	v_add_nc_u32_e32 v2, s6, v1
	s_sub_co_i32 s50, s9, s6
	v_lshl_add_u32 v63, s48, 5, v58
	s_cmp_gt_i32 s50, 0
	s_delay_alu instid0(VALU_DEP_2) | instskip(SKIP_3) | instid1(VALU_DEP_2)
	v_dual_add_nc_u32 v61, v59, v8 :: v_dual_ashrrev_i32 v3, 31, v2
	s_cselect_b32 s51, -1, 0
	s_cmp_eq_u32 s8, 0x84
	v_dual_add_nc_u32 v62, v60, v59 :: v_dual_add_nc_u32 v8, s6, v58
	v_lshlrev_b64_e32 v[16:17], 3, v[2:3]
	s_cselect_b32 s52, -1, 0
	s_wait_kmcnt 0x0
	v_mul_u64_e32 v[12:13], s[20:21], v[2:3]
	s_lshl_b64 s[2:3], s[18:19], 3
	v_ashrrev_i32_e32 v9, 31, v8
	s_lshl_b64 s[4:5], s[26:27], 3
	s_ashr_i32 s43, s9, 31
	v_add_nc_u64_e32 v[10:11], 0x80, v[16:17]
	s_add_nc_u64 s[4:5], s[24:25], s[4:5]
	s_add_nc_u64 s[18:19], s[0:1], 0x88
	v_add_nc_u64_e32 v[24:25], s[4:5], v[16:17]
	v_cmp_le_i32_e64 s0, s9, v2
	v_cmp_gt_i32_e64 s1, s9, v2
	v_add_nc_u32_e32 v64, 0x800, v59
	v_mad_nc_u64_u32 v[18:19], s20, v10, s[2:3]
	v_add_nc_u32_e32 v65, 0x1000, v59
	v_add_nc_u32_e32 v66, 0x1800, v59
	s_ashr_i32 s45, s10, 31
	s_lshl_b64 s[24:25], s[36:37], 3
	s_lshl_b64 s[22:23], s[22:23], 3
	s_delay_alu instid0(VALU_DEP_3)
	v_mad_u32 v1, s21, v10, v19
	v_add_nc_u32_e32 v10, 16, v2
	v_lshlrev_b64_e32 v[20:21], 3, v[8:9]
	v_sub_nc_u64_e32 v[14:15], v[2:3], v[8:9]
	v_lshl_add_u64 v[22:23], v[12:13], 3, s[2:3]
	v_add_nc_u64_e32 v[12:13], 16, v[2:3]
	v_mad_u32 v19, s20, v11, v1
	s_delay_alu instid0(VALU_DEP_4)
	v_add_nc_u64_e32 v[16:17], 16, v[14:15]
	v_cmp_gt_i32_e64 s2, s9, v10
	v_add_nc_u64_e32 v[22:23], v[22:23], v[20:21]
	v_ashrrev_i32_e32 v11, 31, v10
	s_add_nc_u64 s[20:21], s[42:43], -16
	v_cmp_le_i64_e64 s3, s[42:43], v[12:13]
	s_delay_alu instid0(VALU_DEP_3) | instskip(SKIP_3) | instid1(VALU_DEP_3)
	v_add_nc_u64_e32 v[22:23], s[16:17], v[22:23]
	v_add_nc_u64_e32 v[26:27], v[18:19], v[20:21]
	v_add_nc_u64_e32 v[18:19], -16, v[14:15]
	v_add_nc_u64_e32 v[20:21], 0x80, v[24:25]
	v_add_nc_u64_e32 v[24:25], s[16:17], v[26:27]
	s_lshl_b64 s[16:17], s[38:39], 3
	s_branch .LBB40_4
.LBB40_2:                               ;   in Loop: Header=BB40_4 Depth=1
	s_add_co_i32 s34, s34, 0x10000
	s_delay_alu instid0(SALU_CYCLE_1)
	s_cmp_ge_u32 s34, s11
	s_cselect_b32 s4, -1, 0
.LBB40_3:                               ;   in Loop: Header=BB40_4 Depth=1
	s_delay_alu instid0(SALU_CYCLE_1)
	s_and_b32 vcc_lo, exec_lo, s4
	s_cbranch_vccnz .LBB40_56
.LBB40_4:                               ; =>This Loop Header: Depth=1
                                        ;     Child Loop BB40_8 Depth 2
                                        ;       Child Loop BB40_11 Depth 3
	s_mul_u64 s[4:5], s[14:15], s[34:35]
	s_delay_alu instid0(SALU_CYCLE_1) | instskip(NEXT) | instid1(SALU_CYCLE_1)
	s_lshl_b64 s[4:5], s[4:5], 3
	s_add_nc_u64 s[4:5], s[12:13], s[4:5]
	global_load_b64 v[26:27], v0, s[4:5]
	s_wait_xcnt 0x0
	s_mov_b32 s4, -1
	s_wait_loadcnt 0x0
	v_cmp_eq_f64_e32 vcc_lo, 0, v[26:27]
	s_cbranch_vccnz .LBB40_3
; %bb.5:                                ;   in Loop: Header=BB40_4 Depth=1
	s_and_not1_b32 vcc_lo, exec_lo, s49
	s_cbranch_vccnz .LBB40_2
; %bb.6:                                ;   in Loop: Header=BB40_4 Depth=1
	s_load_b32 s9, s[18:19], 0x4
	v_mad_nc_u64_u32 v[28:29], s16, s34, v[20:21]
	v_mad_nc_u64_u32 v[30:31], s22, s34, v[24:25]
	;; [unrolled: 1-line block ×3, first 2 shown]
	s_mul_i32 s6, s23, s34
	s_mul_u64 s[4:5], s[30:31], s[34:35]
	v_mov_b32_e32 v34, v63
	s_lshl_b64 s[4:5], s[4:5], 3
	s_mov_b32 s54, s48
	s_add_nc_u64 s[26:27], s[40:41], s[4:5]
	s_delay_alu instid0(VALU_DEP_4) | instskip(NEXT) | instid1(VALU_DEP_3)
	v_mad_u32 v29, s17, s34, v29
	v_dual_add_nc_u32 v31, s6, v31 :: v_dual_add_nc_u32 v33, s6, v33
	s_wait_kmcnt 0x0
	s_lshl_b32 s53, s9, 5
	s_branch .LBB40_8
.LBB40_7:                               ;   in Loop: Header=BB40_8 Depth=2
	s_wait_xcnt 0x0
	s_or_b32 exec_lo, exec_lo, s4
	v_add_nc_u32_e32 v34, s53, v34
	s_add_co_i32 s54, s9, s54
	s_delay_alu instid0(SALU_CYCLE_1)
	s_cmp_gt_i32 s54, s33
	s_cbranch_scc1 .LBB40_2
.LBB40_8:                               ;   Parent Loop BB40_4 Depth=1
                                        ; =>  This Loop Header: Depth=2
                                        ;       Child Loop BB40_11 Depth 3
	v_lshl_add_u32 v36, s54, 5, v58
	s_and_not1_b32 vcc_lo, exec_lo, s51
	s_delay_alu instid0(VALU_DEP_1)
	v_ashrrev_i32_e32 v37, 31, v36
	s_cbranch_vccnz .LBB40_47
; %bb.9:                                ;   in Loop: Header=BB40_8 Depth=2
	v_ashrrev_i32_e32 v35, 31, v34
	v_mad_nc_u64_u32 v[46:47], s24, v34, v[28:29]
	s_delay_alu instid0(VALU_DEP_3)
	v_sub_nc_u64_e32 v[40:41], s[44:45], v[36:37]
	v_mov_b64_e32 v[42:43], 0
	v_mov_b64_e32 v[44:45], 0
	v_lshl_add_u64 v[38:39], v[34:35], 3, 0x80
	s_mov_b64 s[38:39], 0
	s_mov_b64 s[46:47], 0
	s_delay_alu instid0(VALU_DEP_4) | instskip(NEXT) | instid1(VALU_DEP_2)
	v_cmp_lt_i64_e32 vcc_lo, 0, v[40:41]
	v_mad_nc_u64_u32 v[48:49], s36, v38, v[28:29]
	v_cmp_lt_i64_e64 s4, 16, v[40:41]
	v_mad_u32 v1, s25, v34, v47
	v_mov_b64_e32 v[40:41], 0
	s_delay_alu instid0(VALU_DEP_4) | instskip(NEXT) | instid1(VALU_DEP_3)
	v_mad_u32 v38, s37, v38, v49
	v_mad_u32 v47, s24, v35, v1
	s_delay_alu instid0(VALU_DEP_2)
	v_mad_u32 v49, s36, v39, v38
	v_mov_b64_e32 v[38:39], 0
	s_branch .LBB40_11
.LBB40_10:                              ;   in Loop: Header=BB40_11 Depth=3
	s_wait_xcnt 0x0
	s_or_b32 exec_lo, exec_lo, s5
	s_wait_dscnt 0x0
	s_barrier_signal -1
	s_barrier_wait -1
	ds_load_b128 v[50:53], v60
	ds_load_2addr_b64 v[54:57], v59 offset1:16
	ds_load_b128 v[68:71], v60 offset:4096
	ds_load_b128 v[72:75], v60 offset:16
	;; [unrolled: 1-line block ×3, first 2 shown]
	s_add_nc_u64 s[46:47], s[46:47], 32
	s_add_nc_u64 s[38:39], s[38:39], 0x100
	s_cmp_ge_i32 s46, s50
	s_wait_dscnt 0x3
	v_fmac_f64_e32 v[44:45], v[54:55], v[50:51]
	v_fmac_f64_e32 v[42:43], v[56:57], v[50:51]
	s_wait_dscnt 0x2
	v_fmac_f64_e32 v[40:41], v[54:55], v[68:69]
	v_fmac_f64_e32 v[38:39], v[56:57], v[68:69]
	ds_load_2addr_b64 v[54:57], v59 offset0:32 offset1:48
	s_wait_dscnt 0x0
	v_fmac_f64_e32 v[44:45], v[54:55], v[52:53]
	v_fmac_f64_e32 v[42:43], v[56:57], v[52:53]
	v_fmac_f64_e32 v[40:41], v[54:55], v[70:71]
	v_fmac_f64_e32 v[38:39], v[56:57], v[70:71]
	ds_load_2addr_b64 v[50:53], v59 offset0:64 offset1:80
	s_wait_dscnt 0x0
	v_fmac_f64_e32 v[44:45], v[50:51], v[72:73]
	v_fmac_f64_e32 v[42:43], v[52:53], v[72:73]
	v_fmac_f64_e32 v[40:41], v[50:51], v[76:77]
	v_fmac_f64_e32 v[38:39], v[52:53], v[76:77]
	ds_load_2addr_b64 v[50:53], v59 offset0:96 offset1:112
	s_wait_dscnt 0x0
	v_fmac_f64_e32 v[44:45], v[50:51], v[74:75]
	v_fmac_f64_e32 v[42:43], v[52:53], v[74:75]
	v_fmac_f64_e32 v[40:41], v[50:51], v[78:79]
	v_fmac_f64_e32 v[38:39], v[52:53], v[78:79]
	ds_load_b128 v[50:53], v60 offset:32
	ds_load_2addr_b64 v[54:57], v59 offset0:128 offset1:144
	ds_load_b128 v[68:71], v60 offset:4128
	ds_load_b128 v[72:75], v60 offset:48
	ds_load_b128 v[76:79], v60 offset:4144
	s_wait_dscnt 0x3
	v_fmac_f64_e32 v[44:45], v[54:55], v[50:51]
	v_fmac_f64_e32 v[42:43], v[56:57], v[50:51]
	s_wait_dscnt 0x2
	v_fmac_f64_e32 v[40:41], v[54:55], v[68:69]
	v_fmac_f64_e32 v[38:39], v[56:57], v[68:69]
	ds_load_2addr_b64 v[54:57], v59 offset0:160 offset1:176
	s_wait_dscnt 0x0
	v_fmac_f64_e32 v[44:45], v[54:55], v[52:53]
	v_fmac_f64_e32 v[42:43], v[56:57], v[52:53]
	v_fmac_f64_e32 v[40:41], v[54:55], v[70:71]
	v_fmac_f64_e32 v[38:39], v[56:57], v[70:71]
	ds_load_2addr_b64 v[50:53], v59 offset0:192 offset1:208
	s_wait_dscnt 0x0
	v_fmac_f64_e32 v[44:45], v[50:51], v[72:73]
	v_fmac_f64_e32 v[42:43], v[52:53], v[72:73]
	v_fmac_f64_e32 v[40:41], v[50:51], v[76:77]
	v_fmac_f64_e32 v[38:39], v[52:53], v[76:77]
	ds_load_2addr_b64 v[50:53], v59 offset0:224 offset1:240
	s_wait_dscnt 0x0
	v_fmac_f64_e32 v[44:45], v[50:51], v[74:75]
	v_fmac_f64_e32 v[42:43], v[52:53], v[74:75]
	v_fmac_f64_e32 v[40:41], v[50:51], v[78:79]
	v_fmac_f64_e32 v[38:39], v[52:53], v[78:79]
	ds_load_b128 v[50:53], v60 offset:64
	ds_load_2addr_b64 v[54:57], v64 offset1:16
	ds_load_b128 v[68:71], v60 offset:4160
	ds_load_b128 v[72:75], v60 offset:80
	ds_load_b128 v[76:79], v60 offset:4176
	s_wait_dscnt 0x3
	v_fmac_f64_e32 v[44:45], v[54:55], v[50:51]
	v_fmac_f64_e32 v[42:43], v[56:57], v[50:51]
	s_wait_dscnt 0x2
	v_fmac_f64_e32 v[40:41], v[54:55], v[68:69]
	v_fmac_f64_e32 v[38:39], v[56:57], v[68:69]
	ds_load_2addr_b64 v[54:57], v64 offset0:32 offset1:48
	s_wait_dscnt 0x0
	v_fmac_f64_e32 v[44:45], v[54:55], v[52:53]
	v_fmac_f64_e32 v[42:43], v[56:57], v[52:53]
	v_fmac_f64_e32 v[40:41], v[54:55], v[70:71]
	v_fmac_f64_e32 v[38:39], v[56:57], v[70:71]
	ds_load_2addr_b64 v[50:53], v64 offset0:64 offset1:80
	s_wait_dscnt 0x0
	v_fmac_f64_e32 v[44:45], v[50:51], v[72:73]
	v_fmac_f64_e32 v[42:43], v[52:53], v[72:73]
	v_fmac_f64_e32 v[40:41], v[50:51], v[76:77]
	v_fmac_f64_e32 v[38:39], v[52:53], v[76:77]
	ds_load_2addr_b64 v[50:53], v64 offset0:96 offset1:112
	s_wait_dscnt 0x0
	v_fmac_f64_e32 v[44:45], v[50:51], v[74:75]
	v_fmac_f64_e32 v[42:43], v[52:53], v[74:75]
	v_fmac_f64_e32 v[40:41], v[50:51], v[78:79]
	v_fmac_f64_e32 v[38:39], v[52:53], v[78:79]
	ds_load_b128 v[50:53], v60 offset:96
	ds_load_2addr_b64 v[54:57], v64 offset0:128 offset1:144
	ds_load_b128 v[68:71], v60 offset:4192
	ds_load_b128 v[72:75], v60 offset:112
	ds_load_b128 v[76:79], v60 offset:4208
	s_wait_dscnt 0x3
	v_fmac_f64_e32 v[44:45], v[54:55], v[50:51]
	v_fmac_f64_e32 v[42:43], v[56:57], v[50:51]
	s_wait_dscnt 0x2
	v_fmac_f64_e32 v[40:41], v[54:55], v[68:69]
	v_fmac_f64_e32 v[38:39], v[56:57], v[68:69]
	ds_load_2addr_b64 v[54:57], v64 offset0:160 offset1:176
	s_wait_dscnt 0x0
	v_fmac_f64_e32 v[44:45], v[54:55], v[52:53]
	v_fmac_f64_e32 v[42:43], v[56:57], v[52:53]
	v_fmac_f64_e32 v[40:41], v[54:55], v[70:71]
	v_fmac_f64_e32 v[38:39], v[56:57], v[70:71]
	ds_load_2addr_b64 v[50:53], v64 offset0:192 offset1:208
	s_wait_dscnt 0x0
	v_fmac_f64_e32 v[44:45], v[50:51], v[72:73]
	v_fmac_f64_e32 v[42:43], v[52:53], v[72:73]
	v_fmac_f64_e32 v[40:41], v[50:51], v[76:77]
	v_fmac_f64_e32 v[38:39], v[52:53], v[76:77]
	ds_load_2addr_b64 v[50:53], v64 offset0:224 offset1:240
	s_wait_dscnt 0x0
	v_fmac_f64_e32 v[44:45], v[50:51], v[74:75]
	v_fmac_f64_e32 v[42:43], v[52:53], v[74:75]
	v_fmac_f64_e32 v[40:41], v[50:51], v[78:79]
	v_fmac_f64_e32 v[38:39], v[52:53], v[78:79]
	ds_load_b128 v[50:53], v60 offset:128
	ds_load_2addr_b64 v[54:57], v65 offset1:16
	ds_load_b128 v[68:71], v60 offset:4224
	ds_load_b128 v[72:75], v60 offset:144
	ds_load_b128 v[76:79], v60 offset:4240
	;; [unrolled: 58-line block ×3, first 2 shown]
	s_wait_dscnt 0x3
	v_fmac_f64_e32 v[44:45], v[54:55], v[50:51]
	v_fmac_f64_e32 v[42:43], v[56:57], v[50:51]
	s_wait_dscnt 0x2
	v_fmac_f64_e32 v[40:41], v[54:55], v[68:69]
	v_fmac_f64_e32 v[38:39], v[56:57], v[68:69]
	ds_load_2addr_b64 v[54:57], v66 offset0:32 offset1:48
	s_wait_dscnt 0x0
	v_fmac_f64_e32 v[44:45], v[54:55], v[52:53]
	v_fmac_f64_e32 v[42:43], v[56:57], v[52:53]
	v_fmac_f64_e32 v[40:41], v[54:55], v[70:71]
	v_fmac_f64_e32 v[38:39], v[56:57], v[70:71]
	ds_load_2addr_b64 v[50:53], v66 offset0:64 offset1:80
	s_wait_dscnt 0x0
	v_fmac_f64_e32 v[44:45], v[50:51], v[72:73]
	v_fmac_f64_e32 v[42:43], v[52:53], v[72:73]
	;; [unrolled: 6-line block ×3, first 2 shown]
	v_fmac_f64_e32 v[40:41], v[50:51], v[78:79]
	v_fmac_f64_e32 v[38:39], v[52:53], v[78:79]
	ds_load_b128 v[50:53], v60 offset:224
	ds_load_2addr_b64 v[54:57], v66 offset0:128 offset1:144
	ds_load_b128 v[68:71], v60 offset:4320
	ds_load_b128 v[72:75], v60 offset:240
	;; [unrolled: 1-line block ×3, first 2 shown]
	s_wait_dscnt 0x3
	v_fmac_f64_e32 v[44:45], v[54:55], v[50:51]
	v_fmac_f64_e32 v[42:43], v[56:57], v[50:51]
	s_wait_dscnt 0x2
	v_fmac_f64_e32 v[40:41], v[54:55], v[68:69]
	v_fmac_f64_e32 v[38:39], v[56:57], v[68:69]
	ds_load_2addr_b64 v[54:57], v66 offset0:160 offset1:176
	s_wait_dscnt 0x0
	v_fmac_f64_e32 v[44:45], v[54:55], v[52:53]
	v_fmac_f64_e32 v[42:43], v[56:57], v[52:53]
	;; [unrolled: 1-line block ×4, first 2 shown]
	ds_load_2addr_b64 v[50:53], v66 offset0:192 offset1:208
	s_wait_dscnt 0x0
	v_fmac_f64_e32 v[44:45], v[50:51], v[72:73]
	v_fmac_f64_e32 v[42:43], v[52:53], v[72:73]
	;; [unrolled: 1-line block ×4, first 2 shown]
	ds_load_2addr_b64 v[50:53], v66 offset0:224 offset1:240
	s_wait_dscnt 0x0
	s_barrier_signal -1
	s_barrier_wait -1
	v_fmac_f64_e32 v[44:45], v[50:51], v[74:75]
	v_fmac_f64_e32 v[42:43], v[52:53], v[74:75]
	;; [unrolled: 1-line block ×4, first 2 shown]
	s_cbranch_scc1 .LBB40_48
.LBB40_11:                              ;   Parent Loop BB40_4 Depth=1
                                        ;     Parent Loop BB40_8 Depth=2
                                        ; =>    This Inner Loop Header: Depth=3
	v_add_nc_u64_e32 v[54:55], s[46:47], v[8:9]
	v_cmp_eq_u64_e64 s7, s[46:47], v[14:15]
	v_add_nc_u64_e32 v[50:51], s[38:39], v[32:33]
                                        ; implicit-def: $vgpr56_vgpr57
	s_delay_alu instid0(VALU_DEP_3) | instskip(SKIP_3) | instid1(SALU_CYCLE_1)
	v_cmp_le_i64_e64 s6, s[42:43], v[54:55]
	v_cmp_lt_i64_e64 s5, v[54:55], v[2:3]
	s_and_b32 s55, s52, s7
	s_or_b32 s7, s6, s5
	s_or_b32 s7, s7, s55
	s_delay_alu instid0(SALU_CYCLE_1) | instskip(NEXT) | instid1(SALU_CYCLE_1)
	s_nor_b32 s7, s0, s7
	s_and_saveexec_b32 s8, s7
	s_delay_alu instid0(SALU_CYCLE_1)
	s_xor_b32 s7, exec_lo, s8
	s_cbranch_execz .LBB40_13
; %bb.12:                               ;   in Loop: Header=BB40_11 Depth=3
	global_load_b64 v[56:57], v[50:51], off
.LBB40_13:                              ;   in Loop: Header=BB40_11 Depth=3
	s_wait_xcnt 0x0
	s_and_not1_saveexec_b32 s7, s7
	s_cbranch_execz .LBB40_15
; %bb.14:                               ;   in Loop: Header=BB40_11 Depth=3
	v_cndmask_b32_e64 v1, 0, 0x3ff00000, s55
	s_wait_loadcnt 0x0
	s_delay_alu instid0(VALU_DEP_1)
	v_mov_b64_e32 v[56:57], v[0:1]
.LBB40_15:                              ;   in Loop: Header=BB40_11 Depth=3
	s_or_b32 exec_lo, exec_lo, s7
	v_cmp_eq_u64_e64 s7, s[46:47], v[16:17]
	v_cmp_gt_i64_e64 s8, v[12:13], v[54:55]
	v_add_nc_u64_e32 v[52:53], s[38:39], v[30:31]
	s_wait_loadcnt 0x0
	ds_store_b64 v61, v[56:57]
	s_and_b32 s7, s52, s7
	s_or_b32 s6, s6, s8
	s_delay_alu instid0(SALU_CYCLE_1) | instskip(NEXT) | instid1(SALU_CYCLE_1)
	s_or_b32 s6, s6, s7
	s_nor_b32 s6, s3, s6
	s_delay_alu instid0(SALU_CYCLE_1) | instskip(NEXT) | instid1(SALU_CYCLE_1)
	s_and_saveexec_b32 s8, s6
	s_xor_b32 s6, exec_lo, s8
	s_cbranch_execz .LBB40_17
; %bb.16:                               ;   in Loop: Header=BB40_11 Depth=3
	global_load_b64 v[56:57], v[52:53], off
	s_wait_loadcnt 0x0
	ds_store_b64 v61, v[56:57] offset:128
.LBB40_17:                              ;   in Loop: Header=BB40_11 Depth=3
	s_wait_xcnt 0x0
	s_and_not1_saveexec_b32 s6, s6
	s_cbranch_execz .LBB40_23
; %bb.18:                               ;   in Loop: Header=BB40_11 Depth=3
	s_xor_b32 s7, s7, -1
	s_delay_alu instid0(SALU_CYCLE_1) | instskip(NEXT) | instid1(SALU_CYCLE_1)
	s_and_saveexec_b32 s8, s7
	s_xor_b32 s7, exec_lo, s8
; %bb.19:                               ;   in Loop: Header=BB40_11 Depth=3
	ds_store_b64 v61, v[4:5] offset:128
; %bb.20:                               ;   in Loop: Header=BB40_11 Depth=3
	s_and_not1_saveexec_b32 s7, s7
; %bb.21:                               ;   in Loop: Header=BB40_11 Depth=3
	ds_store_b64 v61, v[6:7] offset:128
; %bb.22:                               ;   in Loop: Header=BB40_11 Depth=3
	s_or_b32 exec_lo, exec_lo, s7
.LBB40_23:                              ;   in Loop: Header=BB40_11 Depth=3
	s_delay_alu instid0(SALU_CYCLE_1) | instskip(SKIP_2) | instid1(VALU_DEP_2)
	s_or_b32 exec_lo, exec_lo, s6
	v_add_nc_u64_e32 v[54:55], 16, v[54:55]
	v_cmp_eq_u64_e64 s7, s[46:47], v[18:19]
	v_cmp_le_i64_e64 s6, s[42:43], v[54:55]
	v_cmp_lt_i64_e64 s8, v[54:55], v[2:3]
	s_and_b32 s7, s52, s7
                                        ; implicit-def: $vgpr54_vgpr55
	s_or_b32 s8, s6, s8
	s_delay_alu instid0(SALU_CYCLE_1) | instskip(NEXT) | instid1(SALU_CYCLE_1)
	s_or_b32 s8, s8, s7
	s_nor_b32 s8, s0, s8
	s_delay_alu instid0(SALU_CYCLE_1) | instskip(NEXT) | instid1(SALU_CYCLE_1)
	s_and_saveexec_b32 s56, s8
	s_xor_b32 s8, exec_lo, s56
	s_cbranch_execz .LBB40_25
; %bb.24:                               ;   in Loop: Header=BB40_11 Depth=3
	global_load_b64 v[54:55], v[50:51], off offset:128
.LBB40_25:                              ;   in Loop: Header=BB40_11 Depth=3
	s_wait_xcnt 0x0
	s_and_not1_saveexec_b32 s8, s8
	s_cbranch_execz .LBB40_27
; %bb.26:                               ;   in Loop: Header=BB40_11 Depth=3
	v_cndmask_b32_e64 v1, 0, 0x3ff00000, s7
	s_wait_loadcnt 0x0
	s_delay_alu instid0(VALU_DEP_1)
	v_mov_b64_e32 v[54:55], v[0:1]
.LBB40_27:                              ;   in Loop: Header=BB40_11 Depth=3
	s_or_b32 exec_lo, exec_lo, s8
	s_or_b32 s5, s6, s5
	s_wait_loadcnt 0x0
	ds_store_b64 v61, v[54:55] offset:4096
	s_or_b32 s5, s5, s55
	s_delay_alu instid0(SALU_CYCLE_1) | instskip(NEXT) | instid1(SALU_CYCLE_1)
	s_nor_b32 s5, s3, s5
	s_and_saveexec_b32 s6, s5
	s_delay_alu instid0(SALU_CYCLE_1)
	s_xor_b32 s5, exec_lo, s6
	s_cbranch_execz .LBB40_29
; %bb.28:                               ;   in Loop: Header=BB40_11 Depth=3
	global_load_b64 v[50:51], v[52:53], off offset:128
	s_wait_loadcnt 0x0
	ds_store_b64 v61, v[50:51] offset:4224
.LBB40_29:                              ;   in Loop: Header=BB40_11 Depth=3
	s_wait_xcnt 0x0
	s_and_not1_saveexec_b32 s5, s5
	s_cbranch_execz .LBB40_35
; %bb.30:                               ;   in Loop: Header=BB40_11 Depth=3
	s_xor_b32 s6, s55, -1
	s_delay_alu instid0(SALU_CYCLE_1) | instskip(NEXT) | instid1(SALU_CYCLE_1)
	s_and_saveexec_b32 s7, s6
	s_xor_b32 s6, exec_lo, s7
; %bb.31:                               ;   in Loop: Header=BB40_11 Depth=3
	ds_store_b64 v61, v[4:5] offset:4224
; %bb.32:                               ;   in Loop: Header=BB40_11 Depth=3
	s_and_not1_saveexec_b32 s6, s6
; %bb.33:                               ;   in Loop: Header=BB40_11 Depth=3
	ds_store_b64 v61, v[6:7] offset:4224
; %bb.34:                               ;   in Loop: Header=BB40_11 Depth=3
	s_or_b32 exec_lo, exec_lo, s6
.LBB40_35:                              ;   in Loop: Header=BB40_11 Depth=3
	s_delay_alu instid0(SALU_CYCLE_1) | instskip(SKIP_3) | instid1(VALU_DEP_3)
	s_or_b32 exec_lo, exec_lo, s5
	v_add_nc_u64_e32 v[52:53], s[46:47], v[2:3]
	v_add_nc_u64_e32 v[50:51], s[38:39], v[46:47]
	v_mov_b64_e32 v[54:55], 0
	v_cmp_gt_i64_e64 s5, s[42:43], v[52:53]
	s_and_b32 s7, vcc_lo, s5
	s_delay_alu instid0(SALU_CYCLE_1)
	s_and_saveexec_b32 s6, s7
	s_cbranch_execz .LBB40_37
; %bb.36:                               ;   in Loop: Header=BB40_11 Depth=3
	global_load_b64 v[54:55], v[50:51], off offset:-128
.LBB40_37:                              ;   in Loop: Header=BB40_11 Depth=3
	s_wait_xcnt 0x0
	s_or_b32 exec_lo, exec_lo, s6
	v_cmp_gt_i64_e64 s6, s[20:21], v[52:53]
	s_wait_loadcnt 0x0
	ds_store_b64 v62, v[54:55]
	s_and_b32 s7, vcc_lo, s6
	s_delay_alu instid0(SALU_CYCLE_1) | instskip(NEXT) | instid1(SALU_CYCLE_1)
	s_xor_b32 s7, s7, -1
	s_and_saveexec_b32 s8, s7
	s_delay_alu instid0(SALU_CYCLE_1)
	s_xor_b32 s7, exec_lo, s8
; %bb.38:                               ;   in Loop: Header=BB40_11 Depth=3
	ds_store_b64 v62, v[4:5] offset:128
                                        ; implicit-def: $vgpr50_vgpr51
; %bb.39:                               ;   in Loop: Header=BB40_11 Depth=3
	s_and_not1_saveexec_b32 s7, s7
	s_cbranch_execz .LBB40_41
; %bb.40:                               ;   in Loop: Header=BB40_11 Depth=3
	global_load_b64 v[50:51], v[50:51], off
	s_wait_loadcnt 0x0
	ds_store_b64 v62, v[50:51] offset:128
.LBB40_41:                              ;   in Loop: Header=BB40_11 Depth=3
	s_wait_xcnt 0x0
	s_or_b32 exec_lo, exec_lo, s7
	v_add_nc_u64_e32 v[50:51], s[38:39], v[48:49]
	v_mov_b64_e32 v[52:53], 0
	s_and_b32 s7, s4, s5
	s_delay_alu instid0(SALU_CYCLE_1)
	s_and_saveexec_b32 s5, s7
	s_cbranch_execz .LBB40_43
; %bb.42:                               ;   in Loop: Header=BB40_11 Depth=3
	global_load_b64 v[52:53], v[50:51], off offset:-128
.LBB40_43:                              ;   in Loop: Header=BB40_11 Depth=3
	s_wait_xcnt 0x0
	s_or_b32 exec_lo, exec_lo, s5
	s_and_b32 s5, s4, s6
	s_wait_loadcnt 0x0
	ds_store_b64 v62, v[52:53] offset:4096
	s_xor_b32 s5, s5, -1
	s_delay_alu instid0(SALU_CYCLE_1) | instskip(NEXT) | instid1(SALU_CYCLE_1)
	s_and_saveexec_b32 s6, s5
	s_xor_b32 s5, exec_lo, s6
; %bb.44:                               ;   in Loop: Header=BB40_11 Depth=3
	ds_store_b64 v62, v[4:5] offset:4224
                                        ; implicit-def: $vgpr50_vgpr51
; %bb.45:                               ;   in Loop: Header=BB40_11 Depth=3
	s_and_not1_saveexec_b32 s5, s5
	s_cbranch_execz .LBB40_10
; %bb.46:                               ;   in Loop: Header=BB40_11 Depth=3
	global_load_b64 v[50:51], v[50:51], off
	s_wait_loadcnt 0x0
	ds_store_b64 v62, v[50:51] offset:4224
	s_branch .LBB40_10
.LBB40_47:                              ;   in Loop: Header=BB40_8 Depth=2
	v_mov_b64_e32 v[44:45], 0
	v_mov_b64_e32 v[42:43], 0
	;; [unrolled: 1-line block ×4, first 2 shown]
.LBB40_48:                              ;   in Loop: Header=BB40_8 Depth=2
	v_mul_u64_e32 v[46:47], s[28:29], v[36:37]
	v_cmp_gt_i32_e32 vcc_lo, s10, v36
	s_and_b32 s5, s1, vcc_lo
	s_delay_alu instid0(VALU_DEP_2)
	v_lshl_add_u64 v[46:47], v[46:47], 3, s[26:27]
	s_and_saveexec_b32 s4, s5
	s_cbranch_execz .LBB40_50
; %bb.49:                               ;   in Loop: Header=BB40_8 Depth=2
	s_delay_alu instid0(VALU_DEP_1)
	v_lshl_add_u64 v[48:49], v[2:3], 3, v[46:47]
	global_load_b64 v[50:51], v[48:49], off
	s_wait_loadcnt 0x0
	v_fmac_f64_e32 v[50:51], v[26:27], v[44:45]
	global_store_b64 v[48:49], v[50:51], off
.LBB40_50:                              ;   in Loop: Header=BB40_8 Depth=2
	s_wait_xcnt 0x0
	s_or_b32 exec_lo, exec_lo, s4
	s_and_b32 s5, s2, vcc_lo
	s_delay_alu instid0(SALU_CYCLE_1)
	s_and_saveexec_b32 s4, s5
	s_cbranch_execz .LBB40_52
; %bb.51:                               ;   in Loop: Header=BB40_8 Depth=2
	v_lshl_add_u64 v[44:45], v[10:11], 3, v[46:47]
	global_load_b64 v[46:47], v[44:45], off
	s_wait_loadcnt 0x0
	v_fmac_f64_e32 v[46:47], v[26:27], v[42:43]
	global_store_b64 v[44:45], v[46:47], off
.LBB40_52:                              ;   in Loop: Header=BB40_8 Depth=2
	s_wait_xcnt 0x0
	s_or_b32 exec_lo, exec_lo, s4
	v_add_nc_u32_e32 v36, 16, v36
	s_delay_alu instid0(VALU_DEP_1) | instskip(SKIP_1) | instid1(VALU_DEP_2)
	v_ashrrev_i32_e32 v37, 31, v36
	v_cmp_gt_i32_e32 vcc_lo, s10, v36
	v_mul_u64_e32 v[42:43], s[28:29], v[36:37]
	s_and_b32 s5, s1, vcc_lo
	s_delay_alu instid0(VALU_DEP_1)
	v_lshl_add_u64 v[36:37], v[42:43], 3, s[26:27]
	s_and_saveexec_b32 s4, s5
	s_cbranch_execz .LBB40_54
; %bb.53:                               ;   in Loop: Header=BB40_8 Depth=2
	s_delay_alu instid0(VALU_DEP_1)
	v_lshl_add_u64 v[42:43], v[2:3], 3, v[36:37]
	global_load_b64 v[44:45], v[42:43], off
	s_wait_loadcnt 0x0
	v_fmac_f64_e32 v[44:45], v[26:27], v[40:41]
	global_store_b64 v[42:43], v[44:45], off
.LBB40_54:                              ;   in Loop: Header=BB40_8 Depth=2
	s_wait_xcnt 0x0
	s_or_b32 exec_lo, exec_lo, s4
	s_and_b32 s5, s2, vcc_lo
	s_delay_alu instid0(SALU_CYCLE_1)
	s_and_saveexec_b32 s4, s5
	s_cbranch_execz .LBB40_7
; %bb.55:                               ;   in Loop: Header=BB40_8 Depth=2
	v_lshl_add_u64 v[36:37], v[10:11], 3, v[36:37]
	global_load_b64 v[40:41], v[36:37], off
	s_wait_loadcnt 0x0
	v_fmac_f64_e32 v[40:41], v[26:27], v[38:39]
	global_store_b64 v[36:37], v[40:41], off
	s_branch .LBB40_7
.LBB40_56:
	s_sendmsg sendmsg(MSG_DEALLOC_VGPRS)
	s_endpgm
	.section	.rodata,"a",@progbits
	.p2align	6, 0x0
	.amdhsa_kernel _ZL30rocblas_trmm_outofplace_kernelIdLi32ELi2ELb1ELb0ELb1ELb0EPKdS0_dEv17rocblas_diagonal_iiT6_lPT7_lllS5_lllPT8_llli
		.amdhsa_group_segment_fixed_size 16384
		.amdhsa_private_segment_fixed_size 0
		.amdhsa_kernarg_size 392
		.amdhsa_user_sgpr_count 2
		.amdhsa_user_sgpr_dispatch_ptr 0
		.amdhsa_user_sgpr_queue_ptr 0
		.amdhsa_user_sgpr_kernarg_segment_ptr 1
		.amdhsa_user_sgpr_dispatch_id 0
		.amdhsa_user_sgpr_kernarg_preload_length 0
		.amdhsa_user_sgpr_kernarg_preload_offset 0
		.amdhsa_user_sgpr_private_segment_size 0
		.amdhsa_wavefront_size32 1
		.amdhsa_uses_dynamic_stack 0
		.amdhsa_enable_private_segment 0
		.amdhsa_system_sgpr_workgroup_id_x 1
		.amdhsa_system_sgpr_workgroup_id_y 1
		.amdhsa_system_sgpr_workgroup_id_z 1
		.amdhsa_system_sgpr_workgroup_info 0
		.amdhsa_system_vgpr_workitem_id 1
		.amdhsa_next_free_vgpr 80
		.amdhsa_next_free_sgpr 57
		.amdhsa_named_barrier_count 0
		.amdhsa_reserve_vcc 1
		.amdhsa_float_round_mode_32 0
		.amdhsa_float_round_mode_16_64 0
		.amdhsa_float_denorm_mode_32 3
		.amdhsa_float_denorm_mode_16_64 3
		.amdhsa_fp16_overflow 0
		.amdhsa_memory_ordered 1
		.amdhsa_forward_progress 1
		.amdhsa_inst_pref_size 26
		.amdhsa_round_robin_scheduling 0
		.amdhsa_exception_fp_ieee_invalid_op 0
		.amdhsa_exception_fp_denorm_src 0
		.amdhsa_exception_fp_ieee_div_zero 0
		.amdhsa_exception_fp_ieee_overflow 0
		.amdhsa_exception_fp_ieee_underflow 0
		.amdhsa_exception_fp_ieee_inexact 0
		.amdhsa_exception_int_div_zero 0
	.end_amdhsa_kernel
	.section	.text._ZL30rocblas_trmm_outofplace_kernelIdLi32ELi2ELb1ELb0ELb1ELb0EPKdS0_dEv17rocblas_diagonal_iiT6_lPT7_lllS5_lllPT8_llli,"axG",@progbits,_ZL30rocblas_trmm_outofplace_kernelIdLi32ELi2ELb1ELb0ELb1ELb0EPKdS0_dEv17rocblas_diagonal_iiT6_lPT7_lllS5_lllPT8_llli,comdat
.Lfunc_end40:
	.size	_ZL30rocblas_trmm_outofplace_kernelIdLi32ELi2ELb1ELb0ELb1ELb0EPKdS0_dEv17rocblas_diagonal_iiT6_lPT7_lllS5_lllPT8_llli, .Lfunc_end40-_ZL30rocblas_trmm_outofplace_kernelIdLi32ELi2ELb1ELb0ELb1ELb0EPKdS0_dEv17rocblas_diagonal_iiT6_lPT7_lllS5_lllPT8_llli
                                        ; -- End function
	.set _ZL30rocblas_trmm_outofplace_kernelIdLi32ELi2ELb1ELb0ELb1ELb0EPKdS0_dEv17rocblas_diagonal_iiT6_lPT7_lllS5_lllPT8_llli.num_vgpr, 80
	.set _ZL30rocblas_trmm_outofplace_kernelIdLi32ELi2ELb1ELb0ELb1ELb0EPKdS0_dEv17rocblas_diagonal_iiT6_lPT7_lllS5_lllPT8_llli.num_agpr, 0
	.set _ZL30rocblas_trmm_outofplace_kernelIdLi32ELi2ELb1ELb0ELb1ELb0EPKdS0_dEv17rocblas_diagonal_iiT6_lPT7_lllS5_lllPT8_llli.numbered_sgpr, 57
	.set _ZL30rocblas_trmm_outofplace_kernelIdLi32ELi2ELb1ELb0ELb1ELb0EPKdS0_dEv17rocblas_diagonal_iiT6_lPT7_lllS5_lllPT8_llli.num_named_barrier, 0
	.set _ZL30rocblas_trmm_outofplace_kernelIdLi32ELi2ELb1ELb0ELb1ELb0EPKdS0_dEv17rocblas_diagonal_iiT6_lPT7_lllS5_lllPT8_llli.private_seg_size, 0
	.set _ZL30rocblas_trmm_outofplace_kernelIdLi32ELi2ELb1ELb0ELb1ELb0EPKdS0_dEv17rocblas_diagonal_iiT6_lPT7_lllS5_lllPT8_llli.uses_vcc, 1
	.set _ZL30rocblas_trmm_outofplace_kernelIdLi32ELi2ELb1ELb0ELb1ELb0EPKdS0_dEv17rocblas_diagonal_iiT6_lPT7_lllS5_lllPT8_llli.uses_flat_scratch, 0
	.set _ZL30rocblas_trmm_outofplace_kernelIdLi32ELi2ELb1ELb0ELb1ELb0EPKdS0_dEv17rocblas_diagonal_iiT6_lPT7_lllS5_lllPT8_llli.has_dyn_sized_stack, 0
	.set _ZL30rocblas_trmm_outofplace_kernelIdLi32ELi2ELb1ELb0ELb1ELb0EPKdS0_dEv17rocblas_diagonal_iiT6_lPT7_lllS5_lllPT8_llli.has_recursion, 0
	.set _ZL30rocblas_trmm_outofplace_kernelIdLi32ELi2ELb1ELb0ELb1ELb0EPKdS0_dEv17rocblas_diagonal_iiT6_lPT7_lllS5_lllPT8_llli.has_indirect_call, 0
	.section	.AMDGPU.csdata,"",@progbits
; Kernel info:
; codeLenInByte = 3276
; TotalNumSgprs: 59
; NumVgprs: 80
; ScratchSize: 0
; MemoryBound: 0
; FloatMode: 240
; IeeeMode: 1
; LDSByteSize: 16384 bytes/workgroup (compile time only)
; SGPRBlocks: 0
; VGPRBlocks: 4
; NumSGPRsForWavesPerEU: 59
; NumVGPRsForWavesPerEU: 80
; NamedBarCnt: 0
; Occupancy: 12
; WaveLimiterHint : 0
; COMPUTE_PGM_RSRC2:SCRATCH_EN: 0
; COMPUTE_PGM_RSRC2:USER_SGPR: 2
; COMPUTE_PGM_RSRC2:TRAP_HANDLER: 0
; COMPUTE_PGM_RSRC2:TGID_X_EN: 1
; COMPUTE_PGM_RSRC2:TGID_Y_EN: 1
; COMPUTE_PGM_RSRC2:TGID_Z_EN: 1
; COMPUTE_PGM_RSRC2:TIDIG_COMP_CNT: 1
	.section	.text._ZL30rocblas_trmm_outofplace_kernelIdLi32ELi2ELb1ELb0ELb1ELb0EdKddEv17rocblas_diagonal_iiT6_lPT7_lllS4_lllPT8_llli,"axG",@progbits,_ZL30rocblas_trmm_outofplace_kernelIdLi32ELi2ELb1ELb0ELb1ELb0EdKddEv17rocblas_diagonal_iiT6_lPT7_lllS4_lllPT8_llli,comdat
	.globl	_ZL30rocblas_trmm_outofplace_kernelIdLi32ELi2ELb1ELb0ELb1ELb0EdKddEv17rocblas_diagonal_iiT6_lPT7_lllS4_lllPT8_llli ; -- Begin function _ZL30rocblas_trmm_outofplace_kernelIdLi32ELi2ELb1ELb0ELb1ELb0EdKddEv17rocblas_diagonal_iiT6_lPT7_lllS4_lllPT8_llli
	.p2align	8
	.type	_ZL30rocblas_trmm_outofplace_kernelIdLi32ELi2ELb1ELb0ELb1ELb0EdKddEv17rocblas_diagonal_iiT6_lPT7_lllS4_lllPT8_llli,@function
_ZL30rocblas_trmm_outofplace_kernelIdLi32ELi2ELb1ELb0ELb1ELb0EdKddEv17rocblas_diagonal_iiT6_lPT7_lllS4_lllPT8_llli: ; @_ZL30rocblas_trmm_outofplace_kernelIdLi32ELi2ELb1ELb0ELb1ELb0EdKddEv17rocblas_diagonal_iiT6_lPT7_lllS4_lllPT8_llli
; %bb.0:
	s_load_b32 s31, s[0:1], 0x80
	s_bfe_u32 s2, ttmp6, 0x40014
	s_lshr_b32 s3, ttmp7, 16
	s_add_co_i32 s2, s2, 1
	s_bfe_u32 s5, ttmp6, 0x40008
	s_mul_i32 s4, s3, s2
	s_getreg_b32 s2, hwreg(HW_REG_IB_STS2, 6, 4)
	s_add_co_i32 s5, s5, s4
	s_cmp_eq_u32 s2, 0
	s_cselect_b32 s34, s3, s5
	s_wait_kmcnt 0x0
	s_cmp_ge_u32 s34, s31
	s_cbranch_scc1 .LBB41_55
; %bb.1:
	s_load_b64 s[36:37], s[0:1], 0x10
	s_wait_kmcnt 0x0
	v_cmp_eq_f64_e64 s3, s[36:37], 0
	s_and_b32 vcc_lo, exec_lo, s3
	s_cbranch_vccnz .LBB41_55
; %bb.2:
	s_load_b96 s[28:30], s[0:1], 0x0
	s_bfe_u32 s4, ttmp6, 0x4000c
	s_bfe_u32 s6, ttmp6, 0x40010
	s_and_b32 s5, ttmp7, 0xffff
	s_add_co_i32 s4, s4, 1
	s_add_co_i32 s6, s6, 1
	s_and_b32 s3, ttmp6, 15
	s_bfe_u32 s7, ttmp6, 0x40004
	s_mul_i32 s4, ttmp9, s4
	s_mul_i32 s6, s5, s6
	s_add_co_i32 s3, s3, s4
	s_add_co_i32 s7, s7, s6
	v_and_b32_e32 v1, 0x3ff, v0
	v_bfe_u32 v54, v0, 10, 10
	s_load_b256 s[20:27], s[0:1], 0x60
	v_mov_b64_e32 v[4:5], 0
	v_mov_b64_e32 v[6:7], 1.0
	s_add_nc_u64 s[38:39], s[0:1], 0x88
	s_mov_b32 s35, 0
	v_lshlrev_b32_e32 v8, 8, v54
	s_wait_kmcnt 0x0
	s_add_co_i32 s8, s30, -1
	s_mov_b32 s40, s29
	s_ashr_i32 s9, s8, 31
	s_mov_b32 s42, s30
	s_lshr_b32 s9, s9, 27
	v_lshlrev_b32_e32 v55, 3, v1
	s_add_co_i32 s8, s8, s9
	v_add_nc_u32_e32 v56, 0x2000, v8
	s_ashr_i32 s33, s8, 5
	s_cmp_eq_u32 s2, 0
	v_dual_mov_b32 v0, 0 :: v_dual_add_nc_u32 v57, v55, v8
	s_cselect_b32 s46, s5, s7
	s_cselect_b32 s2, ttmp9, s3
	s_cmp_le_i32 s46, s33
	s_load_b512 s[4:19], s[0:1], 0x20
	s_cselect_b32 s47, -1, 0
	s_lshl_b32 s41, s2, 5
	s_delay_alu instid0(SALU_CYCLE_1)
	v_dual_add_nc_u32 v58, v56, v55 :: v_dual_add_nc_u32 v8, s41, v54
	v_add_nc_u32_e32 v2, s41, v1
	s_sub_co_i32 s48, s29, s41
	v_lshl_add_u32 v59, s46, 5, v54
	s_cmp_gt_i32 s48, 0
	v_add_nc_u32_e32 v60, 0x800, v55
	v_ashrrev_i32_e32 v3, 31, v2
	s_cselect_b32 s49, -1, 0
	s_cmp_eq_u32 s28, 0x84
	s_wait_xcnt 0x0
	v_cmp_le_i32_e64 s0, s29, v2
	s_cselect_b32 s50, -1, 0
	v_lshlrev_b64_e32 v[16:17], 3, v[2:3]
	s_ashr_i32 s41, s29, 31
	v_ashrrev_i32_e32 v9, 31, v8
	v_cmp_gt_i32_e64 s1, s29, v2
	v_add_nc_u32_e32 v61, 0x1000, v55
	s_wait_kmcnt 0x0
	v_mul_u64_e32 v[12:13], s[8:9], v[2:3]
	s_lshl_b64 s[2:3], s[6:7], 3
	v_add_nc_u64_e32 v[10:11], 0x80, v[16:17]
	s_lshl_b64 s[6:7], s[22:23], 3
	s_lshl_b64 s[22:23], s[14:15], 3
	s_add_nc_u64 s[14:15], s[20:21], s[6:7]
	s_add_nc_u64 s[6:7], s[12:13], s[22:23]
	v_add_nc_u32_e32 v62, 0x1800, v55
	v_add_nc_u64_e32 v[24:25], s[6:7], v[16:17]
	v_mad_nc_u64_u32 v[18:19], s8, v10, s[2:3]
	s_ashr_i32 s43, s30, 31
	s_add_nc_u64 s[20:21], s[40:41], -16
	s_lshl_b64 s[12:13], s[18:19], 3
	s_lshl_b64 s[18:19], s[16:17], 3
	;; [unrolled: 1-line block ×3, first 2 shown]
	s_delay_alu instid0(VALU_DEP_1) | instskip(SKIP_3) | instid1(VALU_DEP_1)
	v_mad_u32 v1, s9, v10, v19
	v_add_nc_u32_e32 v10, 16, v2
	v_lshlrev_b64_e32 v[20:21], 3, v[8:9]
	v_sub_nc_u64_e32 v[14:15], v[2:3], v[8:9]
	v_add_nc_u64_e32 v[16:17], 16, v[14:15]
	v_mad_u32 v19, s8, v11, v1
	v_lshl_add_u64 v[22:23], v[12:13], 3, s[2:3]
	v_add_nc_u64_e32 v[12:13], 16, v[2:3]
	v_cmp_gt_i32_e64 s2, s29, v10
	v_ashrrev_i32_e32 v11, 31, v10
	s_delay_alu instid0(VALU_DEP_4) | instskip(NEXT) | instid1(VALU_DEP_4)
	v_add_nc_u64_e32 v[22:23], v[22:23], v[20:21]
	v_cmp_le_i64_e64 s3, s[40:41], v[12:13]
	v_add_nc_u64_e32 v[26:27], v[18:19], v[20:21]
	v_add_nc_u64_e32 v[18:19], -16, v[14:15]
	v_add_nc_u64_e32 v[20:21], 0x80, v[24:25]
	v_add_nc_u64_e32 v[22:23], s[4:5], v[22:23]
	s_delay_alu instid0(VALU_DEP_4)
	v_add_nc_u64_e32 v[24:25], s[4:5], v[26:27]
	s_branch .LBB41_4
.LBB41_3:                               ;   in Loop: Header=BB41_4 Depth=1
	s_add_co_i32 s34, s34, 0x10000
	s_delay_alu instid0(SALU_CYCLE_1)
	s_cmp_ge_u32 s34, s31
	s_cbranch_scc1 .LBB41_55
.LBB41_4:                               ; =>This Loop Header: Depth=1
                                        ;     Child Loop BB41_7 Depth 2
                                        ;       Child Loop BB41_10 Depth 3
	s_and_not1_b32 vcc_lo, exec_lo, s47
	s_cbranch_vccnz .LBB41_3
; %bb.5:                                ;   in Loop: Header=BB41_4 Depth=1
	s_load_b32 s9, s[38:39], 0x4
	v_mad_nc_u64_u32 v[26:27], s12, s34, v[20:21]
	s_delay_alu instid0(VALU_DEP_2)
	v_mad_nc_u64_u32 v[28:29], s10, s34, v[24:25]
	v_mad_nc_u64_u32 v[30:31], s10, s34, v[22:23]
	s_mul_i32 s6, s11, s34
	s_mul_u64 s[4:5], s[26:27], s[34:35]
	v_mov_b32_e32 v32, v59
	s_lshl_b64 s[4:5], s[4:5], 3
	s_mov_b32 s52, s46
	s_add_nc_u64 s[22:23], s[14:15], s[4:5]
	s_delay_alu instid0(VALU_DEP_4) | instskip(NEXT) | instid1(VALU_DEP_3)
	v_mad_u32 v27, s13, s34, v27
	v_dual_add_nc_u32 v29, s6, v29 :: v_dual_add_nc_u32 v31, s6, v31
	s_wait_kmcnt 0x0
	s_lshl_b32 s51, s9, 5
	s_branch .LBB41_7
.LBB41_6:                               ;   in Loop: Header=BB41_7 Depth=2
	s_wait_xcnt 0x0
	s_or_b32 exec_lo, exec_lo, s4
	v_add_nc_u32_e32 v32, s51, v32
	s_add_co_i32 s52, s9, s52
	s_delay_alu instid0(SALU_CYCLE_1)
	s_cmp_gt_i32 s52, s33
	s_cbranch_scc1 .LBB41_3
.LBB41_7:                               ;   Parent Loop BB41_4 Depth=1
                                        ; =>  This Loop Header: Depth=2
                                        ;       Child Loop BB41_10 Depth 3
	v_lshl_add_u32 v34, s52, 5, v54
	s_and_not1_b32 vcc_lo, exec_lo, s49
	s_delay_alu instid0(VALU_DEP_1)
	v_ashrrev_i32_e32 v35, 31, v34
	s_cbranch_vccnz .LBB41_46
; %bb.8:                                ;   in Loop: Header=BB41_7 Depth=2
	v_ashrrev_i32_e32 v33, 31, v32
	v_mad_nc_u64_u32 v[44:45], s18, v32, v[26:27]
	s_delay_alu instid0(VALU_DEP_3)
	v_sub_nc_u64_e32 v[38:39], s[42:43], v[34:35]
	v_mov_b64_e32 v[40:41], 0
	v_mov_b64_e32 v[42:43], 0
	v_lshl_add_u64 v[36:37], v[32:33], 3, 0x80
	s_mov_b64 s[28:29], 0
	s_mov_b64 s[44:45], 0
	s_delay_alu instid0(VALU_DEP_4) | instskip(NEXT) | instid1(VALU_DEP_2)
	v_cmp_lt_i64_e32 vcc_lo, 0, v[38:39]
	v_mad_nc_u64_u32 v[46:47], s16, v36, v[26:27]
	v_cmp_lt_i64_e64 s4, 16, v[38:39]
	v_mad_u32 v1, s19, v32, v45
	v_mov_b64_e32 v[38:39], 0
	s_delay_alu instid0(VALU_DEP_4) | instskip(NEXT) | instid1(VALU_DEP_3)
	v_mad_u32 v36, s17, v36, v47
	v_mad_u32 v45, s18, v33, v1
	s_delay_alu instid0(VALU_DEP_2)
	v_mad_u32 v47, s16, v37, v36
	v_mov_b64_e32 v[36:37], 0
	s_branch .LBB41_10
.LBB41_9:                               ;   in Loop: Header=BB41_10 Depth=3
	s_wait_xcnt 0x0
	s_or_b32 exec_lo, exec_lo, s5
	s_wait_dscnt 0x0
	s_barrier_signal -1
	s_barrier_wait -1
	ds_load_b128 v[48:51], v56
	ds_load_2addr_b64 v[64:67], v55 offset1:16
	ds_load_b128 v[68:71], v56 offset:4096
	ds_load_b128 v[72:75], v56 offset:16
	;; [unrolled: 1-line block ×3, first 2 shown]
	s_add_nc_u64 s[44:45], s[44:45], 32
	s_add_nc_u64 s[28:29], s[28:29], 0x100
	s_cmp_ge_i32 s44, s48
	s_wait_dscnt 0x3
	v_fmac_f64_e32 v[42:43], v[64:65], v[48:49]
	v_fmac_f64_e32 v[40:41], v[66:67], v[48:49]
	s_wait_dscnt 0x2
	v_fmac_f64_e32 v[38:39], v[64:65], v[68:69]
	v_fmac_f64_e32 v[36:37], v[66:67], v[68:69]
	ds_load_2addr_b64 v[64:67], v55 offset0:32 offset1:48
	s_wait_dscnt 0x0
	v_fmac_f64_e32 v[42:43], v[64:65], v[50:51]
	v_fmac_f64_e32 v[40:41], v[66:67], v[50:51]
	v_fmac_f64_e32 v[38:39], v[64:65], v[70:71]
	v_fmac_f64_e32 v[36:37], v[66:67], v[70:71]
	ds_load_2addr_b64 v[48:51], v55 offset0:64 offset1:80
	s_wait_dscnt 0x0
	v_fmac_f64_e32 v[42:43], v[48:49], v[72:73]
	v_fmac_f64_e32 v[40:41], v[50:51], v[72:73]
	v_fmac_f64_e32 v[38:39], v[48:49], v[76:77]
	v_fmac_f64_e32 v[36:37], v[50:51], v[76:77]
	ds_load_2addr_b64 v[48:51], v55 offset0:96 offset1:112
	s_wait_dscnt 0x0
	v_fmac_f64_e32 v[42:43], v[48:49], v[74:75]
	v_fmac_f64_e32 v[40:41], v[50:51], v[74:75]
	v_fmac_f64_e32 v[38:39], v[48:49], v[78:79]
	v_fmac_f64_e32 v[36:37], v[50:51], v[78:79]
	ds_load_b128 v[48:51], v56 offset:32
	ds_load_2addr_b64 v[64:67], v55 offset0:128 offset1:144
	ds_load_b128 v[68:71], v56 offset:4128
	ds_load_b128 v[72:75], v56 offset:48
	ds_load_b128 v[76:79], v56 offset:4144
	s_wait_dscnt 0x3
	v_fmac_f64_e32 v[42:43], v[64:65], v[48:49]
	v_fmac_f64_e32 v[40:41], v[66:67], v[48:49]
	s_wait_dscnt 0x2
	v_fmac_f64_e32 v[38:39], v[64:65], v[68:69]
	v_fmac_f64_e32 v[36:37], v[66:67], v[68:69]
	ds_load_2addr_b64 v[64:67], v55 offset0:160 offset1:176
	s_wait_dscnt 0x0
	v_fmac_f64_e32 v[42:43], v[64:65], v[50:51]
	v_fmac_f64_e32 v[40:41], v[66:67], v[50:51]
	v_fmac_f64_e32 v[38:39], v[64:65], v[70:71]
	v_fmac_f64_e32 v[36:37], v[66:67], v[70:71]
	ds_load_2addr_b64 v[48:51], v55 offset0:192 offset1:208
	s_wait_dscnt 0x0
	v_fmac_f64_e32 v[42:43], v[48:49], v[72:73]
	v_fmac_f64_e32 v[40:41], v[50:51], v[72:73]
	v_fmac_f64_e32 v[38:39], v[48:49], v[76:77]
	v_fmac_f64_e32 v[36:37], v[50:51], v[76:77]
	ds_load_2addr_b64 v[48:51], v55 offset0:224 offset1:240
	s_wait_dscnt 0x0
	v_fmac_f64_e32 v[42:43], v[48:49], v[74:75]
	v_fmac_f64_e32 v[40:41], v[50:51], v[74:75]
	v_fmac_f64_e32 v[38:39], v[48:49], v[78:79]
	v_fmac_f64_e32 v[36:37], v[50:51], v[78:79]
	ds_load_b128 v[48:51], v56 offset:64
	ds_load_2addr_b64 v[64:67], v60 offset1:16
	ds_load_b128 v[68:71], v56 offset:4160
	ds_load_b128 v[72:75], v56 offset:80
	ds_load_b128 v[76:79], v56 offset:4176
	s_wait_dscnt 0x3
	v_fmac_f64_e32 v[42:43], v[64:65], v[48:49]
	v_fmac_f64_e32 v[40:41], v[66:67], v[48:49]
	s_wait_dscnt 0x2
	v_fmac_f64_e32 v[38:39], v[64:65], v[68:69]
	v_fmac_f64_e32 v[36:37], v[66:67], v[68:69]
	ds_load_2addr_b64 v[64:67], v60 offset0:32 offset1:48
	s_wait_dscnt 0x0
	v_fmac_f64_e32 v[42:43], v[64:65], v[50:51]
	v_fmac_f64_e32 v[40:41], v[66:67], v[50:51]
	v_fmac_f64_e32 v[38:39], v[64:65], v[70:71]
	v_fmac_f64_e32 v[36:37], v[66:67], v[70:71]
	ds_load_2addr_b64 v[48:51], v60 offset0:64 offset1:80
	s_wait_dscnt 0x0
	v_fmac_f64_e32 v[42:43], v[48:49], v[72:73]
	v_fmac_f64_e32 v[40:41], v[50:51], v[72:73]
	v_fmac_f64_e32 v[38:39], v[48:49], v[76:77]
	v_fmac_f64_e32 v[36:37], v[50:51], v[76:77]
	ds_load_2addr_b64 v[48:51], v60 offset0:96 offset1:112
	s_wait_dscnt 0x0
	v_fmac_f64_e32 v[42:43], v[48:49], v[74:75]
	v_fmac_f64_e32 v[40:41], v[50:51], v[74:75]
	v_fmac_f64_e32 v[38:39], v[48:49], v[78:79]
	v_fmac_f64_e32 v[36:37], v[50:51], v[78:79]
	ds_load_b128 v[48:51], v56 offset:96
	ds_load_2addr_b64 v[64:67], v60 offset0:128 offset1:144
	ds_load_b128 v[68:71], v56 offset:4192
	ds_load_b128 v[72:75], v56 offset:112
	ds_load_b128 v[76:79], v56 offset:4208
	s_wait_dscnt 0x3
	v_fmac_f64_e32 v[42:43], v[64:65], v[48:49]
	v_fmac_f64_e32 v[40:41], v[66:67], v[48:49]
	s_wait_dscnt 0x2
	v_fmac_f64_e32 v[38:39], v[64:65], v[68:69]
	v_fmac_f64_e32 v[36:37], v[66:67], v[68:69]
	ds_load_2addr_b64 v[64:67], v60 offset0:160 offset1:176
	s_wait_dscnt 0x0
	v_fmac_f64_e32 v[42:43], v[64:65], v[50:51]
	v_fmac_f64_e32 v[40:41], v[66:67], v[50:51]
	v_fmac_f64_e32 v[38:39], v[64:65], v[70:71]
	v_fmac_f64_e32 v[36:37], v[66:67], v[70:71]
	ds_load_2addr_b64 v[48:51], v60 offset0:192 offset1:208
	s_wait_dscnt 0x0
	v_fmac_f64_e32 v[42:43], v[48:49], v[72:73]
	v_fmac_f64_e32 v[40:41], v[50:51], v[72:73]
	v_fmac_f64_e32 v[38:39], v[48:49], v[76:77]
	v_fmac_f64_e32 v[36:37], v[50:51], v[76:77]
	ds_load_2addr_b64 v[48:51], v60 offset0:224 offset1:240
	s_wait_dscnt 0x0
	v_fmac_f64_e32 v[42:43], v[48:49], v[74:75]
	v_fmac_f64_e32 v[40:41], v[50:51], v[74:75]
	v_fmac_f64_e32 v[38:39], v[48:49], v[78:79]
	v_fmac_f64_e32 v[36:37], v[50:51], v[78:79]
	ds_load_b128 v[48:51], v56 offset:128
	ds_load_2addr_b64 v[64:67], v61 offset1:16
	ds_load_b128 v[68:71], v56 offset:4224
	ds_load_b128 v[72:75], v56 offset:144
	ds_load_b128 v[76:79], v56 offset:4240
	;; [unrolled: 58-line block ×3, first 2 shown]
	s_wait_dscnt 0x3
	v_fmac_f64_e32 v[42:43], v[64:65], v[48:49]
	v_fmac_f64_e32 v[40:41], v[66:67], v[48:49]
	s_wait_dscnt 0x2
	v_fmac_f64_e32 v[38:39], v[64:65], v[68:69]
	v_fmac_f64_e32 v[36:37], v[66:67], v[68:69]
	ds_load_2addr_b64 v[64:67], v62 offset0:32 offset1:48
	s_wait_dscnt 0x0
	v_fmac_f64_e32 v[42:43], v[64:65], v[50:51]
	v_fmac_f64_e32 v[40:41], v[66:67], v[50:51]
	v_fmac_f64_e32 v[38:39], v[64:65], v[70:71]
	v_fmac_f64_e32 v[36:37], v[66:67], v[70:71]
	ds_load_2addr_b64 v[48:51], v62 offset0:64 offset1:80
	s_wait_dscnt 0x0
	v_fmac_f64_e32 v[42:43], v[48:49], v[72:73]
	v_fmac_f64_e32 v[40:41], v[50:51], v[72:73]
	;; [unrolled: 6-line block ×3, first 2 shown]
	v_fmac_f64_e32 v[38:39], v[48:49], v[78:79]
	v_fmac_f64_e32 v[36:37], v[50:51], v[78:79]
	ds_load_b128 v[48:51], v56 offset:224
	ds_load_2addr_b64 v[64:67], v62 offset0:128 offset1:144
	ds_load_b128 v[68:71], v56 offset:4320
	ds_load_b128 v[72:75], v56 offset:240
	;; [unrolled: 1-line block ×3, first 2 shown]
	s_wait_dscnt 0x3
	v_fmac_f64_e32 v[42:43], v[64:65], v[48:49]
	v_fmac_f64_e32 v[40:41], v[66:67], v[48:49]
	s_wait_dscnt 0x2
	v_fmac_f64_e32 v[38:39], v[64:65], v[68:69]
	v_fmac_f64_e32 v[36:37], v[66:67], v[68:69]
	ds_load_2addr_b64 v[64:67], v62 offset0:160 offset1:176
	s_wait_dscnt 0x0
	v_fmac_f64_e32 v[42:43], v[64:65], v[50:51]
	v_fmac_f64_e32 v[40:41], v[66:67], v[50:51]
	;; [unrolled: 1-line block ×4, first 2 shown]
	ds_load_2addr_b64 v[48:51], v62 offset0:192 offset1:208
	s_wait_dscnt 0x0
	v_fmac_f64_e32 v[42:43], v[48:49], v[72:73]
	v_fmac_f64_e32 v[40:41], v[50:51], v[72:73]
	;; [unrolled: 1-line block ×4, first 2 shown]
	ds_load_2addr_b64 v[48:51], v62 offset0:224 offset1:240
	s_wait_dscnt 0x0
	s_barrier_signal -1
	s_barrier_wait -1
	v_fmac_f64_e32 v[42:43], v[48:49], v[74:75]
	v_fmac_f64_e32 v[40:41], v[50:51], v[74:75]
	;; [unrolled: 1-line block ×4, first 2 shown]
	s_cbranch_scc1 .LBB41_47
.LBB41_10:                              ;   Parent Loop BB41_4 Depth=1
                                        ;     Parent Loop BB41_7 Depth=2
                                        ; =>    This Inner Loop Header: Depth=3
	v_add_nc_u64_e32 v[50:51], s[44:45], v[8:9]
	v_cmp_eq_u64_e64 s7, s[44:45], v[14:15]
	v_add_nc_u64_e32 v[48:49], s[28:29], v[30:31]
                                        ; implicit-def: $vgpr52_vgpr53
	s_delay_alu instid0(VALU_DEP_3) | instskip(SKIP_3) | instid1(SALU_CYCLE_1)
	v_cmp_le_i64_e64 s6, s[40:41], v[50:51]
	v_cmp_lt_i64_e64 s5, v[50:51], v[2:3]
	s_and_b32 s53, s50, s7
	s_or_b32 s7, s6, s5
	s_or_b32 s7, s7, s53
	s_delay_alu instid0(SALU_CYCLE_1) | instskip(NEXT) | instid1(SALU_CYCLE_1)
	s_nor_b32 s7, s0, s7
	s_and_saveexec_b32 s8, s7
	s_delay_alu instid0(SALU_CYCLE_1)
	s_xor_b32 s7, exec_lo, s8
	s_cbranch_execz .LBB41_12
; %bb.11:                               ;   in Loop: Header=BB41_10 Depth=3
	global_load_b64 v[52:53], v[48:49], off
.LBB41_12:                              ;   in Loop: Header=BB41_10 Depth=3
	s_wait_xcnt 0x0
	s_and_not1_saveexec_b32 s7, s7
	s_cbranch_execz .LBB41_14
; %bb.13:                               ;   in Loop: Header=BB41_10 Depth=3
	v_cndmask_b32_e64 v1, 0, 0x3ff00000, s53
	s_wait_loadcnt 0x0
	s_delay_alu instid0(VALU_DEP_1)
	v_mov_b64_e32 v[52:53], v[0:1]
.LBB41_14:                              ;   in Loop: Header=BB41_10 Depth=3
	s_or_b32 exec_lo, exec_lo, s7
	v_cmp_eq_u64_e64 s7, s[44:45], v[16:17]
	s_wait_loadcnt 0x0
	ds_store_b64 v57, v[52:53]
	v_add_nc_u64_e32 v[52:53], s[28:29], v[28:29]
	s_and_b32 s8, s50, s7
	v_cmp_gt_i64_e64 s7, v[12:13], v[50:51]
	s_or_b32 s6, s6, s7
	s_delay_alu instid0(SALU_CYCLE_1) | instskip(NEXT) | instid1(SALU_CYCLE_1)
	s_or_b32 s6, s6, s8
	s_nor_b32 s6, s3, s6
	s_delay_alu instid0(SALU_CYCLE_1) | instskip(NEXT) | instid1(SALU_CYCLE_1)
	s_and_saveexec_b32 s7, s6
	s_xor_b32 s6, exec_lo, s7
	s_cbranch_execz .LBB41_16
; %bb.15:                               ;   in Loop: Header=BB41_10 Depth=3
	global_load_b64 v[64:65], v[52:53], off
	s_wait_loadcnt 0x0
	ds_store_b64 v57, v[64:65] offset:128
.LBB41_16:                              ;   in Loop: Header=BB41_10 Depth=3
	s_wait_xcnt 0x0
	s_and_not1_saveexec_b32 s6, s6
	s_cbranch_execz .LBB41_22
; %bb.17:                               ;   in Loop: Header=BB41_10 Depth=3
	s_xor_b32 s7, s8, -1
	s_delay_alu instid0(SALU_CYCLE_1) | instskip(NEXT) | instid1(SALU_CYCLE_1)
	s_and_saveexec_b32 s8, s7
	s_xor_b32 s7, exec_lo, s8
; %bb.18:                               ;   in Loop: Header=BB41_10 Depth=3
	ds_store_b64 v57, v[4:5] offset:128
; %bb.19:                               ;   in Loop: Header=BB41_10 Depth=3
	s_and_not1_saveexec_b32 s7, s7
; %bb.20:                               ;   in Loop: Header=BB41_10 Depth=3
	ds_store_b64 v57, v[6:7] offset:128
; %bb.21:                               ;   in Loop: Header=BB41_10 Depth=3
	s_or_b32 exec_lo, exec_lo, s7
.LBB41_22:                              ;   in Loop: Header=BB41_10 Depth=3
	s_delay_alu instid0(SALU_CYCLE_1) | instskip(SKIP_2) | instid1(VALU_DEP_2)
	s_or_b32 exec_lo, exec_lo, s6
	v_add_nc_u64_e32 v[50:51], 16, v[50:51]
	v_cmp_eq_u64_e64 s7, s[44:45], v[18:19]
	v_cmp_le_i64_e64 s6, s[40:41], v[50:51]
	v_cmp_lt_i64_e64 s8, v[50:51], v[2:3]
	s_and_b32 s7, s50, s7
                                        ; implicit-def: $vgpr50_vgpr51
	s_or_b32 s8, s6, s8
	s_delay_alu instid0(SALU_CYCLE_1) | instskip(NEXT) | instid1(SALU_CYCLE_1)
	s_or_b32 s8, s8, s7
	s_nor_b32 s8, s0, s8
	s_delay_alu instid0(SALU_CYCLE_1) | instskip(NEXT) | instid1(SALU_CYCLE_1)
	s_and_saveexec_b32 s54, s8
	s_xor_b32 s8, exec_lo, s54
	s_cbranch_execz .LBB41_24
; %bb.23:                               ;   in Loop: Header=BB41_10 Depth=3
	global_load_b64 v[50:51], v[48:49], off offset:128
.LBB41_24:                              ;   in Loop: Header=BB41_10 Depth=3
	s_wait_xcnt 0x0
	s_and_not1_saveexec_b32 s8, s8
	s_cbranch_execz .LBB41_26
; %bb.25:                               ;   in Loop: Header=BB41_10 Depth=3
	v_cndmask_b32_e64 v1, 0, 0x3ff00000, s7
	s_wait_loadcnt 0x0
	s_delay_alu instid0(VALU_DEP_1)
	v_mov_b64_e32 v[50:51], v[0:1]
.LBB41_26:                              ;   in Loop: Header=BB41_10 Depth=3
	s_or_b32 exec_lo, exec_lo, s8
	s_or_b32 s5, s6, s5
	s_wait_loadcnt 0x0
	ds_store_b64 v57, v[50:51] offset:4096
	s_or_b32 s5, s5, s53
	s_delay_alu instid0(SALU_CYCLE_1) | instskip(NEXT) | instid1(SALU_CYCLE_1)
	s_nor_b32 s5, s3, s5
	s_and_saveexec_b32 s6, s5
	s_delay_alu instid0(SALU_CYCLE_1)
	s_xor_b32 s5, exec_lo, s6
	s_cbranch_execz .LBB41_28
; %bb.27:                               ;   in Loop: Header=BB41_10 Depth=3
	global_load_b64 v[48:49], v[52:53], off offset:128
	s_wait_loadcnt 0x0
	ds_store_b64 v57, v[48:49] offset:4224
.LBB41_28:                              ;   in Loop: Header=BB41_10 Depth=3
	s_wait_xcnt 0x0
	s_and_not1_saveexec_b32 s5, s5
	s_cbranch_execz .LBB41_34
; %bb.29:                               ;   in Loop: Header=BB41_10 Depth=3
	s_xor_b32 s6, s53, -1
	s_delay_alu instid0(SALU_CYCLE_1) | instskip(NEXT) | instid1(SALU_CYCLE_1)
	s_and_saveexec_b32 s7, s6
	s_xor_b32 s6, exec_lo, s7
; %bb.30:                               ;   in Loop: Header=BB41_10 Depth=3
	ds_store_b64 v57, v[4:5] offset:4224
; %bb.31:                               ;   in Loop: Header=BB41_10 Depth=3
	s_and_not1_saveexec_b32 s6, s6
; %bb.32:                               ;   in Loop: Header=BB41_10 Depth=3
	ds_store_b64 v57, v[6:7] offset:4224
; %bb.33:                               ;   in Loop: Header=BB41_10 Depth=3
	s_or_b32 exec_lo, exec_lo, s6
.LBB41_34:                              ;   in Loop: Header=BB41_10 Depth=3
	s_delay_alu instid0(SALU_CYCLE_1) | instskip(SKIP_3) | instid1(VALU_DEP_3)
	s_or_b32 exec_lo, exec_lo, s5
	v_add_nc_u64_e32 v[50:51], s[44:45], v[2:3]
	v_add_nc_u64_e32 v[48:49], s[28:29], v[44:45]
	v_mov_b64_e32 v[52:53], 0
	v_cmp_gt_i64_e64 s5, s[40:41], v[50:51]
	s_and_b32 s7, vcc_lo, s5
	s_delay_alu instid0(SALU_CYCLE_1)
	s_and_saveexec_b32 s6, s7
	s_cbranch_execz .LBB41_36
; %bb.35:                               ;   in Loop: Header=BB41_10 Depth=3
	global_load_b64 v[52:53], v[48:49], off offset:-128
.LBB41_36:                              ;   in Loop: Header=BB41_10 Depth=3
	s_wait_xcnt 0x0
	s_or_b32 exec_lo, exec_lo, s6
	v_cmp_gt_i64_e64 s6, s[20:21], v[50:51]
	s_wait_loadcnt 0x0
	ds_store_b64 v58, v[52:53]
	s_and_b32 s7, vcc_lo, s6
	s_delay_alu instid0(SALU_CYCLE_1) | instskip(NEXT) | instid1(SALU_CYCLE_1)
	s_xor_b32 s7, s7, -1
	s_and_saveexec_b32 s8, s7
	s_delay_alu instid0(SALU_CYCLE_1)
	s_xor_b32 s7, exec_lo, s8
; %bb.37:                               ;   in Loop: Header=BB41_10 Depth=3
	ds_store_b64 v58, v[4:5] offset:128
                                        ; implicit-def: $vgpr48_vgpr49
; %bb.38:                               ;   in Loop: Header=BB41_10 Depth=3
	s_and_not1_saveexec_b32 s7, s7
	s_cbranch_execz .LBB41_40
; %bb.39:                               ;   in Loop: Header=BB41_10 Depth=3
	global_load_b64 v[48:49], v[48:49], off
	s_wait_loadcnt 0x0
	ds_store_b64 v58, v[48:49] offset:128
.LBB41_40:                              ;   in Loop: Header=BB41_10 Depth=3
	s_wait_xcnt 0x0
	s_or_b32 exec_lo, exec_lo, s7
	v_add_nc_u64_e32 v[48:49], s[28:29], v[46:47]
	v_mov_b64_e32 v[50:51], 0
	s_and_b32 s7, s4, s5
	s_delay_alu instid0(SALU_CYCLE_1)
	s_and_saveexec_b32 s5, s7
	s_cbranch_execz .LBB41_42
; %bb.41:                               ;   in Loop: Header=BB41_10 Depth=3
	global_load_b64 v[50:51], v[48:49], off offset:-128
.LBB41_42:                              ;   in Loop: Header=BB41_10 Depth=3
	s_wait_xcnt 0x0
	s_or_b32 exec_lo, exec_lo, s5
	s_and_b32 s5, s4, s6
	s_wait_loadcnt 0x0
	ds_store_b64 v58, v[50:51] offset:4096
	s_xor_b32 s5, s5, -1
	s_delay_alu instid0(SALU_CYCLE_1) | instskip(NEXT) | instid1(SALU_CYCLE_1)
	s_and_saveexec_b32 s6, s5
	s_xor_b32 s5, exec_lo, s6
; %bb.43:                               ;   in Loop: Header=BB41_10 Depth=3
	ds_store_b64 v58, v[4:5] offset:4224
                                        ; implicit-def: $vgpr48_vgpr49
; %bb.44:                               ;   in Loop: Header=BB41_10 Depth=3
	s_and_not1_saveexec_b32 s5, s5
	s_cbranch_execz .LBB41_9
; %bb.45:                               ;   in Loop: Header=BB41_10 Depth=3
	global_load_b64 v[48:49], v[48:49], off
	s_wait_loadcnt 0x0
	ds_store_b64 v58, v[48:49] offset:4224
	s_branch .LBB41_9
.LBB41_46:                              ;   in Loop: Header=BB41_7 Depth=2
	v_mov_b64_e32 v[42:43], 0
	v_mov_b64_e32 v[40:41], 0
	;; [unrolled: 1-line block ×4, first 2 shown]
.LBB41_47:                              ;   in Loop: Header=BB41_7 Depth=2
	v_mul_u64_e32 v[44:45], s[24:25], v[34:35]
	v_cmp_gt_i32_e32 vcc_lo, s30, v34
	s_and_b32 s5, s1, vcc_lo
	s_delay_alu instid0(VALU_DEP_2)
	v_lshl_add_u64 v[44:45], v[44:45], 3, s[22:23]
	s_and_saveexec_b32 s4, s5
	s_cbranch_execz .LBB41_49
; %bb.48:                               ;   in Loop: Header=BB41_7 Depth=2
	s_delay_alu instid0(VALU_DEP_1)
	v_lshl_add_u64 v[46:47], v[2:3], 3, v[44:45]
	global_load_b64 v[48:49], v[46:47], off
	s_wait_loadcnt 0x0
	v_fmac_f64_e32 v[48:49], s[36:37], v[42:43]
	global_store_b64 v[46:47], v[48:49], off
.LBB41_49:                              ;   in Loop: Header=BB41_7 Depth=2
	s_wait_xcnt 0x0
	s_or_b32 exec_lo, exec_lo, s4
	s_and_b32 s5, s2, vcc_lo
	s_delay_alu instid0(SALU_CYCLE_1)
	s_and_saveexec_b32 s4, s5
	s_cbranch_execz .LBB41_51
; %bb.50:                               ;   in Loop: Header=BB41_7 Depth=2
	v_lshl_add_u64 v[42:43], v[10:11], 3, v[44:45]
	global_load_b64 v[44:45], v[42:43], off
	s_wait_loadcnt 0x0
	v_fmac_f64_e32 v[44:45], s[36:37], v[40:41]
	global_store_b64 v[42:43], v[44:45], off
.LBB41_51:                              ;   in Loop: Header=BB41_7 Depth=2
	s_wait_xcnt 0x0
	s_or_b32 exec_lo, exec_lo, s4
	v_add_nc_u32_e32 v34, 16, v34
	s_delay_alu instid0(VALU_DEP_1) | instskip(SKIP_1) | instid1(VALU_DEP_2)
	v_ashrrev_i32_e32 v35, 31, v34
	v_cmp_gt_i32_e32 vcc_lo, s30, v34
	v_mul_u64_e32 v[40:41], s[24:25], v[34:35]
	s_and_b32 s5, s1, vcc_lo
	s_delay_alu instid0(VALU_DEP_1)
	v_lshl_add_u64 v[34:35], v[40:41], 3, s[22:23]
	s_and_saveexec_b32 s4, s5
	s_cbranch_execz .LBB41_53
; %bb.52:                               ;   in Loop: Header=BB41_7 Depth=2
	s_delay_alu instid0(VALU_DEP_1)
	v_lshl_add_u64 v[40:41], v[2:3], 3, v[34:35]
	global_load_b64 v[42:43], v[40:41], off
	s_wait_loadcnt 0x0
	v_fmac_f64_e32 v[42:43], s[36:37], v[38:39]
	global_store_b64 v[40:41], v[42:43], off
.LBB41_53:                              ;   in Loop: Header=BB41_7 Depth=2
	s_wait_xcnt 0x0
	s_or_b32 exec_lo, exec_lo, s4
	s_and_b32 s5, s2, vcc_lo
	s_delay_alu instid0(SALU_CYCLE_1)
	s_and_saveexec_b32 s4, s5
	s_cbranch_execz .LBB41_6
; %bb.54:                               ;   in Loop: Header=BB41_7 Depth=2
	v_lshl_add_u64 v[34:35], v[10:11], 3, v[34:35]
	global_load_b64 v[38:39], v[34:35], off
	s_wait_loadcnt 0x0
	v_fmac_f64_e32 v[38:39], s[36:37], v[36:37]
	global_store_b64 v[34:35], v[38:39], off
	s_branch .LBB41_6
.LBB41_55:
	s_sendmsg sendmsg(MSG_DEALLOC_VGPRS)
	s_endpgm
	.section	.rodata,"a",@progbits
	.p2align	6, 0x0
	.amdhsa_kernel _ZL30rocblas_trmm_outofplace_kernelIdLi32ELi2ELb1ELb0ELb1ELb0EdKddEv17rocblas_diagonal_iiT6_lPT7_lllS4_lllPT8_llli
		.amdhsa_group_segment_fixed_size 16384
		.amdhsa_private_segment_fixed_size 0
		.amdhsa_kernarg_size 392
		.amdhsa_user_sgpr_count 2
		.amdhsa_user_sgpr_dispatch_ptr 0
		.amdhsa_user_sgpr_queue_ptr 0
		.amdhsa_user_sgpr_kernarg_segment_ptr 1
		.amdhsa_user_sgpr_dispatch_id 0
		.amdhsa_user_sgpr_kernarg_preload_length 0
		.amdhsa_user_sgpr_kernarg_preload_offset 0
		.amdhsa_user_sgpr_private_segment_size 0
		.amdhsa_wavefront_size32 1
		.amdhsa_uses_dynamic_stack 0
		.amdhsa_enable_private_segment 0
		.amdhsa_system_sgpr_workgroup_id_x 1
		.amdhsa_system_sgpr_workgroup_id_y 1
		.amdhsa_system_sgpr_workgroup_id_z 1
		.amdhsa_system_sgpr_workgroup_info 0
		.amdhsa_system_vgpr_workitem_id 1
		.amdhsa_next_free_vgpr 80
		.amdhsa_next_free_sgpr 55
		.amdhsa_named_barrier_count 0
		.amdhsa_reserve_vcc 1
		.amdhsa_float_round_mode_32 0
		.amdhsa_float_round_mode_16_64 0
		.amdhsa_float_denorm_mode_32 3
		.amdhsa_float_denorm_mode_16_64 3
		.amdhsa_fp16_overflow 0
		.amdhsa_memory_ordered 1
		.amdhsa_forward_progress 1
		.amdhsa_inst_pref_size 26
		.amdhsa_round_robin_scheduling 0
		.amdhsa_exception_fp_ieee_invalid_op 0
		.amdhsa_exception_fp_denorm_src 0
		.amdhsa_exception_fp_ieee_div_zero 0
		.amdhsa_exception_fp_ieee_overflow 0
		.amdhsa_exception_fp_ieee_underflow 0
		.amdhsa_exception_fp_ieee_inexact 0
		.amdhsa_exception_int_div_zero 0
	.end_amdhsa_kernel
	.section	.text._ZL30rocblas_trmm_outofplace_kernelIdLi32ELi2ELb1ELb0ELb1ELb0EdKddEv17rocblas_diagonal_iiT6_lPT7_lllS4_lllPT8_llli,"axG",@progbits,_ZL30rocblas_trmm_outofplace_kernelIdLi32ELi2ELb1ELb0ELb1ELb0EdKddEv17rocblas_diagonal_iiT6_lPT7_lllS4_lllPT8_llli,comdat
.Lfunc_end41:
	.size	_ZL30rocblas_trmm_outofplace_kernelIdLi32ELi2ELb1ELb0ELb1ELb0EdKddEv17rocblas_diagonal_iiT6_lPT7_lllS4_lllPT8_llli, .Lfunc_end41-_ZL30rocblas_trmm_outofplace_kernelIdLi32ELi2ELb1ELb0ELb1ELb0EdKddEv17rocblas_diagonal_iiT6_lPT7_lllS4_lllPT8_llli
                                        ; -- End function
	.set _ZL30rocblas_trmm_outofplace_kernelIdLi32ELi2ELb1ELb0ELb1ELb0EdKddEv17rocblas_diagonal_iiT6_lPT7_lllS4_lllPT8_llli.num_vgpr, 80
	.set _ZL30rocblas_trmm_outofplace_kernelIdLi32ELi2ELb1ELb0ELb1ELb0EdKddEv17rocblas_diagonal_iiT6_lPT7_lllS4_lllPT8_llli.num_agpr, 0
	.set _ZL30rocblas_trmm_outofplace_kernelIdLi32ELi2ELb1ELb0ELb1ELb0EdKddEv17rocblas_diagonal_iiT6_lPT7_lllS4_lllPT8_llli.numbered_sgpr, 55
	.set _ZL30rocblas_trmm_outofplace_kernelIdLi32ELi2ELb1ELb0ELb1ELb0EdKddEv17rocblas_diagonal_iiT6_lPT7_lllS4_lllPT8_llli.num_named_barrier, 0
	.set _ZL30rocblas_trmm_outofplace_kernelIdLi32ELi2ELb1ELb0ELb1ELb0EdKddEv17rocblas_diagonal_iiT6_lPT7_lllS4_lllPT8_llli.private_seg_size, 0
	.set _ZL30rocblas_trmm_outofplace_kernelIdLi32ELi2ELb1ELb0ELb1ELb0EdKddEv17rocblas_diagonal_iiT6_lPT7_lllS4_lllPT8_llli.uses_vcc, 1
	.set _ZL30rocblas_trmm_outofplace_kernelIdLi32ELi2ELb1ELb0ELb1ELb0EdKddEv17rocblas_diagonal_iiT6_lPT7_lllS4_lllPT8_llli.uses_flat_scratch, 0
	.set _ZL30rocblas_trmm_outofplace_kernelIdLi32ELi2ELb1ELb0ELb1ELb0EdKddEv17rocblas_diagonal_iiT6_lPT7_lllS4_lllPT8_llli.has_dyn_sized_stack, 0
	.set _ZL30rocblas_trmm_outofplace_kernelIdLi32ELi2ELb1ELb0ELb1ELb0EdKddEv17rocblas_diagonal_iiT6_lPT7_lllS4_lllPT8_llli.has_recursion, 0
	.set _ZL30rocblas_trmm_outofplace_kernelIdLi32ELi2ELb1ELb0ELb1ELb0EdKddEv17rocblas_diagonal_iiT6_lPT7_lllS4_lllPT8_llli.has_indirect_call, 0
	.section	.AMDGPU.csdata,"",@progbits
; Kernel info:
; codeLenInByte = 3228
; TotalNumSgprs: 57
; NumVgprs: 80
; ScratchSize: 0
; MemoryBound: 0
; FloatMode: 240
; IeeeMode: 1
; LDSByteSize: 16384 bytes/workgroup (compile time only)
; SGPRBlocks: 0
; VGPRBlocks: 4
; NumSGPRsForWavesPerEU: 57
; NumVGPRsForWavesPerEU: 80
; NamedBarCnt: 0
; Occupancy: 12
; WaveLimiterHint : 0
; COMPUTE_PGM_RSRC2:SCRATCH_EN: 0
; COMPUTE_PGM_RSRC2:USER_SGPR: 2
; COMPUTE_PGM_RSRC2:TRAP_HANDLER: 0
; COMPUTE_PGM_RSRC2:TGID_X_EN: 1
; COMPUTE_PGM_RSRC2:TGID_Y_EN: 1
; COMPUTE_PGM_RSRC2:TGID_Z_EN: 1
; COMPUTE_PGM_RSRC2:TIDIG_COMP_CNT: 1
	.section	.text._ZL30rocblas_trmm_outofplace_kernelIdLi32ELi2ELb1ELb1ELb1ELb0EPKdS0_dEv17rocblas_diagonal_iiT6_lPT7_lllS5_lllPT8_llli,"axG",@progbits,_ZL30rocblas_trmm_outofplace_kernelIdLi32ELi2ELb1ELb1ELb1ELb0EPKdS0_dEv17rocblas_diagonal_iiT6_lPT7_lllS5_lllPT8_llli,comdat
	.globl	_ZL30rocblas_trmm_outofplace_kernelIdLi32ELi2ELb1ELb1ELb1ELb0EPKdS0_dEv17rocblas_diagonal_iiT6_lPT7_lllS5_lllPT8_llli ; -- Begin function _ZL30rocblas_trmm_outofplace_kernelIdLi32ELi2ELb1ELb1ELb1ELb0EPKdS0_dEv17rocblas_diagonal_iiT6_lPT7_lllS5_lllPT8_llli
	.p2align	8
	.type	_ZL30rocblas_trmm_outofplace_kernelIdLi32ELi2ELb1ELb1ELb1ELb0EPKdS0_dEv17rocblas_diagonal_iiT6_lPT7_lllS5_lllPT8_llli,@function
_ZL30rocblas_trmm_outofplace_kernelIdLi32ELi2ELb1ELb1ELb1ELb0EPKdS0_dEv17rocblas_diagonal_iiT6_lPT7_lllS5_lllPT8_llli: ; @_ZL30rocblas_trmm_outofplace_kernelIdLi32ELi2ELb1ELb1ELb1ELb0EPKdS0_dEv17rocblas_diagonal_iiT6_lPT7_lllS5_lllPT8_llli
; %bb.0:
	s_load_b32 s11, s[0:1], 0x80
	s_bfe_u32 s2, ttmp6, 0x40014
	s_lshr_b32 s3, ttmp7, 16
	s_add_co_i32 s2, s2, 1
	s_bfe_u32 s5, ttmp6, 0x40008
	s_mul_i32 s4, s3, s2
	s_getreg_b32 s2, hwreg(HW_REG_IB_STS2, 6, 4)
	s_add_co_i32 s5, s5, s4
	s_cmp_eq_u32 s2, 0
	s_mov_b32 s35, 0
	s_cselect_b32 s34, s3, s5
	s_wait_kmcnt 0x0
	s_cmp_ge_u32 s34, s11
	s_cbranch_scc1 .LBB42_55
; %bb.1:
	s_clause 0x2
	s_load_b96 s[8:10], s[0:1], 0x0
	s_load_b256 s[36:43], s[0:1], 0x50
	s_load_b512 s[12:27], s[0:1], 0x10
	s_bfe_u32 s4, ttmp6, 0x4000c
	s_and_b32 s3, ttmp6, 15
	s_add_co_i32 s4, s4, 1
	s_bfe_u32 s5, ttmp6, 0x40010
	s_mul_i32 s4, ttmp9, s4
	s_and_b32 s6, ttmp7, 0xffff
	s_add_co_i32 s5, s5, 1
	s_add_co_i32 s3, s3, s4
	s_bfe_u32 s7, ttmp6, 0x40004
	s_mul_i32 s5, s6, s5
	v_and_b32_e32 v2, 0x3ff, v0
	s_add_co_i32 s7, s7, s5
	v_bfe_u32 v0, v0, 10, 10
	v_mov_b64_e32 v[8:9], 0
	v_mov_b64_e32 v[10:11], 1.0
	v_dual_mov_b32 v6, 0 :: v_dual_lshlrev_b32 v12, 3, v2
	s_wait_kmcnt 0x0
	s_add_co_i32 s28, s10, -1
	v_lshlrev_b32_e32 v7, 8, v0
	s_ashr_i32 s29, s28, 31
	s_mov_b32 s44, s10
	s_lshr_b32 s4, s29, 27
	v_mov_b32_e32 v1, v6
	s_add_co_i32 s28, s28, s4
	s_lshl_b64 s[4:5], s[42:43], 3
	s_ashr_i32 s33, s28, 5
	s_cmp_eq_u32 s2, 0
	v_mov_b32_e32 v3, v6
	s_cselect_b32 s48, s6, s7
	s_cselect_b32 s2, ttmp9, s3
	s_cmp_le_i32 s48, s33
	v_dual_mov_b32 v23, v6 :: v_dual_add_nc_u32 v62, 0x2000, v7
	s_cselect_b32 s49, -1, 0
	s_lshl_b32 s50, s2, 5
	s_cmp_gt_i32 s2, -1
	v_add_nc_u32_e32 v4, s50, v2
	s_cselect_b32 s51, -1, 0
	s_cmp_eq_u32 s8, 0x84
	v_mov_b32_e32 v13, v6
	s_cselect_b32 s52, -1, 0
	v_ashrrev_i32_e32 v5, 31, v4
	s_lshl_b64 s[2:3], s[18:19], 3
	v_dual_lshlrev_b32 v22, 3, v0 :: v_dual_add_nc_u32 v63, v12, v7
	s_load_b128 s[28:31], s[0:1], 0x70
	s_delay_alu instid0(VALU_DEP_2)
	v_lshl_add_u64 v[14:15], v[4:5], 3, 0x80
	v_mul_u64_e32 v[16:17], s[20:21], v[4:5]
	s_add_nc_u64 s[40:41], s[40:41], s[4:5]
	s_lshl_b64 s[4:5], s[26:27], 3
	v_sub_nc_u64_e32 v[18:19], v[4:5], v[0:1]
	v_mad_nc_u64_u32 v[20:21], s20, v14, s[2:3]
	s_add_nc_u64 s[4:5], s[24:25], s[4:5]
	s_mov_b32 s18, s9
	v_add_nc_u64_e32 v[26:27], s[4:5], v[12:13]
	s_ashr_i32 s19, s9, 31
	s_add_nc_u64 s[42:43], s[0:1], 0x88
	v_lshl_add_u32 v65, s48, 5, v0
	s_wait_xcnt 0x0
	v_cmp_le_i32_e64 s0, s9, v4
	v_cmp_gt_i32_e64 s1, s9, v4
	v_add_nc_u32_e32 v13, 0x800, v12
	v_add_nc_u32_e32 v66, 0x1000, v12
	v_mad_u32 v7, s21, v14, v21
	v_add_nc_u32_e32 v14, 16, v4
	v_add_nc_u32_e32 v64, v62, v12
	;; [unrolled: 1-line block ×3, first 2 shown]
	s_ashr_i32 s45, s10, 31
	s_lshl_b64 s[24:25], s[36:37], 3
	s_lshl_b64 s[22:23], s[22:23], 3
	s_delay_alu instid0(VALU_DEP_4)
	v_mad_u32 v21, s20, v15, v7
	v_ashrrev_i32_e32 v15, 31, v14
	s_add_nc_u64 s[20:21], s[18:19], -16
	v_lshl_add_u64 v[24:25], v[16:17], 3, s[2:3]
	v_add_nc_u64_e32 v[16:17], 16, v[4:5]
	v_cmp_gt_i32_e64 s2, s9, v14
	s_delay_alu instid0(VALU_DEP_3)
	v_add_nc_u64_e32 v[28:29], v[24:25], v[22:23]
	v_add_nc_u64_e32 v[30:31], v[20:21], v[22:23]
	;; [unrolled: 1-line block ×3, first 2 shown]
	v_cmp_le_i64_e64 s3, s[18:19], v[16:17]
	v_add_nc_u64_e32 v[22:23], 16, v[18:19]
	v_add_nc_u64_e32 v[24:25], -16, v[18:19]
	v_add_nc_u64_e32 v[26:27], s[16:17], v[28:29]
	v_add_nc_u64_e32 v[28:29], s[16:17], v[30:31]
	s_lshl_b64 s[16:17], s[38:39], 3
	s_branch .LBB42_4
.LBB42_2:                               ;   in Loop: Header=BB42_4 Depth=1
	s_add_co_i32 s34, s34, 0x10000
	s_delay_alu instid0(SALU_CYCLE_1)
	s_cmp_ge_u32 s34, s11
	s_cselect_b32 s4, -1, 0
.LBB42_3:                               ;   in Loop: Header=BB42_4 Depth=1
	s_delay_alu instid0(SALU_CYCLE_1)
	s_and_b32 vcc_lo, exec_lo, s4
	s_cbranch_vccnz .LBB42_55
.LBB42_4:                               ; =>This Loop Header: Depth=1
                                        ;     Child Loop BB42_8 Depth 2
                                        ;       Child Loop BB42_11 Depth 3
	s_mul_u64 s[4:5], s[14:15], s[34:35]
	s_delay_alu instid0(SALU_CYCLE_1) | instskip(NEXT) | instid1(SALU_CYCLE_1)
	s_lshl_b64 s[4:5], s[4:5], 3
	s_add_nc_u64 s[4:5], s[12:13], s[4:5]
	global_load_b64 v[30:31], v6, s[4:5]
	s_wait_xcnt 0x0
	s_mov_b32 s4, -1
	s_wait_loadcnt 0x0
	v_cmp_eq_f64_e32 vcc_lo, 0, v[30:31]
	s_cbranch_vccnz .LBB42_3
; %bb.5:                                ;   in Loop: Header=BB42_4 Depth=1
	s_and_not1_b32 vcc_lo, exec_lo, s49
	s_cbranch_vccnz .LBB42_2
; %bb.6:                                ;   in Loop: Header=BB42_4 Depth=1
	s_load_b32 s9, s[42:43], 0x4
	v_mad_nc_u64_u32 v[32:33], s16, s34, v[20:21]
	v_mad_nc_u64_u32 v[34:35], s22, s34, v[28:29]
	;; [unrolled: 1-line block ×3, first 2 shown]
	s_mul_i32 s6, s23, s34
	s_wait_kmcnt 0x0
	s_mul_u64 s[4:5], s[30:31], s[34:35]
	v_mov_b32_e32 v38, v65
	s_lshl_b64 s[4:5], s[4:5], 3
	s_mov_b32 s54, s48
	s_add_nc_u64 s[26:27], s[40:41], s[4:5]
	s_delay_alu instid0(VALU_DEP_4) | instskip(NEXT) | instid1(VALU_DEP_3)
	v_mad_u32 v33, s17, s34, v33
	v_dual_add_nc_u32 v35, s6, v35 :: v_dual_add_nc_u32 v37, s6, v37
	s_lshl_b32 s53, s9, 5
	s_branch .LBB42_8
.LBB42_7:                               ;   in Loop: Header=BB42_8 Depth=2
	s_wait_xcnt 0x0
	s_or_b32 exec_lo, exec_lo, s4
	v_add_nc_u32_e32 v38, s53, v38
	s_add_co_i32 s54, s9, s54
	s_delay_alu instid0(SALU_CYCLE_1)
	s_cmp_gt_i32 s54, s33
	s_cbranch_scc1 .LBB42_2
.LBB42_8:                               ;   Parent Loop BB42_4 Depth=1
                                        ; =>  This Loop Header: Depth=2
                                        ;       Child Loop BB42_11 Depth 3
	v_lshl_add_u32 v40, s54, 5, v0
	v_mov_b64_e32 v[48:49], 0
	v_mov_b64_e32 v[46:47], 0
	;; [unrolled: 1-line block ×4, first 2 shown]
	v_ashrrev_i32_e32 v41, 31, v40
	s_and_not1_b32 vcc_lo, exec_lo, s51
	s_cbranch_vccnz .LBB42_47
; %bb.9:                                ;   in Loop: Header=BB42_8 Depth=2
	v_ashrrev_i32_e32 v39, 31, v38
	v_mad_nc_u64_u32 v[50:51], s24, v38, v[32:33]
	v_sub_nc_u64_e32 v[44:45], s[44:45], v[40:41]
	v_mov_b64_e32 v[46:47], 0
	v_mov_b64_e32 v[48:49], 0
	v_lshl_add_u64 v[42:43], v[38:39], 3, 0x80
	s_mov_b64 s[38:39], 0
	s_mov_b64 s[46:47], 0
	s_delay_alu instid0(VALU_DEP_4) | instskip(NEXT) | instid1(VALU_DEP_2)
	v_cmp_lt_i64_e32 vcc_lo, 0, v[44:45]
	v_mad_nc_u64_u32 v[52:53], s36, v42, v[32:33]
	v_cmp_lt_i64_e64 s4, 16, v[44:45]
	v_mad_u32 v7, s25, v38, v51
	v_mov_b64_e32 v[44:45], 0
	s_delay_alu instid0(VALU_DEP_4) | instskip(NEXT) | instid1(VALU_DEP_3)
	v_mad_u32 v42, s37, v42, v53
	v_mad_u32 v51, s24, v39, v7
	s_delay_alu instid0(VALU_DEP_2)
	v_mad_u32 v53, s36, v43, v42
	v_mov_b64_e32 v[42:43], 0
	s_branch .LBB42_11
.LBB42_10:                              ;   in Loop: Header=BB42_11 Depth=3
	s_wait_xcnt 0x0
	s_or_b32 exec_lo, exec_lo, s5
	s_wait_dscnt 0x0
	s_barrier_signal -1
	s_barrier_wait -1
	ds_load_b128 v[54:57], v62
	ds_load_2addr_b64 v[58:61], v12 offset1:16
	ds_load_b128 v[68:71], v62 offset:4096
	ds_load_b128 v[72:75], v62 offset:16
	;; [unrolled: 1-line block ×3, first 2 shown]
	s_add_nc_u64 s[46:47], s[46:47], 32
	s_add_nc_u64 s[38:39], s[38:39], 0x100
	s_sub_co_i32 s5, s46, 32
	s_delay_alu instid0(SALU_CYCLE_1)
	s_cmp_ge_i32 s5, s50
	s_wait_dscnt 0x3
	v_fmac_f64_e32 v[48:49], v[58:59], v[54:55]
	v_fmac_f64_e32 v[46:47], v[60:61], v[54:55]
	s_wait_dscnt 0x2
	v_fmac_f64_e32 v[44:45], v[58:59], v[68:69]
	v_fmac_f64_e32 v[42:43], v[60:61], v[68:69]
	ds_load_2addr_b64 v[58:61], v12 offset0:32 offset1:48
	s_wait_dscnt 0x0
	v_fmac_f64_e32 v[48:49], v[58:59], v[56:57]
	v_fmac_f64_e32 v[46:47], v[60:61], v[56:57]
	v_fmac_f64_e32 v[44:45], v[58:59], v[70:71]
	v_fmac_f64_e32 v[42:43], v[60:61], v[70:71]
	ds_load_2addr_b64 v[54:57], v12 offset0:64 offset1:80
	s_wait_dscnt 0x0
	v_fmac_f64_e32 v[48:49], v[54:55], v[72:73]
	v_fmac_f64_e32 v[46:47], v[56:57], v[72:73]
	v_fmac_f64_e32 v[44:45], v[54:55], v[76:77]
	v_fmac_f64_e32 v[42:43], v[56:57], v[76:77]
	ds_load_2addr_b64 v[54:57], v12 offset0:96 offset1:112
	s_wait_dscnt 0x0
	v_fmac_f64_e32 v[48:49], v[54:55], v[74:75]
	v_fmac_f64_e32 v[46:47], v[56:57], v[74:75]
	v_fmac_f64_e32 v[44:45], v[54:55], v[78:79]
	v_fmac_f64_e32 v[42:43], v[56:57], v[78:79]
	ds_load_b128 v[54:57], v62 offset:32
	ds_load_2addr_b64 v[58:61], v12 offset0:128 offset1:144
	ds_load_b128 v[68:71], v62 offset:4128
	ds_load_b128 v[72:75], v62 offset:48
	ds_load_b128 v[76:79], v62 offset:4144
	s_wait_dscnt 0x3
	v_fmac_f64_e32 v[48:49], v[58:59], v[54:55]
	v_fmac_f64_e32 v[46:47], v[60:61], v[54:55]
	s_wait_dscnt 0x2
	v_fmac_f64_e32 v[44:45], v[58:59], v[68:69]
	v_fmac_f64_e32 v[42:43], v[60:61], v[68:69]
	ds_load_2addr_b64 v[58:61], v12 offset0:160 offset1:176
	s_wait_dscnt 0x0
	v_fmac_f64_e32 v[48:49], v[58:59], v[56:57]
	v_fmac_f64_e32 v[46:47], v[60:61], v[56:57]
	v_fmac_f64_e32 v[44:45], v[58:59], v[70:71]
	v_fmac_f64_e32 v[42:43], v[60:61], v[70:71]
	ds_load_2addr_b64 v[54:57], v12 offset0:192 offset1:208
	s_wait_dscnt 0x0
	v_fmac_f64_e32 v[48:49], v[54:55], v[72:73]
	v_fmac_f64_e32 v[46:47], v[56:57], v[72:73]
	v_fmac_f64_e32 v[44:45], v[54:55], v[76:77]
	v_fmac_f64_e32 v[42:43], v[56:57], v[76:77]
	ds_load_2addr_b64 v[54:57], v12 offset0:224 offset1:240
	s_wait_dscnt 0x0
	v_fmac_f64_e32 v[48:49], v[54:55], v[74:75]
	v_fmac_f64_e32 v[46:47], v[56:57], v[74:75]
	v_fmac_f64_e32 v[44:45], v[54:55], v[78:79]
	v_fmac_f64_e32 v[42:43], v[56:57], v[78:79]
	ds_load_b128 v[54:57], v62 offset:64
	ds_load_2addr_b64 v[58:61], v13 offset1:16
	ds_load_b128 v[68:71], v62 offset:4160
	ds_load_b128 v[72:75], v62 offset:80
	ds_load_b128 v[76:79], v62 offset:4176
	s_wait_dscnt 0x3
	v_fmac_f64_e32 v[48:49], v[58:59], v[54:55]
	v_fmac_f64_e32 v[46:47], v[60:61], v[54:55]
	s_wait_dscnt 0x2
	v_fmac_f64_e32 v[44:45], v[58:59], v[68:69]
	v_fmac_f64_e32 v[42:43], v[60:61], v[68:69]
	ds_load_2addr_b64 v[58:61], v13 offset0:32 offset1:48
	s_wait_dscnt 0x0
	v_fmac_f64_e32 v[48:49], v[58:59], v[56:57]
	v_fmac_f64_e32 v[46:47], v[60:61], v[56:57]
	v_fmac_f64_e32 v[44:45], v[58:59], v[70:71]
	v_fmac_f64_e32 v[42:43], v[60:61], v[70:71]
	ds_load_2addr_b64 v[54:57], v13 offset0:64 offset1:80
	s_wait_dscnt 0x0
	v_fmac_f64_e32 v[48:49], v[54:55], v[72:73]
	v_fmac_f64_e32 v[46:47], v[56:57], v[72:73]
	v_fmac_f64_e32 v[44:45], v[54:55], v[76:77]
	v_fmac_f64_e32 v[42:43], v[56:57], v[76:77]
	ds_load_2addr_b64 v[54:57], v13 offset0:96 offset1:112
	s_wait_dscnt 0x0
	v_fmac_f64_e32 v[48:49], v[54:55], v[74:75]
	v_fmac_f64_e32 v[46:47], v[56:57], v[74:75]
	v_fmac_f64_e32 v[44:45], v[54:55], v[78:79]
	v_fmac_f64_e32 v[42:43], v[56:57], v[78:79]
	ds_load_b128 v[54:57], v62 offset:96
	ds_load_2addr_b64 v[58:61], v13 offset0:128 offset1:144
	ds_load_b128 v[68:71], v62 offset:4192
	ds_load_b128 v[72:75], v62 offset:112
	ds_load_b128 v[76:79], v62 offset:4208
	s_wait_dscnt 0x3
	v_fmac_f64_e32 v[48:49], v[58:59], v[54:55]
	v_fmac_f64_e32 v[46:47], v[60:61], v[54:55]
	s_wait_dscnt 0x2
	v_fmac_f64_e32 v[44:45], v[58:59], v[68:69]
	v_fmac_f64_e32 v[42:43], v[60:61], v[68:69]
	ds_load_2addr_b64 v[58:61], v13 offset0:160 offset1:176
	s_wait_dscnt 0x0
	v_fmac_f64_e32 v[48:49], v[58:59], v[56:57]
	v_fmac_f64_e32 v[46:47], v[60:61], v[56:57]
	v_fmac_f64_e32 v[44:45], v[58:59], v[70:71]
	v_fmac_f64_e32 v[42:43], v[60:61], v[70:71]
	ds_load_2addr_b64 v[54:57], v13 offset0:192 offset1:208
	s_wait_dscnt 0x0
	v_fmac_f64_e32 v[48:49], v[54:55], v[72:73]
	v_fmac_f64_e32 v[46:47], v[56:57], v[72:73]
	v_fmac_f64_e32 v[44:45], v[54:55], v[76:77]
	v_fmac_f64_e32 v[42:43], v[56:57], v[76:77]
	ds_load_2addr_b64 v[54:57], v13 offset0:224 offset1:240
	s_wait_dscnt 0x0
	v_fmac_f64_e32 v[48:49], v[54:55], v[74:75]
	v_fmac_f64_e32 v[46:47], v[56:57], v[74:75]
	v_fmac_f64_e32 v[44:45], v[54:55], v[78:79]
	v_fmac_f64_e32 v[42:43], v[56:57], v[78:79]
	ds_load_b128 v[54:57], v62 offset:128
	ds_load_2addr_b64 v[58:61], v66 offset1:16
	ds_load_b128 v[68:71], v62 offset:4224
	ds_load_b128 v[72:75], v62 offset:144
	ds_load_b128 v[76:79], v62 offset:4240
	s_wait_dscnt 0x3
	v_fmac_f64_e32 v[48:49], v[58:59], v[54:55]
	v_fmac_f64_e32 v[46:47], v[60:61], v[54:55]
	s_wait_dscnt 0x2
	v_fmac_f64_e32 v[44:45], v[58:59], v[68:69]
	v_fmac_f64_e32 v[42:43], v[60:61], v[68:69]
	ds_load_2addr_b64 v[58:61], v66 offset0:32 offset1:48
	s_wait_dscnt 0x0
	v_fmac_f64_e32 v[48:49], v[58:59], v[56:57]
	v_fmac_f64_e32 v[46:47], v[60:61], v[56:57]
	v_fmac_f64_e32 v[44:45], v[58:59], v[70:71]
	v_fmac_f64_e32 v[42:43], v[60:61], v[70:71]
	ds_load_2addr_b64 v[54:57], v66 offset0:64 offset1:80
	s_wait_dscnt 0x0
	v_fmac_f64_e32 v[48:49], v[54:55], v[72:73]
	v_fmac_f64_e32 v[46:47], v[56:57], v[72:73]
	v_fmac_f64_e32 v[44:45], v[54:55], v[76:77]
	v_fmac_f64_e32 v[42:43], v[56:57], v[76:77]
	ds_load_2addr_b64 v[54:57], v66 offset0:96 offset1:112
	s_wait_dscnt 0x0
	v_fmac_f64_e32 v[48:49], v[54:55], v[74:75]
	v_fmac_f64_e32 v[46:47], v[56:57], v[74:75]
	v_fmac_f64_e32 v[44:45], v[54:55], v[78:79]
	v_fmac_f64_e32 v[42:43], v[56:57], v[78:79]
	ds_load_b128 v[54:57], v62 offset:160
	ds_load_2addr_b64 v[58:61], v66 offset0:128 offset1:144
	ds_load_b128 v[68:71], v62 offset:4256
	ds_load_b128 v[72:75], v62 offset:176
	ds_load_b128 v[76:79], v62 offset:4272
	s_wait_dscnt 0x3
	v_fmac_f64_e32 v[48:49], v[58:59], v[54:55]
	v_fmac_f64_e32 v[46:47], v[60:61], v[54:55]
	s_wait_dscnt 0x2
	v_fmac_f64_e32 v[44:45], v[58:59], v[68:69]
	v_fmac_f64_e32 v[42:43], v[60:61], v[68:69]
	ds_load_2addr_b64 v[58:61], v66 offset0:160 offset1:176
	s_wait_dscnt 0x0
	v_fmac_f64_e32 v[48:49], v[58:59], v[56:57]
	v_fmac_f64_e32 v[46:47], v[60:61], v[56:57]
	v_fmac_f64_e32 v[44:45], v[58:59], v[70:71]
	v_fmac_f64_e32 v[42:43], v[60:61], v[70:71]
	ds_load_2addr_b64 v[54:57], v66 offset0:192 offset1:208
	s_wait_dscnt 0x0
	v_fmac_f64_e32 v[48:49], v[54:55], v[72:73]
	v_fmac_f64_e32 v[46:47], v[56:57], v[72:73]
	v_fmac_f64_e32 v[44:45], v[54:55], v[76:77]
	v_fmac_f64_e32 v[42:43], v[56:57], v[76:77]
	ds_load_2addr_b64 v[54:57], v66 offset0:224 offset1:240
	s_wait_dscnt 0x0
	v_fmac_f64_e32 v[48:49], v[54:55], v[74:75]
	v_fmac_f64_e32 v[46:47], v[56:57], v[74:75]
	v_fmac_f64_e32 v[44:45], v[54:55], v[78:79]
	v_fmac_f64_e32 v[42:43], v[56:57], v[78:79]
	ds_load_b128 v[54:57], v62 offset:192
	ds_load_2addr_b64 v[58:61], v67 offset1:16
	ds_load_b128 v[68:71], v62 offset:4288
	ds_load_b128 v[72:75], v62 offset:208
	ds_load_b128 v[76:79], v62 offset:4304
	s_wait_dscnt 0x3
	v_fmac_f64_e32 v[48:49], v[58:59], v[54:55]
	v_fmac_f64_e32 v[46:47], v[60:61], v[54:55]
	s_wait_dscnt 0x2
	v_fmac_f64_e32 v[44:45], v[58:59], v[68:69]
	v_fmac_f64_e32 v[42:43], v[60:61], v[68:69]
	ds_load_2addr_b64 v[58:61], v67 offset0:32 offset1:48
	s_wait_dscnt 0x0
	v_fmac_f64_e32 v[48:49], v[58:59], v[56:57]
	v_fmac_f64_e32 v[46:47], v[60:61], v[56:57]
	v_fmac_f64_e32 v[44:45], v[58:59], v[70:71]
	v_fmac_f64_e32 v[42:43], v[60:61], v[70:71]
	ds_load_2addr_b64 v[54:57], v67 offset0:64 offset1:80
	s_wait_dscnt 0x0
	v_fmac_f64_e32 v[48:49], v[54:55], v[72:73]
	v_fmac_f64_e32 v[46:47], v[56:57], v[72:73]
	;; [unrolled: 6-line block ×3, first 2 shown]
	v_fmac_f64_e32 v[44:45], v[54:55], v[78:79]
	v_fmac_f64_e32 v[42:43], v[56:57], v[78:79]
	ds_load_b128 v[54:57], v62 offset:224
	ds_load_2addr_b64 v[58:61], v67 offset0:128 offset1:144
	ds_load_b128 v[68:71], v62 offset:4320
	ds_load_b128 v[72:75], v62 offset:240
	;; [unrolled: 1-line block ×3, first 2 shown]
	s_wait_dscnt 0x3
	v_fmac_f64_e32 v[48:49], v[58:59], v[54:55]
	v_fmac_f64_e32 v[46:47], v[60:61], v[54:55]
	s_wait_dscnt 0x2
	v_fmac_f64_e32 v[44:45], v[58:59], v[68:69]
	v_fmac_f64_e32 v[42:43], v[60:61], v[68:69]
	ds_load_2addr_b64 v[58:61], v67 offset0:160 offset1:176
	s_wait_dscnt 0x0
	v_fmac_f64_e32 v[48:49], v[58:59], v[56:57]
	v_fmac_f64_e32 v[46:47], v[60:61], v[56:57]
	;; [unrolled: 1-line block ×4, first 2 shown]
	ds_load_2addr_b64 v[54:57], v67 offset0:192 offset1:208
	s_wait_dscnt 0x0
	v_fmac_f64_e32 v[48:49], v[54:55], v[72:73]
	v_fmac_f64_e32 v[46:47], v[56:57], v[72:73]
	;; [unrolled: 1-line block ×4, first 2 shown]
	ds_load_2addr_b64 v[54:57], v67 offset0:224 offset1:240
	s_wait_dscnt 0x0
	s_barrier_signal -1
	s_barrier_wait -1
	v_fmac_f64_e32 v[48:49], v[54:55], v[74:75]
	v_fmac_f64_e32 v[46:47], v[56:57], v[74:75]
	;; [unrolled: 1-line block ×4, first 2 shown]
	s_cbranch_scc1 .LBB42_47
.LBB42_11:                              ;   Parent Loop BB42_4 Depth=1
                                        ;     Parent Loop BB42_8 Depth=2
                                        ; =>    This Inner Loop Header: Depth=3
	v_add_nc_u64_e32 v[58:59], s[46:47], v[0:1]
	v_cmp_eq_u64_e64 s7, s[46:47], v[18:19]
	v_add_nc_u64_e32 v[54:55], s[38:39], v[36:37]
                                        ; implicit-def: $vgpr60_vgpr61
	s_delay_alu instid0(VALU_DEP_3) | instskip(SKIP_3) | instid1(SALU_CYCLE_1)
	v_cmp_le_i64_e64 s6, s[18:19], v[58:59]
	v_cmp_gt_i64_e64 s5, v[58:59], v[4:5]
	s_and_b32 s55, s52, s7
	s_or_b32 s7, s6, s5
	s_or_b32 s7, s7, s55
	s_delay_alu instid0(SALU_CYCLE_1) | instskip(NEXT) | instid1(SALU_CYCLE_1)
	s_nor_b32 s7, s0, s7
	s_and_saveexec_b32 s8, s7
	s_delay_alu instid0(SALU_CYCLE_1)
	s_xor_b32 s7, exec_lo, s8
	s_cbranch_execz .LBB42_13
; %bb.12:                               ;   in Loop: Header=BB42_11 Depth=3
	global_load_b64 v[60:61], v[54:55], off
.LBB42_13:                              ;   in Loop: Header=BB42_11 Depth=3
	s_wait_xcnt 0x0
	s_and_not1_saveexec_b32 s7, s7
	s_cbranch_execz .LBB42_15
; %bb.14:                               ;   in Loop: Header=BB42_11 Depth=3
	v_cndmask_b32_e64 v7, 0, 0x3ff00000, s55
	s_wait_loadcnt 0x0
	s_delay_alu instid0(VALU_DEP_1)
	v_mov_b64_e32 v[60:61], v[6:7]
.LBB42_15:                              ;   in Loop: Header=BB42_11 Depth=3
	s_or_b32 exec_lo, exec_lo, s7
	v_cmp_eq_u64_e64 s7, s[46:47], v[22:23]
	v_cmp_lt_i64_e64 s8, v[16:17], v[58:59]
	v_add_nc_u64_e32 v[56:57], s[38:39], v[34:35]
	s_wait_loadcnt 0x0
	ds_store_b64 v63, v[60:61]
	s_and_b32 s7, s52, s7
	s_or_b32 s6, s6, s8
	s_delay_alu instid0(SALU_CYCLE_1) | instskip(NEXT) | instid1(SALU_CYCLE_1)
	s_or_b32 s6, s6, s7
	s_nor_b32 s6, s3, s6
	s_delay_alu instid0(SALU_CYCLE_1) | instskip(NEXT) | instid1(SALU_CYCLE_1)
	s_and_saveexec_b32 s8, s6
	s_xor_b32 s6, exec_lo, s8
	s_cbranch_execz .LBB42_17
; %bb.16:                               ;   in Loop: Header=BB42_11 Depth=3
	global_load_b64 v[60:61], v[56:57], off
	s_wait_loadcnt 0x0
	ds_store_b64 v63, v[60:61] offset:128
.LBB42_17:                              ;   in Loop: Header=BB42_11 Depth=3
	s_wait_xcnt 0x0
	s_and_not1_saveexec_b32 s6, s6
	s_cbranch_execz .LBB42_23
; %bb.18:                               ;   in Loop: Header=BB42_11 Depth=3
	s_xor_b32 s7, s7, -1
	s_delay_alu instid0(SALU_CYCLE_1) | instskip(NEXT) | instid1(SALU_CYCLE_1)
	s_and_saveexec_b32 s8, s7
	s_xor_b32 s7, exec_lo, s8
; %bb.19:                               ;   in Loop: Header=BB42_11 Depth=3
	ds_store_b64 v63, v[8:9] offset:128
; %bb.20:                               ;   in Loop: Header=BB42_11 Depth=3
	s_and_not1_saveexec_b32 s7, s7
; %bb.21:                               ;   in Loop: Header=BB42_11 Depth=3
	ds_store_b64 v63, v[10:11] offset:128
; %bb.22:                               ;   in Loop: Header=BB42_11 Depth=3
	s_or_b32 exec_lo, exec_lo, s7
.LBB42_23:                              ;   in Loop: Header=BB42_11 Depth=3
	s_delay_alu instid0(SALU_CYCLE_1) | instskip(SKIP_2) | instid1(VALU_DEP_2)
	s_or_b32 exec_lo, exec_lo, s6
	v_add_nc_u64_e32 v[58:59], 16, v[58:59]
	v_cmp_eq_u64_e64 s7, s[46:47], v[24:25]
	v_cmp_le_i64_e64 s6, s[18:19], v[58:59]
	v_cmp_gt_i64_e64 s8, v[58:59], v[4:5]
	s_and_b32 s7, s52, s7
                                        ; implicit-def: $vgpr58_vgpr59
	s_or_b32 s8, s6, s8
	s_delay_alu instid0(SALU_CYCLE_1) | instskip(NEXT) | instid1(SALU_CYCLE_1)
	s_or_b32 s8, s8, s7
	s_nor_b32 s8, s0, s8
	s_delay_alu instid0(SALU_CYCLE_1) | instskip(NEXT) | instid1(SALU_CYCLE_1)
	s_and_saveexec_b32 s56, s8
	s_xor_b32 s8, exec_lo, s56
	s_cbranch_execz .LBB42_25
; %bb.24:                               ;   in Loop: Header=BB42_11 Depth=3
	global_load_b64 v[58:59], v[54:55], off offset:128
.LBB42_25:                              ;   in Loop: Header=BB42_11 Depth=3
	s_wait_xcnt 0x0
	s_and_not1_saveexec_b32 s8, s8
	s_cbranch_execz .LBB42_27
; %bb.26:                               ;   in Loop: Header=BB42_11 Depth=3
	v_cndmask_b32_e64 v7, 0, 0x3ff00000, s7
	s_wait_loadcnt 0x0
	s_delay_alu instid0(VALU_DEP_1)
	v_mov_b64_e32 v[58:59], v[6:7]
.LBB42_27:                              ;   in Loop: Header=BB42_11 Depth=3
	s_or_b32 exec_lo, exec_lo, s8
	s_or_b32 s5, s6, s5
	s_wait_loadcnt 0x0
	ds_store_b64 v63, v[58:59] offset:4096
	s_or_b32 s5, s5, s55
	s_delay_alu instid0(SALU_CYCLE_1) | instskip(NEXT) | instid1(SALU_CYCLE_1)
	s_nor_b32 s5, s3, s5
	s_and_saveexec_b32 s6, s5
	s_delay_alu instid0(SALU_CYCLE_1)
	s_xor_b32 s5, exec_lo, s6
	s_cbranch_execz .LBB42_29
; %bb.28:                               ;   in Loop: Header=BB42_11 Depth=3
	global_load_b64 v[54:55], v[56:57], off offset:128
	s_wait_loadcnt 0x0
	ds_store_b64 v63, v[54:55] offset:4224
.LBB42_29:                              ;   in Loop: Header=BB42_11 Depth=3
	s_wait_xcnt 0x0
	s_and_not1_saveexec_b32 s5, s5
	s_cbranch_execz .LBB42_35
; %bb.30:                               ;   in Loop: Header=BB42_11 Depth=3
	s_xor_b32 s6, s55, -1
	s_delay_alu instid0(SALU_CYCLE_1) | instskip(NEXT) | instid1(SALU_CYCLE_1)
	s_and_saveexec_b32 s7, s6
	s_xor_b32 s6, exec_lo, s7
; %bb.31:                               ;   in Loop: Header=BB42_11 Depth=3
	ds_store_b64 v63, v[8:9] offset:4224
; %bb.32:                               ;   in Loop: Header=BB42_11 Depth=3
	s_and_not1_saveexec_b32 s6, s6
; %bb.33:                               ;   in Loop: Header=BB42_11 Depth=3
	ds_store_b64 v63, v[10:11] offset:4224
; %bb.34:                               ;   in Loop: Header=BB42_11 Depth=3
	s_or_b32 exec_lo, exec_lo, s6
.LBB42_35:                              ;   in Loop: Header=BB42_11 Depth=3
	s_delay_alu instid0(SALU_CYCLE_1) | instskip(SKIP_3) | instid1(VALU_DEP_3)
	s_or_b32 exec_lo, exec_lo, s5
	v_add_nc_u64_e32 v[56:57], s[46:47], v[2:3]
	v_add_nc_u64_e32 v[54:55], s[38:39], v[50:51]
	v_mov_b64_e32 v[58:59], 0
	v_cmp_gt_i64_e64 s5, s[18:19], v[56:57]
	s_and_b32 s7, vcc_lo, s5
	s_delay_alu instid0(SALU_CYCLE_1)
	s_and_saveexec_b32 s6, s7
	s_cbranch_execz .LBB42_37
; %bb.36:                               ;   in Loop: Header=BB42_11 Depth=3
	global_load_b64 v[58:59], v[54:55], off offset:-128
.LBB42_37:                              ;   in Loop: Header=BB42_11 Depth=3
	s_wait_xcnt 0x0
	s_or_b32 exec_lo, exec_lo, s6
	v_cmp_gt_i64_e64 s6, s[20:21], v[56:57]
	s_wait_loadcnt 0x0
	ds_store_b64 v64, v[58:59]
	s_and_b32 s7, vcc_lo, s6
	s_delay_alu instid0(SALU_CYCLE_1) | instskip(NEXT) | instid1(SALU_CYCLE_1)
	s_xor_b32 s7, s7, -1
	s_and_saveexec_b32 s8, s7
	s_delay_alu instid0(SALU_CYCLE_1)
	s_xor_b32 s7, exec_lo, s8
; %bb.38:                               ;   in Loop: Header=BB42_11 Depth=3
	ds_store_b64 v64, v[8:9] offset:128
                                        ; implicit-def: $vgpr54_vgpr55
; %bb.39:                               ;   in Loop: Header=BB42_11 Depth=3
	s_and_not1_saveexec_b32 s7, s7
	s_cbranch_execz .LBB42_41
; %bb.40:                               ;   in Loop: Header=BB42_11 Depth=3
	global_load_b64 v[54:55], v[54:55], off
	s_wait_loadcnt 0x0
	ds_store_b64 v64, v[54:55] offset:128
.LBB42_41:                              ;   in Loop: Header=BB42_11 Depth=3
	s_wait_xcnt 0x0
	s_or_b32 exec_lo, exec_lo, s7
	v_add_nc_u64_e32 v[54:55], s[38:39], v[52:53]
	v_mov_b64_e32 v[56:57], 0
	s_and_b32 s7, s4, s5
	s_delay_alu instid0(SALU_CYCLE_1)
	s_and_saveexec_b32 s5, s7
	s_cbranch_execz .LBB42_43
; %bb.42:                               ;   in Loop: Header=BB42_11 Depth=3
	global_load_b64 v[56:57], v[54:55], off offset:-128
.LBB42_43:                              ;   in Loop: Header=BB42_11 Depth=3
	s_wait_xcnt 0x0
	s_or_b32 exec_lo, exec_lo, s5
	s_and_b32 s5, s4, s6
	s_wait_loadcnt 0x0
	ds_store_b64 v64, v[56:57] offset:4096
	s_xor_b32 s5, s5, -1
	s_delay_alu instid0(SALU_CYCLE_1) | instskip(NEXT) | instid1(SALU_CYCLE_1)
	s_and_saveexec_b32 s6, s5
	s_xor_b32 s5, exec_lo, s6
; %bb.44:                               ;   in Loop: Header=BB42_11 Depth=3
	ds_store_b64 v64, v[8:9] offset:4224
                                        ; implicit-def: $vgpr54_vgpr55
; %bb.45:                               ;   in Loop: Header=BB42_11 Depth=3
	s_and_not1_saveexec_b32 s5, s5
	s_cbranch_execz .LBB42_10
; %bb.46:                               ;   in Loop: Header=BB42_11 Depth=3
	global_load_b64 v[54:55], v[54:55], off
	s_wait_loadcnt 0x0
	ds_store_b64 v64, v[54:55] offset:4224
	s_branch .LBB42_10
.LBB42_47:                              ;   in Loop: Header=BB42_8 Depth=2
	s_delay_alu instid0(VALU_DEP_1) | instskip(SKIP_2) | instid1(VALU_DEP_2)
	v_mul_u64_e32 v[50:51], s[28:29], v[40:41]
	v_cmp_gt_i32_e32 vcc_lo, s10, v40
	s_and_b32 s5, s1, vcc_lo
	v_lshl_add_u64 v[50:51], v[50:51], 3, s[26:27]
	s_and_saveexec_b32 s4, s5
	s_cbranch_execz .LBB42_49
; %bb.48:                               ;   in Loop: Header=BB42_8 Depth=2
	s_delay_alu instid0(VALU_DEP_1)
	v_lshl_add_u64 v[52:53], v[4:5], 3, v[50:51]
	global_load_b64 v[54:55], v[52:53], off
	s_wait_loadcnt 0x0
	v_fmac_f64_e32 v[54:55], v[30:31], v[48:49]
	global_store_b64 v[52:53], v[54:55], off
.LBB42_49:                              ;   in Loop: Header=BB42_8 Depth=2
	s_wait_xcnt 0x0
	s_or_b32 exec_lo, exec_lo, s4
	s_and_b32 s5, s2, vcc_lo
	s_delay_alu instid0(SALU_CYCLE_1)
	s_and_saveexec_b32 s4, s5
	s_cbranch_execz .LBB42_51
; %bb.50:                               ;   in Loop: Header=BB42_8 Depth=2
	v_lshl_add_u64 v[48:49], v[14:15], 3, v[50:51]
	global_load_b64 v[50:51], v[48:49], off
	s_wait_loadcnt 0x0
	v_fmac_f64_e32 v[50:51], v[30:31], v[46:47]
	global_store_b64 v[48:49], v[50:51], off
.LBB42_51:                              ;   in Loop: Header=BB42_8 Depth=2
	s_wait_xcnt 0x0
	s_or_b32 exec_lo, exec_lo, s4
	v_add_nc_u32_e32 v40, 16, v40
	s_delay_alu instid0(VALU_DEP_1) | instskip(SKIP_1) | instid1(VALU_DEP_2)
	v_ashrrev_i32_e32 v41, 31, v40
	v_cmp_gt_i32_e32 vcc_lo, s10, v40
	v_mul_u64_e32 v[46:47], s[28:29], v[40:41]
	s_and_b32 s5, s1, vcc_lo
	s_delay_alu instid0(VALU_DEP_1)
	v_lshl_add_u64 v[40:41], v[46:47], 3, s[26:27]
	s_and_saveexec_b32 s4, s5
	s_cbranch_execz .LBB42_53
; %bb.52:                               ;   in Loop: Header=BB42_8 Depth=2
	s_delay_alu instid0(VALU_DEP_1)
	v_lshl_add_u64 v[46:47], v[4:5], 3, v[40:41]
	global_load_b64 v[48:49], v[46:47], off
	s_wait_loadcnt 0x0
	v_fmac_f64_e32 v[48:49], v[30:31], v[44:45]
	global_store_b64 v[46:47], v[48:49], off
.LBB42_53:                              ;   in Loop: Header=BB42_8 Depth=2
	s_wait_xcnt 0x0
	s_or_b32 exec_lo, exec_lo, s4
	s_and_b32 s5, s2, vcc_lo
	s_delay_alu instid0(SALU_CYCLE_1)
	s_and_saveexec_b32 s4, s5
	s_cbranch_execz .LBB42_7
; %bb.54:                               ;   in Loop: Header=BB42_8 Depth=2
	v_lshl_add_u64 v[40:41], v[14:15], 3, v[40:41]
	global_load_b64 v[44:45], v[40:41], off
	s_wait_loadcnt 0x0
	v_fmac_f64_e32 v[44:45], v[30:31], v[42:43]
	global_store_b64 v[40:41], v[44:45], off
	s_branch .LBB42_7
.LBB42_55:
	s_sendmsg sendmsg(MSG_DEALLOC_VGPRS)
	s_endpgm
	.section	.rodata,"a",@progbits
	.p2align	6, 0x0
	.amdhsa_kernel _ZL30rocblas_trmm_outofplace_kernelIdLi32ELi2ELb1ELb1ELb1ELb0EPKdS0_dEv17rocblas_diagonal_iiT6_lPT7_lllS5_lllPT8_llli
		.amdhsa_group_segment_fixed_size 16384
		.amdhsa_private_segment_fixed_size 0
		.amdhsa_kernarg_size 392
		.amdhsa_user_sgpr_count 2
		.amdhsa_user_sgpr_dispatch_ptr 0
		.amdhsa_user_sgpr_queue_ptr 0
		.amdhsa_user_sgpr_kernarg_segment_ptr 1
		.amdhsa_user_sgpr_dispatch_id 0
		.amdhsa_user_sgpr_kernarg_preload_length 0
		.amdhsa_user_sgpr_kernarg_preload_offset 0
		.amdhsa_user_sgpr_private_segment_size 0
		.amdhsa_wavefront_size32 1
		.amdhsa_uses_dynamic_stack 0
		.amdhsa_enable_private_segment 0
		.amdhsa_system_sgpr_workgroup_id_x 1
		.amdhsa_system_sgpr_workgroup_id_y 1
		.amdhsa_system_sgpr_workgroup_id_z 1
		.amdhsa_system_sgpr_workgroup_info 0
		.amdhsa_system_vgpr_workitem_id 1
		.amdhsa_next_free_vgpr 80
		.amdhsa_next_free_sgpr 57
		.amdhsa_named_barrier_count 0
		.amdhsa_reserve_vcc 1
		.amdhsa_float_round_mode_32 0
		.amdhsa_float_round_mode_16_64 0
		.amdhsa_float_denorm_mode_32 3
		.amdhsa_float_denorm_mode_16_64 3
		.amdhsa_fp16_overflow 0
		.amdhsa_memory_ordered 1
		.amdhsa_forward_progress 1
		.amdhsa_inst_pref_size 26
		.amdhsa_round_robin_scheduling 0
		.amdhsa_exception_fp_ieee_invalid_op 0
		.amdhsa_exception_fp_denorm_src 0
		.amdhsa_exception_fp_ieee_div_zero 0
		.amdhsa_exception_fp_ieee_overflow 0
		.amdhsa_exception_fp_ieee_underflow 0
		.amdhsa_exception_fp_ieee_inexact 0
		.amdhsa_exception_int_div_zero 0
	.end_amdhsa_kernel
	.section	.text._ZL30rocblas_trmm_outofplace_kernelIdLi32ELi2ELb1ELb1ELb1ELb0EPKdS0_dEv17rocblas_diagonal_iiT6_lPT7_lllS5_lllPT8_llli,"axG",@progbits,_ZL30rocblas_trmm_outofplace_kernelIdLi32ELi2ELb1ELb1ELb1ELb0EPKdS0_dEv17rocblas_diagonal_iiT6_lPT7_lllS5_lllPT8_llli,comdat
.Lfunc_end42:
	.size	_ZL30rocblas_trmm_outofplace_kernelIdLi32ELi2ELb1ELb1ELb1ELb0EPKdS0_dEv17rocblas_diagonal_iiT6_lPT7_lllS5_lllPT8_llli, .Lfunc_end42-_ZL30rocblas_trmm_outofplace_kernelIdLi32ELi2ELb1ELb1ELb1ELb0EPKdS0_dEv17rocblas_diagonal_iiT6_lPT7_lllS5_lllPT8_llli
                                        ; -- End function
	.set _ZL30rocblas_trmm_outofplace_kernelIdLi32ELi2ELb1ELb1ELb1ELb0EPKdS0_dEv17rocblas_diagonal_iiT6_lPT7_lllS5_lllPT8_llli.num_vgpr, 80
	.set _ZL30rocblas_trmm_outofplace_kernelIdLi32ELi2ELb1ELb1ELb1ELb0EPKdS0_dEv17rocblas_diagonal_iiT6_lPT7_lllS5_lllPT8_llli.num_agpr, 0
	.set _ZL30rocblas_trmm_outofplace_kernelIdLi32ELi2ELb1ELb1ELb1ELb0EPKdS0_dEv17rocblas_diagonal_iiT6_lPT7_lllS5_lllPT8_llli.numbered_sgpr, 57
	.set _ZL30rocblas_trmm_outofplace_kernelIdLi32ELi2ELb1ELb1ELb1ELb0EPKdS0_dEv17rocblas_diagonal_iiT6_lPT7_lllS5_lllPT8_llli.num_named_barrier, 0
	.set _ZL30rocblas_trmm_outofplace_kernelIdLi32ELi2ELb1ELb1ELb1ELb0EPKdS0_dEv17rocblas_diagonal_iiT6_lPT7_lllS5_lllPT8_llli.private_seg_size, 0
	.set _ZL30rocblas_trmm_outofplace_kernelIdLi32ELi2ELb1ELb1ELb1ELb0EPKdS0_dEv17rocblas_diagonal_iiT6_lPT7_lllS5_lllPT8_llli.uses_vcc, 1
	.set _ZL30rocblas_trmm_outofplace_kernelIdLi32ELi2ELb1ELb1ELb1ELb0EPKdS0_dEv17rocblas_diagonal_iiT6_lPT7_lllS5_lllPT8_llli.uses_flat_scratch, 0
	.set _ZL30rocblas_trmm_outofplace_kernelIdLi32ELi2ELb1ELb1ELb1ELb0EPKdS0_dEv17rocblas_diagonal_iiT6_lPT7_lllS5_lllPT8_llli.has_dyn_sized_stack, 0
	.set _ZL30rocblas_trmm_outofplace_kernelIdLi32ELi2ELb1ELb1ELb1ELb0EPKdS0_dEv17rocblas_diagonal_iiT6_lPT7_lllS5_lllPT8_llli.has_recursion, 0
	.set _ZL30rocblas_trmm_outofplace_kernelIdLi32ELi2ELb1ELb1ELb1ELb0EPKdS0_dEv17rocblas_diagonal_iiT6_lPT7_lllS5_lllPT8_llli.has_indirect_call, 0
	.section	.AMDGPU.csdata,"",@progbits
; Kernel info:
; codeLenInByte = 3268
; TotalNumSgprs: 59
; NumVgprs: 80
; ScratchSize: 0
; MemoryBound: 0
; FloatMode: 240
; IeeeMode: 1
; LDSByteSize: 16384 bytes/workgroup (compile time only)
; SGPRBlocks: 0
; VGPRBlocks: 4
; NumSGPRsForWavesPerEU: 59
; NumVGPRsForWavesPerEU: 80
; NamedBarCnt: 0
; Occupancy: 12
; WaveLimiterHint : 0
; COMPUTE_PGM_RSRC2:SCRATCH_EN: 0
; COMPUTE_PGM_RSRC2:USER_SGPR: 2
; COMPUTE_PGM_RSRC2:TRAP_HANDLER: 0
; COMPUTE_PGM_RSRC2:TGID_X_EN: 1
; COMPUTE_PGM_RSRC2:TGID_Y_EN: 1
; COMPUTE_PGM_RSRC2:TGID_Z_EN: 1
; COMPUTE_PGM_RSRC2:TIDIG_COMP_CNT: 1
	.section	.text._ZL30rocblas_trmm_outofplace_kernelIdLi32ELi2ELb1ELb1ELb1ELb0EdKddEv17rocblas_diagonal_iiT6_lPT7_lllS4_lllPT8_llli,"axG",@progbits,_ZL30rocblas_trmm_outofplace_kernelIdLi32ELi2ELb1ELb1ELb1ELb0EdKddEv17rocblas_diagonal_iiT6_lPT7_lllS4_lllPT8_llli,comdat
	.globl	_ZL30rocblas_trmm_outofplace_kernelIdLi32ELi2ELb1ELb1ELb1ELb0EdKddEv17rocblas_diagonal_iiT6_lPT7_lllS4_lllPT8_llli ; -- Begin function _ZL30rocblas_trmm_outofplace_kernelIdLi32ELi2ELb1ELb1ELb1ELb0EdKddEv17rocblas_diagonal_iiT6_lPT7_lllS4_lllPT8_llli
	.p2align	8
	.type	_ZL30rocblas_trmm_outofplace_kernelIdLi32ELi2ELb1ELb1ELb1ELb0EdKddEv17rocblas_diagonal_iiT6_lPT7_lllS4_lllPT8_llli,@function
_ZL30rocblas_trmm_outofplace_kernelIdLi32ELi2ELb1ELb1ELb1ELb0EdKddEv17rocblas_diagonal_iiT6_lPT7_lllS4_lllPT8_llli: ; @_ZL30rocblas_trmm_outofplace_kernelIdLi32ELi2ELb1ELb1ELb1ELb0EdKddEv17rocblas_diagonal_iiT6_lPT7_lllS4_lllPT8_llli
; %bb.0:
	s_load_b32 s31, s[0:1], 0x80
	s_bfe_u32 s2, ttmp6, 0x40014
	s_lshr_b32 s3, ttmp7, 16
	s_add_co_i32 s2, s2, 1
	s_bfe_u32 s5, ttmp6, 0x40008
	s_mul_i32 s4, s3, s2
	s_getreg_b32 s2, hwreg(HW_REG_IB_STS2, 6, 4)
	s_add_co_i32 s5, s5, s4
	s_cmp_eq_u32 s2, 0
	s_cselect_b32 s34, s3, s5
	s_wait_kmcnt 0x0
	s_cmp_ge_u32 s34, s31
	s_cbranch_scc1 .LBB43_54
; %bb.1:
	s_load_b64 s[36:37], s[0:1], 0x10
	s_wait_kmcnt 0x0
	v_cmp_eq_f64_e64 s3, s[36:37], 0
	s_and_b32 vcc_lo, exec_lo, s3
	s_cbranch_vccnz .LBB43_54
; %bb.2:
	s_clause 0x1
	s_load_b96 s[28:30], s[0:1], 0x0
	s_load_b512 s[4:19], s[0:1], 0x20
	s_bfe_u32 s20, ttmp6, 0x4000c
	s_bfe_u32 s22, ttmp6, 0x40010
	s_and_b32 s21, ttmp7, 0xffff
	s_add_co_i32 s20, s20, 1
	s_add_co_i32 s22, s22, 1
	s_and_b32 s3, ttmp6, 15
	s_bfe_u32 s23, ttmp6, 0x40004
	s_mul_i32 s20, ttmp9, s20
	s_mul_i32 s22, s21, s22
	s_add_co_i32 s3, s3, s20
	s_add_co_i32 s23, s23, s22
	v_and_b32_e32 v2, 0x3ff, v0
	v_bfe_u32 v0, v0, 10, 10
	s_add_nc_u64 s[38:39], s[0:1], 0x88
	v_mov_b64_e32 v[8:9], 0
	v_mov_b64_e32 v[10:11], 1.0
	s_mov_b32 s35, 0
	v_mov_b32_e32 v6, 0
	s_wait_kmcnt 0x0
	s_add_co_i32 s24, s30, -1
	v_lshlrev_b32_e32 v7, 8, v0
	s_ashr_i32 s25, s24, 31
	v_dual_mov_b32 v13, v6 :: v_dual_lshlrev_b32 v12, 3, v2
	s_lshr_b32 s25, s25, 27
	v_mov_b32_e32 v1, v6
	s_add_co_i32 s24, s24, s25
	v_mov_b32_e32 v3, v6
	s_ashr_i32 s33, s24, 5
	s_cmp_eq_u32 s2, 0
	v_dual_mov_b32 v23, v6 :: v_dual_add_nc_u32 v60, 0x2000, v7
	s_cselect_b32 s46, s21, s23
	s_cselect_b32 s2, ttmp9, s3
	s_cmp_le_i32 s46, s33
	v_dual_lshlrev_b32 v22, 3, v0 :: v_dual_add_nc_u32 v61, v12, v7
	s_cselect_b32 s47, -1, 0
	s_lshl_b32 s48, s2, 5
	s_cmp_gt_i32 s2, -1
	v_add_nc_u32_e32 v4, s48, v2
	s_cselect_b32 s49, -1, 0
	s_cmp_eq_u32 s28, 0x84
	s_load_b256 s[20:27], s[0:1], 0x60
	s_cselect_b32 s50, -1, 0
	v_ashrrev_i32_e32 v5, 31, v4
	s_lshl_b64 s[2:3], s[6:7], 3
	s_lshl_b64 s[6:7], s[14:15], 3
	s_mov_b32 s40, s29
	s_add_nc_u64 s[6:7], s[12:13], s[6:7]
	v_lshl_add_u64 v[14:15], v[4:5], 3, 0x80
	v_mul_u64_e32 v[16:17], s[8:9], v[4:5]
	v_add_nc_u64_e32 v[26:27], s[6:7], v[12:13]
	v_sub_nc_u64_e32 v[18:19], v[4:5], v[0:1]
	s_ashr_i32 s41, s29, 31
	v_mad_nc_u64_u32 v[20:21], s8, v14, s[2:3]
	v_lshl_add_u32 v63, s46, 5, v0
	v_add_nc_u32_e32 v13, 0x800, v12
	v_add_nc_u32_e32 v64, 0x1000, v12
	v_add_nc_u32_e32 v65, 0x1800, v12
	s_mov_b32 s42, s30
	s_ashr_i32 s43, s30, 31
	s_lshl_b64 s[12:13], s[18:19], 3
	s_wait_kmcnt 0x0
	s_lshl_b64 s[0:1], s[22:23], 3
	s_lshl_b64 s[18:19], s[16:17], 3
	s_add_nc_u64 s[14:15], s[20:21], s[0:1]
	v_mad_u32 v7, s9, v14, v21
	v_add_nc_u32_e32 v14, 16, v4
	v_add_nc_u32_e32 v62, v60, v12
	v_cmp_le_i32_e64 s0, s29, v4
	v_cmp_gt_i32_e64 s1, s29, v4
	s_add_nc_u64 s[20:21], s[40:41], -16
	s_lshl_b64 s[10:11], s[10:11], 3
	v_mad_u32 v21, s8, v15, v7
	v_ashrrev_i32_e32 v15, 31, v14
	v_lshl_add_u64 v[24:25], v[16:17], 3, s[2:3]
	v_add_nc_u64_e32 v[16:17], 16, v[4:5]
	v_cmp_gt_i32_e64 s2, s29, v14
	s_delay_alu instid0(VALU_DEP_3)
	v_add_nc_u64_e32 v[28:29], v[24:25], v[22:23]
	v_add_nc_u64_e32 v[30:31], v[20:21], v[22:23]
	;; [unrolled: 1-line block ×3, first 2 shown]
	v_cmp_le_i64_e64 s3, s[40:41], v[16:17]
	v_add_nc_u64_e32 v[22:23], 16, v[18:19]
	v_add_nc_u64_e32 v[24:25], -16, v[18:19]
	v_add_nc_u64_e32 v[26:27], s[4:5], v[28:29]
	v_add_nc_u64_e32 v[28:29], s[4:5], v[30:31]
	s_branch .LBB43_4
.LBB43_3:                               ;   in Loop: Header=BB43_4 Depth=1
	s_add_co_i32 s34, s34, 0x10000
	s_delay_alu instid0(SALU_CYCLE_1)
	s_cmp_ge_u32 s34, s31
	s_cbranch_scc1 .LBB43_54
.LBB43_4:                               ; =>This Loop Header: Depth=1
                                        ;     Child Loop BB43_7 Depth 2
                                        ;       Child Loop BB43_10 Depth 3
	s_and_not1_b32 vcc_lo, exec_lo, s47
	s_cbranch_vccnz .LBB43_3
; %bb.5:                                ;   in Loop: Header=BB43_4 Depth=1
	s_load_b32 s9, s[38:39], 0x4
	v_mad_nc_u64_u32 v[30:31], s12, s34, v[20:21]
	s_delay_alu instid0(VALU_DEP_2)
	v_mad_nc_u64_u32 v[32:33], s10, s34, v[28:29]
	v_mad_nc_u64_u32 v[34:35], s10, s34, v[26:27]
	s_mul_i32 s6, s11, s34
	s_mul_u64 s[4:5], s[26:27], s[34:35]
	v_mov_b32_e32 v36, v63
	s_lshl_b64 s[4:5], s[4:5], 3
	s_mov_b32 s52, s46
	s_add_nc_u64 s[22:23], s[14:15], s[4:5]
	s_delay_alu instid0(VALU_DEP_4) | instskip(NEXT) | instid1(VALU_DEP_3)
	v_mad_u32 v31, s13, s34, v31
	v_dual_add_nc_u32 v33, s6, v33 :: v_dual_add_nc_u32 v35, s6, v35
	s_wait_kmcnt 0x0
	s_lshl_b32 s51, s9, 5
	s_branch .LBB43_7
.LBB43_6:                               ;   in Loop: Header=BB43_7 Depth=2
	s_wait_xcnt 0x0
	s_or_b32 exec_lo, exec_lo, s4
	v_add_nc_u32_e32 v36, s51, v36
	s_add_co_i32 s52, s9, s52
	s_delay_alu instid0(SALU_CYCLE_1)
	s_cmp_gt_i32 s52, s33
	s_cbranch_scc1 .LBB43_3
.LBB43_7:                               ;   Parent Loop BB43_4 Depth=1
                                        ; =>  This Loop Header: Depth=2
                                        ;       Child Loop BB43_10 Depth 3
	v_lshl_add_u32 v38, s52, 5, v0
	v_mov_b64_e32 v[46:47], 0
	v_mov_b64_e32 v[44:45], 0
	;; [unrolled: 1-line block ×4, first 2 shown]
	v_ashrrev_i32_e32 v39, 31, v38
	s_and_not1_b32 vcc_lo, exec_lo, s49
	s_cbranch_vccnz .LBB43_46
; %bb.8:                                ;   in Loop: Header=BB43_7 Depth=2
	v_ashrrev_i32_e32 v37, 31, v36
	v_mad_nc_u64_u32 v[48:49], s18, v36, v[30:31]
	v_sub_nc_u64_e32 v[42:43], s[42:43], v[38:39]
	v_mov_b64_e32 v[44:45], 0
	v_mov_b64_e32 v[46:47], 0
	v_lshl_add_u64 v[40:41], v[36:37], 3, 0x80
	s_mov_b64 s[28:29], 0
	s_mov_b64 s[44:45], 0
	s_delay_alu instid0(VALU_DEP_4) | instskip(NEXT) | instid1(VALU_DEP_2)
	v_cmp_lt_i64_e32 vcc_lo, 0, v[42:43]
	v_mad_nc_u64_u32 v[50:51], s16, v40, v[30:31]
	v_cmp_lt_i64_e64 s4, 16, v[42:43]
	v_mad_u32 v7, s19, v36, v49
	v_mov_b64_e32 v[42:43], 0
	s_delay_alu instid0(VALU_DEP_4) | instskip(NEXT) | instid1(VALU_DEP_3)
	v_mad_u32 v40, s17, v40, v51
	v_mad_u32 v49, s18, v37, v7
	s_delay_alu instid0(VALU_DEP_2)
	v_mad_u32 v51, s16, v41, v40
	v_mov_b64_e32 v[40:41], 0
	s_branch .LBB43_10
.LBB43_9:                               ;   in Loop: Header=BB43_10 Depth=3
	s_wait_xcnt 0x0
	s_or_b32 exec_lo, exec_lo, s5
	s_wait_dscnt 0x0
	s_barrier_signal -1
	s_barrier_wait -1
	ds_load_b128 v[52:55], v60
	ds_load_2addr_b64 v[56:59], v12 offset1:16
	ds_load_b128 v[66:69], v60 offset:4096
	ds_load_b128 v[70:73], v60 offset:16
	;; [unrolled: 1-line block ×3, first 2 shown]
	s_add_nc_u64 s[44:45], s[44:45], 32
	s_add_nc_u64 s[28:29], s[28:29], 0x100
	s_sub_co_i32 s5, s44, 32
	s_delay_alu instid0(SALU_CYCLE_1)
	s_cmp_ge_i32 s5, s48
	s_wait_dscnt 0x3
	v_fmac_f64_e32 v[46:47], v[56:57], v[52:53]
	v_fmac_f64_e32 v[44:45], v[58:59], v[52:53]
	s_wait_dscnt 0x2
	v_fmac_f64_e32 v[42:43], v[56:57], v[66:67]
	v_fmac_f64_e32 v[40:41], v[58:59], v[66:67]
	ds_load_2addr_b64 v[56:59], v12 offset0:32 offset1:48
	s_wait_dscnt 0x0
	v_fmac_f64_e32 v[46:47], v[56:57], v[54:55]
	v_fmac_f64_e32 v[44:45], v[58:59], v[54:55]
	v_fmac_f64_e32 v[42:43], v[56:57], v[68:69]
	v_fmac_f64_e32 v[40:41], v[58:59], v[68:69]
	ds_load_2addr_b64 v[52:55], v12 offset0:64 offset1:80
	s_wait_dscnt 0x0
	v_fmac_f64_e32 v[46:47], v[52:53], v[70:71]
	v_fmac_f64_e32 v[44:45], v[54:55], v[70:71]
	v_fmac_f64_e32 v[42:43], v[52:53], v[74:75]
	v_fmac_f64_e32 v[40:41], v[54:55], v[74:75]
	ds_load_2addr_b64 v[52:55], v12 offset0:96 offset1:112
	s_wait_dscnt 0x0
	v_fmac_f64_e32 v[46:47], v[52:53], v[72:73]
	v_fmac_f64_e32 v[44:45], v[54:55], v[72:73]
	v_fmac_f64_e32 v[42:43], v[52:53], v[76:77]
	v_fmac_f64_e32 v[40:41], v[54:55], v[76:77]
	ds_load_b128 v[52:55], v60 offset:32
	ds_load_2addr_b64 v[56:59], v12 offset0:128 offset1:144
	ds_load_b128 v[66:69], v60 offset:4128
	ds_load_b128 v[70:73], v60 offset:48
	ds_load_b128 v[74:77], v60 offset:4144
	s_wait_dscnt 0x3
	v_fmac_f64_e32 v[46:47], v[56:57], v[52:53]
	v_fmac_f64_e32 v[44:45], v[58:59], v[52:53]
	s_wait_dscnt 0x2
	v_fmac_f64_e32 v[42:43], v[56:57], v[66:67]
	v_fmac_f64_e32 v[40:41], v[58:59], v[66:67]
	ds_load_2addr_b64 v[56:59], v12 offset0:160 offset1:176
	s_wait_dscnt 0x0
	v_fmac_f64_e32 v[46:47], v[56:57], v[54:55]
	v_fmac_f64_e32 v[44:45], v[58:59], v[54:55]
	v_fmac_f64_e32 v[42:43], v[56:57], v[68:69]
	v_fmac_f64_e32 v[40:41], v[58:59], v[68:69]
	ds_load_2addr_b64 v[52:55], v12 offset0:192 offset1:208
	s_wait_dscnt 0x0
	v_fmac_f64_e32 v[46:47], v[52:53], v[70:71]
	v_fmac_f64_e32 v[44:45], v[54:55], v[70:71]
	v_fmac_f64_e32 v[42:43], v[52:53], v[74:75]
	v_fmac_f64_e32 v[40:41], v[54:55], v[74:75]
	ds_load_2addr_b64 v[52:55], v12 offset0:224 offset1:240
	s_wait_dscnt 0x0
	v_fmac_f64_e32 v[46:47], v[52:53], v[72:73]
	v_fmac_f64_e32 v[44:45], v[54:55], v[72:73]
	v_fmac_f64_e32 v[42:43], v[52:53], v[76:77]
	v_fmac_f64_e32 v[40:41], v[54:55], v[76:77]
	ds_load_b128 v[52:55], v60 offset:64
	ds_load_2addr_b64 v[56:59], v13 offset1:16
	ds_load_b128 v[66:69], v60 offset:4160
	ds_load_b128 v[70:73], v60 offset:80
	ds_load_b128 v[74:77], v60 offset:4176
	s_wait_dscnt 0x3
	v_fmac_f64_e32 v[46:47], v[56:57], v[52:53]
	v_fmac_f64_e32 v[44:45], v[58:59], v[52:53]
	s_wait_dscnt 0x2
	v_fmac_f64_e32 v[42:43], v[56:57], v[66:67]
	v_fmac_f64_e32 v[40:41], v[58:59], v[66:67]
	ds_load_2addr_b64 v[56:59], v13 offset0:32 offset1:48
	s_wait_dscnt 0x0
	v_fmac_f64_e32 v[46:47], v[56:57], v[54:55]
	v_fmac_f64_e32 v[44:45], v[58:59], v[54:55]
	v_fmac_f64_e32 v[42:43], v[56:57], v[68:69]
	v_fmac_f64_e32 v[40:41], v[58:59], v[68:69]
	ds_load_2addr_b64 v[52:55], v13 offset0:64 offset1:80
	s_wait_dscnt 0x0
	v_fmac_f64_e32 v[46:47], v[52:53], v[70:71]
	v_fmac_f64_e32 v[44:45], v[54:55], v[70:71]
	v_fmac_f64_e32 v[42:43], v[52:53], v[74:75]
	v_fmac_f64_e32 v[40:41], v[54:55], v[74:75]
	ds_load_2addr_b64 v[52:55], v13 offset0:96 offset1:112
	s_wait_dscnt 0x0
	v_fmac_f64_e32 v[46:47], v[52:53], v[72:73]
	v_fmac_f64_e32 v[44:45], v[54:55], v[72:73]
	v_fmac_f64_e32 v[42:43], v[52:53], v[76:77]
	v_fmac_f64_e32 v[40:41], v[54:55], v[76:77]
	ds_load_b128 v[52:55], v60 offset:96
	ds_load_2addr_b64 v[56:59], v13 offset0:128 offset1:144
	ds_load_b128 v[66:69], v60 offset:4192
	ds_load_b128 v[70:73], v60 offset:112
	ds_load_b128 v[74:77], v60 offset:4208
	s_wait_dscnt 0x3
	v_fmac_f64_e32 v[46:47], v[56:57], v[52:53]
	v_fmac_f64_e32 v[44:45], v[58:59], v[52:53]
	s_wait_dscnt 0x2
	v_fmac_f64_e32 v[42:43], v[56:57], v[66:67]
	v_fmac_f64_e32 v[40:41], v[58:59], v[66:67]
	ds_load_2addr_b64 v[56:59], v13 offset0:160 offset1:176
	s_wait_dscnt 0x0
	v_fmac_f64_e32 v[46:47], v[56:57], v[54:55]
	v_fmac_f64_e32 v[44:45], v[58:59], v[54:55]
	v_fmac_f64_e32 v[42:43], v[56:57], v[68:69]
	v_fmac_f64_e32 v[40:41], v[58:59], v[68:69]
	ds_load_2addr_b64 v[52:55], v13 offset0:192 offset1:208
	s_wait_dscnt 0x0
	v_fmac_f64_e32 v[46:47], v[52:53], v[70:71]
	v_fmac_f64_e32 v[44:45], v[54:55], v[70:71]
	v_fmac_f64_e32 v[42:43], v[52:53], v[74:75]
	v_fmac_f64_e32 v[40:41], v[54:55], v[74:75]
	ds_load_2addr_b64 v[52:55], v13 offset0:224 offset1:240
	s_wait_dscnt 0x0
	v_fmac_f64_e32 v[46:47], v[52:53], v[72:73]
	v_fmac_f64_e32 v[44:45], v[54:55], v[72:73]
	v_fmac_f64_e32 v[42:43], v[52:53], v[76:77]
	v_fmac_f64_e32 v[40:41], v[54:55], v[76:77]
	ds_load_b128 v[52:55], v60 offset:128
	ds_load_2addr_b64 v[56:59], v64 offset1:16
	ds_load_b128 v[66:69], v60 offset:4224
	ds_load_b128 v[70:73], v60 offset:144
	ds_load_b128 v[74:77], v60 offset:4240
	;; [unrolled: 58-line block ×3, first 2 shown]
	s_wait_dscnt 0x3
	v_fmac_f64_e32 v[46:47], v[56:57], v[52:53]
	v_fmac_f64_e32 v[44:45], v[58:59], v[52:53]
	s_wait_dscnt 0x2
	v_fmac_f64_e32 v[42:43], v[56:57], v[66:67]
	v_fmac_f64_e32 v[40:41], v[58:59], v[66:67]
	ds_load_2addr_b64 v[56:59], v65 offset0:32 offset1:48
	s_wait_dscnt 0x0
	v_fmac_f64_e32 v[46:47], v[56:57], v[54:55]
	v_fmac_f64_e32 v[44:45], v[58:59], v[54:55]
	v_fmac_f64_e32 v[42:43], v[56:57], v[68:69]
	v_fmac_f64_e32 v[40:41], v[58:59], v[68:69]
	ds_load_2addr_b64 v[52:55], v65 offset0:64 offset1:80
	s_wait_dscnt 0x0
	v_fmac_f64_e32 v[46:47], v[52:53], v[70:71]
	v_fmac_f64_e32 v[44:45], v[54:55], v[70:71]
	;; [unrolled: 6-line block ×3, first 2 shown]
	v_fmac_f64_e32 v[42:43], v[52:53], v[76:77]
	v_fmac_f64_e32 v[40:41], v[54:55], v[76:77]
	ds_load_b128 v[52:55], v60 offset:224
	ds_load_2addr_b64 v[56:59], v65 offset0:128 offset1:144
	ds_load_b128 v[66:69], v60 offset:4320
	ds_load_b128 v[70:73], v60 offset:240
	;; [unrolled: 1-line block ×3, first 2 shown]
	s_wait_dscnt 0x3
	v_fmac_f64_e32 v[46:47], v[56:57], v[52:53]
	v_fmac_f64_e32 v[44:45], v[58:59], v[52:53]
	s_wait_dscnt 0x2
	v_fmac_f64_e32 v[42:43], v[56:57], v[66:67]
	v_fmac_f64_e32 v[40:41], v[58:59], v[66:67]
	ds_load_2addr_b64 v[56:59], v65 offset0:160 offset1:176
	s_wait_dscnt 0x0
	v_fmac_f64_e32 v[46:47], v[56:57], v[54:55]
	v_fmac_f64_e32 v[44:45], v[58:59], v[54:55]
	v_fmac_f64_e32 v[42:43], v[56:57], v[68:69]
	v_fmac_f64_e32 v[40:41], v[58:59], v[68:69]
	ds_load_2addr_b64 v[52:55], v65 offset0:192 offset1:208
	s_wait_dscnt 0x0
	v_fmac_f64_e32 v[46:47], v[52:53], v[70:71]
	v_fmac_f64_e32 v[44:45], v[54:55], v[70:71]
	;; [unrolled: 1-line block ×4, first 2 shown]
	ds_load_2addr_b64 v[52:55], v65 offset0:224 offset1:240
	s_wait_dscnt 0x0
	s_barrier_signal -1
	s_barrier_wait -1
	v_fmac_f64_e32 v[46:47], v[52:53], v[72:73]
	v_fmac_f64_e32 v[44:45], v[54:55], v[72:73]
	;; [unrolled: 1-line block ×4, first 2 shown]
	s_cbranch_scc1 .LBB43_46
.LBB43_10:                              ;   Parent Loop BB43_4 Depth=1
                                        ;     Parent Loop BB43_7 Depth=2
                                        ; =>    This Inner Loop Header: Depth=3
	v_add_nc_u64_e32 v[56:57], s[44:45], v[0:1]
	v_cmp_eq_u64_e64 s7, s[44:45], v[18:19]
	v_add_nc_u64_e32 v[52:53], s[28:29], v[34:35]
                                        ; implicit-def: $vgpr58_vgpr59
	s_delay_alu instid0(VALU_DEP_3) | instskip(SKIP_3) | instid1(SALU_CYCLE_1)
	v_cmp_le_i64_e64 s6, s[40:41], v[56:57]
	v_cmp_gt_i64_e64 s5, v[56:57], v[4:5]
	s_and_b32 s53, s50, s7
	s_or_b32 s7, s6, s5
	s_or_b32 s7, s7, s53
	s_delay_alu instid0(SALU_CYCLE_1) | instskip(NEXT) | instid1(SALU_CYCLE_1)
	s_nor_b32 s7, s0, s7
	s_and_saveexec_b32 s8, s7
	s_delay_alu instid0(SALU_CYCLE_1)
	s_xor_b32 s7, exec_lo, s8
	s_cbranch_execz .LBB43_12
; %bb.11:                               ;   in Loop: Header=BB43_10 Depth=3
	global_load_b64 v[58:59], v[52:53], off
.LBB43_12:                              ;   in Loop: Header=BB43_10 Depth=3
	s_wait_xcnt 0x0
	s_and_not1_saveexec_b32 s7, s7
	s_cbranch_execz .LBB43_14
; %bb.13:                               ;   in Loop: Header=BB43_10 Depth=3
	v_cndmask_b32_e64 v7, 0, 0x3ff00000, s53
	s_wait_loadcnt 0x0
	s_delay_alu instid0(VALU_DEP_1)
	v_mov_b64_e32 v[58:59], v[6:7]
.LBB43_14:                              ;   in Loop: Header=BB43_10 Depth=3
	s_or_b32 exec_lo, exec_lo, s7
	v_cmp_eq_u64_e64 s7, s[44:45], v[22:23]
	v_cmp_lt_i64_e64 s8, v[16:17], v[56:57]
	v_add_nc_u64_e32 v[54:55], s[28:29], v[32:33]
	s_wait_loadcnt 0x0
	ds_store_b64 v61, v[58:59]
	s_and_b32 s7, s50, s7
	s_or_b32 s6, s6, s8
	s_delay_alu instid0(SALU_CYCLE_1) | instskip(NEXT) | instid1(SALU_CYCLE_1)
	s_or_b32 s6, s6, s7
	s_nor_b32 s6, s3, s6
	s_delay_alu instid0(SALU_CYCLE_1) | instskip(NEXT) | instid1(SALU_CYCLE_1)
	s_and_saveexec_b32 s8, s6
	s_xor_b32 s6, exec_lo, s8
	s_cbranch_execz .LBB43_16
; %bb.15:                               ;   in Loop: Header=BB43_10 Depth=3
	global_load_b64 v[58:59], v[54:55], off
	s_wait_loadcnt 0x0
	ds_store_b64 v61, v[58:59] offset:128
.LBB43_16:                              ;   in Loop: Header=BB43_10 Depth=3
	s_wait_xcnt 0x0
	s_and_not1_saveexec_b32 s6, s6
	s_cbranch_execz .LBB43_22
; %bb.17:                               ;   in Loop: Header=BB43_10 Depth=3
	s_xor_b32 s7, s7, -1
	s_delay_alu instid0(SALU_CYCLE_1) | instskip(NEXT) | instid1(SALU_CYCLE_1)
	s_and_saveexec_b32 s8, s7
	s_xor_b32 s7, exec_lo, s8
; %bb.18:                               ;   in Loop: Header=BB43_10 Depth=3
	ds_store_b64 v61, v[8:9] offset:128
; %bb.19:                               ;   in Loop: Header=BB43_10 Depth=3
	s_and_not1_saveexec_b32 s7, s7
; %bb.20:                               ;   in Loop: Header=BB43_10 Depth=3
	ds_store_b64 v61, v[10:11] offset:128
; %bb.21:                               ;   in Loop: Header=BB43_10 Depth=3
	s_or_b32 exec_lo, exec_lo, s7
.LBB43_22:                              ;   in Loop: Header=BB43_10 Depth=3
	s_delay_alu instid0(SALU_CYCLE_1) | instskip(SKIP_2) | instid1(VALU_DEP_2)
	s_or_b32 exec_lo, exec_lo, s6
	v_add_nc_u64_e32 v[56:57], 16, v[56:57]
	v_cmp_eq_u64_e64 s7, s[44:45], v[24:25]
	v_cmp_le_i64_e64 s6, s[40:41], v[56:57]
	v_cmp_gt_i64_e64 s8, v[56:57], v[4:5]
	s_and_b32 s7, s50, s7
                                        ; implicit-def: $vgpr56_vgpr57
	s_or_b32 s8, s6, s8
	s_delay_alu instid0(SALU_CYCLE_1) | instskip(NEXT) | instid1(SALU_CYCLE_1)
	s_or_b32 s8, s8, s7
	s_nor_b32 s8, s0, s8
	s_delay_alu instid0(SALU_CYCLE_1) | instskip(NEXT) | instid1(SALU_CYCLE_1)
	s_and_saveexec_b32 s54, s8
	s_xor_b32 s8, exec_lo, s54
	s_cbranch_execz .LBB43_24
; %bb.23:                               ;   in Loop: Header=BB43_10 Depth=3
	global_load_b64 v[56:57], v[52:53], off offset:128
.LBB43_24:                              ;   in Loop: Header=BB43_10 Depth=3
	s_wait_xcnt 0x0
	s_and_not1_saveexec_b32 s8, s8
	s_cbranch_execz .LBB43_26
; %bb.25:                               ;   in Loop: Header=BB43_10 Depth=3
	v_cndmask_b32_e64 v7, 0, 0x3ff00000, s7
	s_wait_loadcnt 0x0
	s_delay_alu instid0(VALU_DEP_1)
	v_mov_b64_e32 v[56:57], v[6:7]
.LBB43_26:                              ;   in Loop: Header=BB43_10 Depth=3
	s_or_b32 exec_lo, exec_lo, s8
	s_or_b32 s5, s6, s5
	s_wait_loadcnt 0x0
	ds_store_b64 v61, v[56:57] offset:4096
	s_or_b32 s5, s5, s53
	s_delay_alu instid0(SALU_CYCLE_1) | instskip(NEXT) | instid1(SALU_CYCLE_1)
	s_nor_b32 s5, s3, s5
	s_and_saveexec_b32 s6, s5
	s_delay_alu instid0(SALU_CYCLE_1)
	s_xor_b32 s5, exec_lo, s6
	s_cbranch_execz .LBB43_28
; %bb.27:                               ;   in Loop: Header=BB43_10 Depth=3
	global_load_b64 v[52:53], v[54:55], off offset:128
	s_wait_loadcnt 0x0
	ds_store_b64 v61, v[52:53] offset:4224
.LBB43_28:                              ;   in Loop: Header=BB43_10 Depth=3
	s_wait_xcnt 0x0
	s_and_not1_saveexec_b32 s5, s5
	s_cbranch_execz .LBB43_34
; %bb.29:                               ;   in Loop: Header=BB43_10 Depth=3
	s_xor_b32 s6, s53, -1
	s_delay_alu instid0(SALU_CYCLE_1) | instskip(NEXT) | instid1(SALU_CYCLE_1)
	s_and_saveexec_b32 s7, s6
	s_xor_b32 s6, exec_lo, s7
; %bb.30:                               ;   in Loop: Header=BB43_10 Depth=3
	ds_store_b64 v61, v[8:9] offset:4224
; %bb.31:                               ;   in Loop: Header=BB43_10 Depth=3
	s_and_not1_saveexec_b32 s6, s6
; %bb.32:                               ;   in Loop: Header=BB43_10 Depth=3
	ds_store_b64 v61, v[10:11] offset:4224
; %bb.33:                               ;   in Loop: Header=BB43_10 Depth=3
	s_or_b32 exec_lo, exec_lo, s6
.LBB43_34:                              ;   in Loop: Header=BB43_10 Depth=3
	s_delay_alu instid0(SALU_CYCLE_1) | instskip(SKIP_3) | instid1(VALU_DEP_3)
	s_or_b32 exec_lo, exec_lo, s5
	v_add_nc_u64_e32 v[54:55], s[44:45], v[2:3]
	v_add_nc_u64_e32 v[52:53], s[28:29], v[48:49]
	v_mov_b64_e32 v[56:57], 0
	v_cmp_gt_i64_e64 s5, s[40:41], v[54:55]
	s_and_b32 s7, vcc_lo, s5
	s_delay_alu instid0(SALU_CYCLE_1)
	s_and_saveexec_b32 s6, s7
	s_cbranch_execz .LBB43_36
; %bb.35:                               ;   in Loop: Header=BB43_10 Depth=3
	global_load_b64 v[56:57], v[52:53], off offset:-128
.LBB43_36:                              ;   in Loop: Header=BB43_10 Depth=3
	s_wait_xcnt 0x0
	s_or_b32 exec_lo, exec_lo, s6
	v_cmp_gt_i64_e64 s6, s[20:21], v[54:55]
	s_wait_loadcnt 0x0
	ds_store_b64 v62, v[56:57]
	s_and_b32 s7, vcc_lo, s6
	s_delay_alu instid0(SALU_CYCLE_1) | instskip(NEXT) | instid1(SALU_CYCLE_1)
	s_xor_b32 s7, s7, -1
	s_and_saveexec_b32 s8, s7
	s_delay_alu instid0(SALU_CYCLE_1)
	s_xor_b32 s7, exec_lo, s8
; %bb.37:                               ;   in Loop: Header=BB43_10 Depth=3
	ds_store_b64 v62, v[8:9] offset:128
                                        ; implicit-def: $vgpr52_vgpr53
; %bb.38:                               ;   in Loop: Header=BB43_10 Depth=3
	s_and_not1_saveexec_b32 s7, s7
	s_cbranch_execz .LBB43_40
; %bb.39:                               ;   in Loop: Header=BB43_10 Depth=3
	global_load_b64 v[52:53], v[52:53], off
	s_wait_loadcnt 0x0
	ds_store_b64 v62, v[52:53] offset:128
.LBB43_40:                              ;   in Loop: Header=BB43_10 Depth=3
	s_wait_xcnt 0x0
	s_or_b32 exec_lo, exec_lo, s7
	v_add_nc_u64_e32 v[52:53], s[28:29], v[50:51]
	v_mov_b64_e32 v[54:55], 0
	s_and_b32 s7, s4, s5
	s_delay_alu instid0(SALU_CYCLE_1)
	s_and_saveexec_b32 s5, s7
	s_cbranch_execz .LBB43_42
; %bb.41:                               ;   in Loop: Header=BB43_10 Depth=3
	global_load_b64 v[54:55], v[52:53], off offset:-128
.LBB43_42:                              ;   in Loop: Header=BB43_10 Depth=3
	s_wait_xcnt 0x0
	s_or_b32 exec_lo, exec_lo, s5
	s_and_b32 s5, s4, s6
	s_wait_loadcnt 0x0
	ds_store_b64 v62, v[54:55] offset:4096
	s_xor_b32 s5, s5, -1
	s_delay_alu instid0(SALU_CYCLE_1) | instskip(NEXT) | instid1(SALU_CYCLE_1)
	s_and_saveexec_b32 s6, s5
	s_xor_b32 s5, exec_lo, s6
; %bb.43:                               ;   in Loop: Header=BB43_10 Depth=3
	ds_store_b64 v62, v[8:9] offset:4224
                                        ; implicit-def: $vgpr52_vgpr53
; %bb.44:                               ;   in Loop: Header=BB43_10 Depth=3
	s_and_not1_saveexec_b32 s5, s5
	s_cbranch_execz .LBB43_9
; %bb.45:                               ;   in Loop: Header=BB43_10 Depth=3
	global_load_b64 v[52:53], v[52:53], off
	s_wait_loadcnt 0x0
	ds_store_b64 v62, v[52:53] offset:4224
	s_branch .LBB43_9
.LBB43_46:                              ;   in Loop: Header=BB43_7 Depth=2
	s_delay_alu instid0(VALU_DEP_1) | instskip(SKIP_2) | instid1(VALU_DEP_2)
	v_mul_u64_e32 v[48:49], s[24:25], v[38:39]
	v_cmp_gt_i32_e32 vcc_lo, s30, v38
	s_and_b32 s5, s1, vcc_lo
	v_lshl_add_u64 v[48:49], v[48:49], 3, s[22:23]
	s_and_saveexec_b32 s4, s5
	s_cbranch_execz .LBB43_48
; %bb.47:                               ;   in Loop: Header=BB43_7 Depth=2
	s_delay_alu instid0(VALU_DEP_1)
	v_lshl_add_u64 v[50:51], v[4:5], 3, v[48:49]
	global_load_b64 v[52:53], v[50:51], off
	s_wait_loadcnt 0x0
	v_fmac_f64_e32 v[52:53], s[36:37], v[46:47]
	global_store_b64 v[50:51], v[52:53], off
.LBB43_48:                              ;   in Loop: Header=BB43_7 Depth=2
	s_wait_xcnt 0x0
	s_or_b32 exec_lo, exec_lo, s4
	s_and_b32 s5, s2, vcc_lo
	s_delay_alu instid0(SALU_CYCLE_1)
	s_and_saveexec_b32 s4, s5
	s_cbranch_execz .LBB43_50
; %bb.49:                               ;   in Loop: Header=BB43_7 Depth=2
	v_lshl_add_u64 v[46:47], v[14:15], 3, v[48:49]
	global_load_b64 v[48:49], v[46:47], off
	s_wait_loadcnt 0x0
	v_fmac_f64_e32 v[48:49], s[36:37], v[44:45]
	global_store_b64 v[46:47], v[48:49], off
.LBB43_50:                              ;   in Loop: Header=BB43_7 Depth=2
	s_wait_xcnt 0x0
	s_or_b32 exec_lo, exec_lo, s4
	v_add_nc_u32_e32 v38, 16, v38
	s_delay_alu instid0(VALU_DEP_1) | instskip(SKIP_1) | instid1(VALU_DEP_2)
	v_ashrrev_i32_e32 v39, 31, v38
	v_cmp_gt_i32_e32 vcc_lo, s30, v38
	v_mul_u64_e32 v[44:45], s[24:25], v[38:39]
	s_and_b32 s5, s1, vcc_lo
	s_delay_alu instid0(VALU_DEP_1)
	v_lshl_add_u64 v[38:39], v[44:45], 3, s[22:23]
	s_and_saveexec_b32 s4, s5
	s_cbranch_execz .LBB43_52
; %bb.51:                               ;   in Loop: Header=BB43_7 Depth=2
	s_delay_alu instid0(VALU_DEP_1)
	v_lshl_add_u64 v[44:45], v[4:5], 3, v[38:39]
	global_load_b64 v[46:47], v[44:45], off
	s_wait_loadcnt 0x0
	v_fmac_f64_e32 v[46:47], s[36:37], v[42:43]
	global_store_b64 v[44:45], v[46:47], off
.LBB43_52:                              ;   in Loop: Header=BB43_7 Depth=2
	s_wait_xcnt 0x0
	s_or_b32 exec_lo, exec_lo, s4
	s_and_b32 s5, s2, vcc_lo
	s_delay_alu instid0(SALU_CYCLE_1)
	s_and_saveexec_b32 s4, s5
	s_cbranch_execz .LBB43_6
; %bb.53:                               ;   in Loop: Header=BB43_7 Depth=2
	v_lshl_add_u64 v[38:39], v[14:15], 3, v[38:39]
	global_load_b64 v[42:43], v[38:39], off
	s_wait_loadcnt 0x0
	v_fmac_f64_e32 v[42:43], s[36:37], v[40:41]
	global_store_b64 v[38:39], v[42:43], off
	s_branch .LBB43_6
.LBB43_54:
	s_sendmsg sendmsg(MSG_DEALLOC_VGPRS)
	s_endpgm
	.section	.rodata,"a",@progbits
	.p2align	6, 0x0
	.amdhsa_kernel _ZL30rocblas_trmm_outofplace_kernelIdLi32ELi2ELb1ELb1ELb1ELb0EdKddEv17rocblas_diagonal_iiT6_lPT7_lllS4_lllPT8_llli
		.amdhsa_group_segment_fixed_size 16384
		.amdhsa_private_segment_fixed_size 0
		.amdhsa_kernarg_size 392
		.amdhsa_user_sgpr_count 2
		.amdhsa_user_sgpr_dispatch_ptr 0
		.amdhsa_user_sgpr_queue_ptr 0
		.amdhsa_user_sgpr_kernarg_segment_ptr 1
		.amdhsa_user_sgpr_dispatch_id 0
		.amdhsa_user_sgpr_kernarg_preload_length 0
		.amdhsa_user_sgpr_kernarg_preload_offset 0
		.amdhsa_user_sgpr_private_segment_size 0
		.amdhsa_wavefront_size32 1
		.amdhsa_uses_dynamic_stack 0
		.amdhsa_enable_private_segment 0
		.amdhsa_system_sgpr_workgroup_id_x 1
		.amdhsa_system_sgpr_workgroup_id_y 1
		.amdhsa_system_sgpr_workgroup_id_z 1
		.amdhsa_system_sgpr_workgroup_info 0
		.amdhsa_system_vgpr_workitem_id 1
		.amdhsa_next_free_vgpr 78
		.amdhsa_next_free_sgpr 55
		.amdhsa_named_barrier_count 0
		.amdhsa_reserve_vcc 1
		.amdhsa_float_round_mode_32 0
		.amdhsa_float_round_mode_16_64 0
		.amdhsa_float_denorm_mode_32 3
		.amdhsa_float_denorm_mode_16_64 3
		.amdhsa_fp16_overflow 0
		.amdhsa_memory_ordered 1
		.amdhsa_forward_progress 1
		.amdhsa_inst_pref_size 26
		.amdhsa_round_robin_scheduling 0
		.amdhsa_exception_fp_ieee_invalid_op 0
		.amdhsa_exception_fp_denorm_src 0
		.amdhsa_exception_fp_ieee_div_zero 0
		.amdhsa_exception_fp_ieee_overflow 0
		.amdhsa_exception_fp_ieee_underflow 0
		.amdhsa_exception_fp_ieee_inexact 0
		.amdhsa_exception_int_div_zero 0
	.end_amdhsa_kernel
	.section	.text._ZL30rocblas_trmm_outofplace_kernelIdLi32ELi2ELb1ELb1ELb1ELb0EdKddEv17rocblas_diagonal_iiT6_lPT7_lllS4_lllPT8_llli,"axG",@progbits,_ZL30rocblas_trmm_outofplace_kernelIdLi32ELi2ELb1ELb1ELb1ELb0EdKddEv17rocblas_diagonal_iiT6_lPT7_lllS4_lllPT8_llli,comdat
.Lfunc_end43:
	.size	_ZL30rocblas_trmm_outofplace_kernelIdLi32ELi2ELb1ELb1ELb1ELb0EdKddEv17rocblas_diagonal_iiT6_lPT7_lllS4_lllPT8_llli, .Lfunc_end43-_ZL30rocblas_trmm_outofplace_kernelIdLi32ELi2ELb1ELb1ELb1ELb0EdKddEv17rocblas_diagonal_iiT6_lPT7_lllS4_lllPT8_llli
                                        ; -- End function
	.set _ZL30rocblas_trmm_outofplace_kernelIdLi32ELi2ELb1ELb1ELb1ELb0EdKddEv17rocblas_diagonal_iiT6_lPT7_lllS4_lllPT8_llli.num_vgpr, 78
	.set _ZL30rocblas_trmm_outofplace_kernelIdLi32ELi2ELb1ELb1ELb1ELb0EdKddEv17rocblas_diagonal_iiT6_lPT7_lllS4_lllPT8_llli.num_agpr, 0
	.set _ZL30rocblas_trmm_outofplace_kernelIdLi32ELi2ELb1ELb1ELb1ELb0EdKddEv17rocblas_diagonal_iiT6_lPT7_lllS4_lllPT8_llli.numbered_sgpr, 55
	.set _ZL30rocblas_trmm_outofplace_kernelIdLi32ELi2ELb1ELb1ELb1ELb0EdKddEv17rocblas_diagonal_iiT6_lPT7_lllS4_lllPT8_llli.num_named_barrier, 0
	.set _ZL30rocblas_trmm_outofplace_kernelIdLi32ELi2ELb1ELb1ELb1ELb0EdKddEv17rocblas_diagonal_iiT6_lPT7_lllS4_lllPT8_llli.private_seg_size, 0
	.set _ZL30rocblas_trmm_outofplace_kernelIdLi32ELi2ELb1ELb1ELb1ELb0EdKddEv17rocblas_diagonal_iiT6_lPT7_lllS4_lllPT8_llli.uses_vcc, 1
	.set _ZL30rocblas_trmm_outofplace_kernelIdLi32ELi2ELb1ELb1ELb1ELb0EdKddEv17rocblas_diagonal_iiT6_lPT7_lllS4_lllPT8_llli.uses_flat_scratch, 0
	.set _ZL30rocblas_trmm_outofplace_kernelIdLi32ELi2ELb1ELb1ELb1ELb0EdKddEv17rocblas_diagonal_iiT6_lPT7_lllS4_lllPT8_llli.has_dyn_sized_stack, 0
	.set _ZL30rocblas_trmm_outofplace_kernelIdLi32ELi2ELb1ELb1ELb1ELb0EdKddEv17rocblas_diagonal_iiT6_lPT7_lllS4_lllPT8_llli.has_recursion, 0
	.set _ZL30rocblas_trmm_outofplace_kernelIdLi32ELi2ELb1ELb1ELb1ELb0EdKddEv17rocblas_diagonal_iiT6_lPT7_lllS4_lllPT8_llli.has_indirect_call, 0
	.section	.AMDGPU.csdata,"",@progbits
; Kernel info:
; codeLenInByte = 3220
; TotalNumSgprs: 57
; NumVgprs: 78
; ScratchSize: 0
; MemoryBound: 0
; FloatMode: 240
; IeeeMode: 1
; LDSByteSize: 16384 bytes/workgroup (compile time only)
; SGPRBlocks: 0
; VGPRBlocks: 4
; NumSGPRsForWavesPerEU: 57
; NumVGPRsForWavesPerEU: 78
; NamedBarCnt: 0
; Occupancy: 12
; WaveLimiterHint : 0
; COMPUTE_PGM_RSRC2:SCRATCH_EN: 0
; COMPUTE_PGM_RSRC2:USER_SGPR: 2
; COMPUTE_PGM_RSRC2:TRAP_HANDLER: 0
; COMPUTE_PGM_RSRC2:TGID_X_EN: 1
; COMPUTE_PGM_RSRC2:TGID_Y_EN: 1
; COMPUTE_PGM_RSRC2:TGID_Z_EN: 1
; COMPUTE_PGM_RSRC2:TIDIG_COMP_CNT: 1
	.section	.text._ZL30rocblas_trmm_outofplace_kernelIdLi32ELi2ELb1ELb0ELb1ELb1EPKdS0_dEv17rocblas_diagonal_iiT6_lPT7_lllS5_lllPT8_llli,"axG",@progbits,_ZL30rocblas_trmm_outofplace_kernelIdLi32ELi2ELb1ELb0ELb1ELb1EPKdS0_dEv17rocblas_diagonal_iiT6_lPT7_lllS5_lllPT8_llli,comdat
	.globl	_ZL30rocblas_trmm_outofplace_kernelIdLi32ELi2ELb1ELb0ELb1ELb1EPKdS0_dEv17rocblas_diagonal_iiT6_lPT7_lllS5_lllPT8_llli ; -- Begin function _ZL30rocblas_trmm_outofplace_kernelIdLi32ELi2ELb1ELb0ELb1ELb1EPKdS0_dEv17rocblas_diagonal_iiT6_lPT7_lllS5_lllPT8_llli
	.p2align	8
	.type	_ZL30rocblas_trmm_outofplace_kernelIdLi32ELi2ELb1ELb0ELb1ELb1EPKdS0_dEv17rocblas_diagonal_iiT6_lPT7_lllS5_lllPT8_llli,@function
_ZL30rocblas_trmm_outofplace_kernelIdLi32ELi2ELb1ELb0ELb1ELb1EPKdS0_dEv17rocblas_diagonal_iiT6_lPT7_lllS5_lllPT8_llli: ; @_ZL30rocblas_trmm_outofplace_kernelIdLi32ELi2ELb1ELb0ELb1ELb1EPKdS0_dEv17rocblas_diagonal_iiT6_lPT7_lllS5_lllPT8_llli
; %bb.0:
	s_load_b32 s11, s[0:1], 0x80
	s_bfe_u32 s2, ttmp6, 0x40014
	s_lshr_b32 s3, ttmp7, 16
	s_add_co_i32 s2, s2, 1
	s_bfe_u32 s5, ttmp6, 0x40008
	s_mul_i32 s4, s3, s2
	s_getreg_b32 s2, hwreg(HW_REG_IB_STS2, 6, 4)
	s_add_co_i32 s5, s5, s4
	s_cmp_eq_u32 s2, 0
	s_mov_b32 s35, 0
	s_cselect_b32 s34, s3, s5
	s_wait_kmcnt 0x0
	s_cmp_ge_u32 s34, s11
	s_cbranch_scc1 .LBB44_56
; %bb.1:
	s_clause 0x1
	s_load_b96 s[8:10], s[0:1], 0x0
	s_load_b256 s[36:43], s[0:1], 0x50
	s_bfe_u32 s4, ttmp6, 0x4000c
	s_and_b32 s3, ttmp6, 15
	s_add_co_i32 s4, s4, 1
	s_bfe_u32 s5, ttmp6, 0x40010
	s_mul_i32 s4, ttmp9, s4
	s_and_b32 s6, ttmp7, 0xffff
	s_add_co_i32 s5, s5, 1
	s_add_co_i32 s3, s3, s4
	s_bfe_u32 s7, ttmp6, 0x40004
	s_mul_i32 s5, s6, s5
	v_and_b32_e32 v1, 0x3ff, v0
	s_add_co_i32 s7, s7, s5
	v_bfe_u32 v58, v0, 10, 10
	s_load_b128 s[28:31], s[0:1], 0x70
	v_mov_b64_e32 v[4:5], 0
	v_mov_b64_e32 v[6:7], 1.0
	s_delay_alu instid0(VALU_DEP_3)
	v_dual_lshlrev_b32 v59, 3, v1 :: v_dual_lshlrev_b32 v8, 8, v58
	s_wait_kmcnt 0x0
	s_add_co_i32 s12, s10, -1
	v_mov_b32_e32 v0, 0
	s_ashr_i32 s13, s12, 31
	s_mov_b32 s44, s10
	s_lshr_b32 s4, s13, 27
	v_add_nc_u32_e32 v60, 0x2000, v8
	s_add_co_i32 s12, s12, s4
	s_lshl_b64 s[4:5], s[42:43], 3
	s_ashr_i32 s33, s12, 5
	s_cmp_eq_u32 s2, 0
	s_load_b512 s[12:27], s[0:1], 0x10
	s_cselect_b32 s48, s6, s7
	s_cselect_b32 s2, ttmp9, s3
	s_cmp_le_i32 s48, s33
	s_add_nc_u64 s[40:41], s[40:41], s[4:5]
	s_cselect_b32 s49, -1, 0
	s_lshl_b32 s6, s2, 5
	s_mov_b32 s42, s9
	v_add_nc_u32_e32 v2, s6, v1
	s_sub_co_i32 s50, s9, s6
	v_lshl_add_u32 v63, s48, 5, v58
	s_cmp_gt_i32 s50, 0
	s_delay_alu instid0(VALU_DEP_2) | instskip(SKIP_3) | instid1(VALU_DEP_2)
	v_dual_add_nc_u32 v61, v59, v8 :: v_dual_ashrrev_i32 v3, 31, v2
	s_cselect_b32 s51, -1, 0
	s_cmp_eq_u32 s8, 0x84
	v_dual_add_nc_u32 v62, v60, v59 :: v_dual_add_nc_u32 v8, s6, v58
	v_lshlrev_b64_e32 v[16:17], 3, v[2:3]
	s_cselect_b32 s52, -1, 0
	s_wait_kmcnt 0x0
	v_mul_u64_e32 v[12:13], s[20:21], v[2:3]
	s_lshl_b64 s[2:3], s[18:19], 3
	v_ashrrev_i32_e32 v9, 31, v8
	s_lshl_b64 s[4:5], s[26:27], 3
	s_ashr_i32 s43, s9, 31
	v_add_nc_u64_e32 v[10:11], 0x80, v[16:17]
	s_add_nc_u64 s[4:5], s[24:25], s[4:5]
	s_add_nc_u64 s[18:19], s[0:1], 0x88
	v_add_nc_u64_e32 v[24:25], s[4:5], v[16:17]
	v_cmp_le_i32_e64 s0, s9, v2
	v_cmp_gt_i32_e64 s1, s9, v2
	v_add_nc_u32_e32 v64, 0x800, v59
	v_mad_nc_u64_u32 v[18:19], s20, v10, s[2:3]
	v_add_nc_u32_e32 v65, 0x1000, v59
	v_add_nc_u32_e32 v66, 0x1800, v59
	s_ashr_i32 s45, s10, 31
	s_lshl_b64 s[24:25], s[36:37], 3
	s_lshl_b64 s[22:23], s[22:23], 3
	s_delay_alu instid0(VALU_DEP_3)
	v_mad_u32 v1, s21, v10, v19
	v_add_nc_u32_e32 v10, 16, v2
	v_lshlrev_b64_e32 v[20:21], 3, v[8:9]
	v_sub_nc_u64_e32 v[14:15], v[2:3], v[8:9]
	v_lshl_add_u64 v[22:23], v[12:13], 3, s[2:3]
	v_add_nc_u64_e32 v[12:13], 16, v[2:3]
	v_mad_u32 v19, s20, v11, v1
	s_delay_alu instid0(VALU_DEP_4)
	v_add_nc_u64_e32 v[16:17], 16, v[14:15]
	v_cmp_gt_i32_e64 s2, s9, v10
	v_add_nc_u64_e32 v[22:23], v[22:23], v[20:21]
	v_ashrrev_i32_e32 v11, 31, v10
	s_add_nc_u64 s[20:21], s[42:43], -16
	v_cmp_le_i64_e64 s3, s[42:43], v[12:13]
	s_delay_alu instid0(VALU_DEP_3) | instskip(SKIP_3) | instid1(VALU_DEP_3)
	v_add_nc_u64_e32 v[22:23], s[16:17], v[22:23]
	v_add_nc_u64_e32 v[26:27], v[18:19], v[20:21]
	v_add_nc_u64_e32 v[18:19], -16, v[14:15]
	v_add_nc_u64_e32 v[20:21], 0x80, v[24:25]
	v_add_nc_u64_e32 v[24:25], s[16:17], v[26:27]
	s_lshl_b64 s[16:17], s[38:39], 3
	s_branch .LBB44_4
.LBB44_2:                               ;   in Loop: Header=BB44_4 Depth=1
	s_add_co_i32 s34, s34, 0x10000
	s_delay_alu instid0(SALU_CYCLE_1)
	s_cmp_ge_u32 s34, s11
	s_cselect_b32 s4, -1, 0
.LBB44_3:                               ;   in Loop: Header=BB44_4 Depth=1
	s_delay_alu instid0(SALU_CYCLE_1)
	s_and_b32 vcc_lo, exec_lo, s4
	s_cbranch_vccnz .LBB44_56
.LBB44_4:                               ; =>This Loop Header: Depth=1
                                        ;     Child Loop BB44_8 Depth 2
                                        ;       Child Loop BB44_11 Depth 3
	s_mul_u64 s[4:5], s[14:15], s[34:35]
	s_delay_alu instid0(SALU_CYCLE_1) | instskip(NEXT) | instid1(SALU_CYCLE_1)
	s_lshl_b64 s[4:5], s[4:5], 3
	s_add_nc_u64 s[4:5], s[12:13], s[4:5]
	global_load_b64 v[26:27], v0, s[4:5]
	s_wait_xcnt 0x0
	s_mov_b32 s4, -1
	s_wait_loadcnt 0x0
	v_cmp_eq_f64_e32 vcc_lo, 0, v[26:27]
	s_cbranch_vccnz .LBB44_3
; %bb.5:                                ;   in Loop: Header=BB44_4 Depth=1
	s_and_not1_b32 vcc_lo, exec_lo, s49
	s_cbranch_vccnz .LBB44_2
; %bb.6:                                ;   in Loop: Header=BB44_4 Depth=1
	s_load_b32 s9, s[18:19], 0x4
	v_mad_nc_u64_u32 v[28:29], s16, s34, v[20:21]
	v_mad_nc_u64_u32 v[30:31], s22, s34, v[24:25]
	v_mad_nc_u64_u32 v[32:33], s22, s34, v[22:23]
	s_mul_i32 s6, s23, s34
	s_mul_u64 s[4:5], s[30:31], s[34:35]
	v_mov_b32_e32 v34, v63
	s_lshl_b64 s[4:5], s[4:5], 3
	s_mov_b32 s54, s48
	s_add_nc_u64 s[26:27], s[40:41], s[4:5]
	s_delay_alu instid0(VALU_DEP_4) | instskip(NEXT) | instid1(VALU_DEP_3)
	v_mad_u32 v29, s17, s34, v29
	v_dual_add_nc_u32 v31, s6, v31 :: v_dual_add_nc_u32 v33, s6, v33
	s_wait_kmcnt 0x0
	s_lshl_b32 s53, s9, 5
	s_branch .LBB44_8
.LBB44_7:                               ;   in Loop: Header=BB44_8 Depth=2
	s_wait_xcnt 0x0
	s_or_b32 exec_lo, exec_lo, s4
	v_add_nc_u32_e32 v34, s53, v34
	s_add_co_i32 s54, s9, s54
	s_delay_alu instid0(SALU_CYCLE_1)
	s_cmp_gt_i32 s54, s33
	s_cbranch_scc1 .LBB44_2
.LBB44_8:                               ;   Parent Loop BB44_4 Depth=1
                                        ; =>  This Loop Header: Depth=2
                                        ;       Child Loop BB44_11 Depth 3
	v_lshl_add_u32 v36, s54, 5, v58
	s_and_not1_b32 vcc_lo, exec_lo, s51
	s_delay_alu instid0(VALU_DEP_1)
	v_ashrrev_i32_e32 v37, 31, v36
	s_cbranch_vccnz .LBB44_47
; %bb.9:                                ;   in Loop: Header=BB44_8 Depth=2
	v_ashrrev_i32_e32 v35, 31, v34
	v_mad_nc_u64_u32 v[46:47], s24, v34, v[28:29]
	s_delay_alu instid0(VALU_DEP_3)
	v_sub_nc_u64_e32 v[40:41], s[44:45], v[36:37]
	v_mov_b64_e32 v[42:43], 0
	v_mov_b64_e32 v[44:45], 0
	v_lshl_add_u64 v[38:39], v[34:35], 3, 0x80
	s_mov_b64 s[38:39], 0
	s_mov_b64 s[46:47], 0
	s_delay_alu instid0(VALU_DEP_4) | instskip(NEXT) | instid1(VALU_DEP_2)
	v_cmp_lt_i64_e32 vcc_lo, 0, v[40:41]
	v_mad_nc_u64_u32 v[48:49], s36, v38, v[28:29]
	v_cmp_lt_i64_e64 s4, 16, v[40:41]
	v_mad_u32 v1, s25, v34, v47
	v_mov_b64_e32 v[40:41], 0
	s_delay_alu instid0(VALU_DEP_4) | instskip(NEXT) | instid1(VALU_DEP_3)
	v_mad_u32 v38, s37, v38, v49
	v_mad_u32 v47, s24, v35, v1
	s_delay_alu instid0(VALU_DEP_2)
	v_mad_u32 v49, s36, v39, v38
	v_mov_b64_e32 v[38:39], 0
	s_branch .LBB44_11
.LBB44_10:                              ;   in Loop: Header=BB44_11 Depth=3
	s_wait_xcnt 0x0
	s_or_b32 exec_lo, exec_lo, s5
	s_wait_dscnt 0x0
	s_barrier_signal -1
	s_barrier_wait -1
	ds_load_b128 v[50:53], v60
	ds_load_2addr_b64 v[54:57], v59 offset1:16
	ds_load_b128 v[68:71], v60 offset:4096
	ds_load_b128 v[72:75], v60 offset:16
	;; [unrolled: 1-line block ×3, first 2 shown]
	s_add_nc_u64 s[46:47], s[46:47], 32
	s_add_nc_u64 s[38:39], s[38:39], 0x100
	s_cmp_ge_i32 s46, s50
	s_wait_dscnt 0x3
	v_fmac_f64_e32 v[44:45], v[54:55], v[50:51]
	v_fmac_f64_e32 v[42:43], v[56:57], v[50:51]
	s_wait_dscnt 0x2
	v_fmac_f64_e32 v[40:41], v[54:55], v[68:69]
	v_fmac_f64_e32 v[38:39], v[56:57], v[68:69]
	ds_load_2addr_b64 v[54:57], v59 offset0:32 offset1:48
	s_wait_dscnt 0x0
	v_fmac_f64_e32 v[44:45], v[54:55], v[52:53]
	v_fmac_f64_e32 v[42:43], v[56:57], v[52:53]
	v_fmac_f64_e32 v[40:41], v[54:55], v[70:71]
	v_fmac_f64_e32 v[38:39], v[56:57], v[70:71]
	ds_load_2addr_b64 v[50:53], v59 offset0:64 offset1:80
	s_wait_dscnt 0x0
	v_fmac_f64_e32 v[44:45], v[50:51], v[72:73]
	v_fmac_f64_e32 v[42:43], v[52:53], v[72:73]
	v_fmac_f64_e32 v[40:41], v[50:51], v[76:77]
	v_fmac_f64_e32 v[38:39], v[52:53], v[76:77]
	ds_load_2addr_b64 v[50:53], v59 offset0:96 offset1:112
	s_wait_dscnt 0x0
	v_fmac_f64_e32 v[44:45], v[50:51], v[74:75]
	v_fmac_f64_e32 v[42:43], v[52:53], v[74:75]
	v_fmac_f64_e32 v[40:41], v[50:51], v[78:79]
	v_fmac_f64_e32 v[38:39], v[52:53], v[78:79]
	ds_load_b128 v[50:53], v60 offset:32
	ds_load_2addr_b64 v[54:57], v59 offset0:128 offset1:144
	ds_load_b128 v[68:71], v60 offset:4128
	ds_load_b128 v[72:75], v60 offset:48
	ds_load_b128 v[76:79], v60 offset:4144
	s_wait_dscnt 0x3
	v_fmac_f64_e32 v[44:45], v[54:55], v[50:51]
	v_fmac_f64_e32 v[42:43], v[56:57], v[50:51]
	s_wait_dscnt 0x2
	v_fmac_f64_e32 v[40:41], v[54:55], v[68:69]
	v_fmac_f64_e32 v[38:39], v[56:57], v[68:69]
	ds_load_2addr_b64 v[54:57], v59 offset0:160 offset1:176
	s_wait_dscnt 0x0
	v_fmac_f64_e32 v[44:45], v[54:55], v[52:53]
	v_fmac_f64_e32 v[42:43], v[56:57], v[52:53]
	v_fmac_f64_e32 v[40:41], v[54:55], v[70:71]
	v_fmac_f64_e32 v[38:39], v[56:57], v[70:71]
	ds_load_2addr_b64 v[50:53], v59 offset0:192 offset1:208
	s_wait_dscnt 0x0
	v_fmac_f64_e32 v[44:45], v[50:51], v[72:73]
	v_fmac_f64_e32 v[42:43], v[52:53], v[72:73]
	v_fmac_f64_e32 v[40:41], v[50:51], v[76:77]
	v_fmac_f64_e32 v[38:39], v[52:53], v[76:77]
	ds_load_2addr_b64 v[50:53], v59 offset0:224 offset1:240
	s_wait_dscnt 0x0
	v_fmac_f64_e32 v[44:45], v[50:51], v[74:75]
	v_fmac_f64_e32 v[42:43], v[52:53], v[74:75]
	v_fmac_f64_e32 v[40:41], v[50:51], v[78:79]
	v_fmac_f64_e32 v[38:39], v[52:53], v[78:79]
	ds_load_b128 v[50:53], v60 offset:64
	ds_load_2addr_b64 v[54:57], v64 offset1:16
	ds_load_b128 v[68:71], v60 offset:4160
	ds_load_b128 v[72:75], v60 offset:80
	ds_load_b128 v[76:79], v60 offset:4176
	s_wait_dscnt 0x3
	v_fmac_f64_e32 v[44:45], v[54:55], v[50:51]
	v_fmac_f64_e32 v[42:43], v[56:57], v[50:51]
	s_wait_dscnt 0x2
	v_fmac_f64_e32 v[40:41], v[54:55], v[68:69]
	v_fmac_f64_e32 v[38:39], v[56:57], v[68:69]
	ds_load_2addr_b64 v[54:57], v64 offset0:32 offset1:48
	s_wait_dscnt 0x0
	v_fmac_f64_e32 v[44:45], v[54:55], v[52:53]
	v_fmac_f64_e32 v[42:43], v[56:57], v[52:53]
	v_fmac_f64_e32 v[40:41], v[54:55], v[70:71]
	v_fmac_f64_e32 v[38:39], v[56:57], v[70:71]
	ds_load_2addr_b64 v[50:53], v64 offset0:64 offset1:80
	s_wait_dscnt 0x0
	v_fmac_f64_e32 v[44:45], v[50:51], v[72:73]
	v_fmac_f64_e32 v[42:43], v[52:53], v[72:73]
	v_fmac_f64_e32 v[40:41], v[50:51], v[76:77]
	v_fmac_f64_e32 v[38:39], v[52:53], v[76:77]
	ds_load_2addr_b64 v[50:53], v64 offset0:96 offset1:112
	s_wait_dscnt 0x0
	v_fmac_f64_e32 v[44:45], v[50:51], v[74:75]
	v_fmac_f64_e32 v[42:43], v[52:53], v[74:75]
	v_fmac_f64_e32 v[40:41], v[50:51], v[78:79]
	v_fmac_f64_e32 v[38:39], v[52:53], v[78:79]
	ds_load_b128 v[50:53], v60 offset:96
	ds_load_2addr_b64 v[54:57], v64 offset0:128 offset1:144
	ds_load_b128 v[68:71], v60 offset:4192
	ds_load_b128 v[72:75], v60 offset:112
	ds_load_b128 v[76:79], v60 offset:4208
	s_wait_dscnt 0x3
	v_fmac_f64_e32 v[44:45], v[54:55], v[50:51]
	v_fmac_f64_e32 v[42:43], v[56:57], v[50:51]
	s_wait_dscnt 0x2
	v_fmac_f64_e32 v[40:41], v[54:55], v[68:69]
	v_fmac_f64_e32 v[38:39], v[56:57], v[68:69]
	ds_load_2addr_b64 v[54:57], v64 offset0:160 offset1:176
	s_wait_dscnt 0x0
	v_fmac_f64_e32 v[44:45], v[54:55], v[52:53]
	v_fmac_f64_e32 v[42:43], v[56:57], v[52:53]
	v_fmac_f64_e32 v[40:41], v[54:55], v[70:71]
	v_fmac_f64_e32 v[38:39], v[56:57], v[70:71]
	ds_load_2addr_b64 v[50:53], v64 offset0:192 offset1:208
	s_wait_dscnt 0x0
	v_fmac_f64_e32 v[44:45], v[50:51], v[72:73]
	v_fmac_f64_e32 v[42:43], v[52:53], v[72:73]
	v_fmac_f64_e32 v[40:41], v[50:51], v[76:77]
	v_fmac_f64_e32 v[38:39], v[52:53], v[76:77]
	ds_load_2addr_b64 v[50:53], v64 offset0:224 offset1:240
	s_wait_dscnt 0x0
	v_fmac_f64_e32 v[44:45], v[50:51], v[74:75]
	v_fmac_f64_e32 v[42:43], v[52:53], v[74:75]
	v_fmac_f64_e32 v[40:41], v[50:51], v[78:79]
	v_fmac_f64_e32 v[38:39], v[52:53], v[78:79]
	ds_load_b128 v[50:53], v60 offset:128
	ds_load_2addr_b64 v[54:57], v65 offset1:16
	ds_load_b128 v[68:71], v60 offset:4224
	ds_load_b128 v[72:75], v60 offset:144
	ds_load_b128 v[76:79], v60 offset:4240
	;; [unrolled: 58-line block ×3, first 2 shown]
	s_wait_dscnt 0x3
	v_fmac_f64_e32 v[44:45], v[54:55], v[50:51]
	v_fmac_f64_e32 v[42:43], v[56:57], v[50:51]
	s_wait_dscnt 0x2
	v_fmac_f64_e32 v[40:41], v[54:55], v[68:69]
	v_fmac_f64_e32 v[38:39], v[56:57], v[68:69]
	ds_load_2addr_b64 v[54:57], v66 offset0:32 offset1:48
	s_wait_dscnt 0x0
	v_fmac_f64_e32 v[44:45], v[54:55], v[52:53]
	v_fmac_f64_e32 v[42:43], v[56:57], v[52:53]
	v_fmac_f64_e32 v[40:41], v[54:55], v[70:71]
	v_fmac_f64_e32 v[38:39], v[56:57], v[70:71]
	ds_load_2addr_b64 v[50:53], v66 offset0:64 offset1:80
	s_wait_dscnt 0x0
	v_fmac_f64_e32 v[44:45], v[50:51], v[72:73]
	v_fmac_f64_e32 v[42:43], v[52:53], v[72:73]
	;; [unrolled: 6-line block ×3, first 2 shown]
	v_fmac_f64_e32 v[40:41], v[50:51], v[78:79]
	v_fmac_f64_e32 v[38:39], v[52:53], v[78:79]
	ds_load_b128 v[50:53], v60 offset:224
	ds_load_2addr_b64 v[54:57], v66 offset0:128 offset1:144
	ds_load_b128 v[68:71], v60 offset:4320
	ds_load_b128 v[72:75], v60 offset:240
	;; [unrolled: 1-line block ×3, first 2 shown]
	s_wait_dscnt 0x3
	v_fmac_f64_e32 v[44:45], v[54:55], v[50:51]
	v_fmac_f64_e32 v[42:43], v[56:57], v[50:51]
	s_wait_dscnt 0x2
	v_fmac_f64_e32 v[40:41], v[54:55], v[68:69]
	v_fmac_f64_e32 v[38:39], v[56:57], v[68:69]
	ds_load_2addr_b64 v[54:57], v66 offset0:160 offset1:176
	s_wait_dscnt 0x0
	v_fmac_f64_e32 v[44:45], v[54:55], v[52:53]
	v_fmac_f64_e32 v[42:43], v[56:57], v[52:53]
	;; [unrolled: 1-line block ×4, first 2 shown]
	ds_load_2addr_b64 v[50:53], v66 offset0:192 offset1:208
	s_wait_dscnt 0x0
	v_fmac_f64_e32 v[44:45], v[50:51], v[72:73]
	v_fmac_f64_e32 v[42:43], v[52:53], v[72:73]
	;; [unrolled: 1-line block ×4, first 2 shown]
	ds_load_2addr_b64 v[50:53], v66 offset0:224 offset1:240
	s_wait_dscnt 0x0
	s_barrier_signal -1
	s_barrier_wait -1
	v_fmac_f64_e32 v[44:45], v[50:51], v[74:75]
	v_fmac_f64_e32 v[42:43], v[52:53], v[74:75]
	;; [unrolled: 1-line block ×4, first 2 shown]
	s_cbranch_scc1 .LBB44_48
.LBB44_11:                              ;   Parent Loop BB44_4 Depth=1
                                        ;     Parent Loop BB44_8 Depth=2
                                        ; =>    This Inner Loop Header: Depth=3
	v_add_nc_u64_e32 v[54:55], s[46:47], v[8:9]
	v_cmp_eq_u64_e64 s7, s[46:47], v[14:15]
	v_add_nc_u64_e32 v[50:51], s[38:39], v[32:33]
                                        ; implicit-def: $vgpr56_vgpr57
	s_delay_alu instid0(VALU_DEP_3) | instskip(SKIP_3) | instid1(SALU_CYCLE_1)
	v_cmp_le_i64_e64 s6, s[42:43], v[54:55]
	v_cmp_lt_i64_e64 s5, v[54:55], v[2:3]
	s_and_b32 s55, s52, s7
	s_or_b32 s7, s6, s5
	s_or_b32 s7, s7, s55
	s_delay_alu instid0(SALU_CYCLE_1) | instskip(NEXT) | instid1(SALU_CYCLE_1)
	s_nor_b32 s7, s0, s7
	s_and_saveexec_b32 s8, s7
	s_delay_alu instid0(SALU_CYCLE_1)
	s_xor_b32 s7, exec_lo, s8
	s_cbranch_execz .LBB44_13
; %bb.12:                               ;   in Loop: Header=BB44_11 Depth=3
	global_load_b64 v[56:57], v[50:51], off
.LBB44_13:                              ;   in Loop: Header=BB44_11 Depth=3
	s_wait_xcnt 0x0
	s_and_not1_saveexec_b32 s7, s7
	s_cbranch_execz .LBB44_15
; %bb.14:                               ;   in Loop: Header=BB44_11 Depth=3
	v_cndmask_b32_e64 v1, 0, 0x3ff00000, s55
	s_wait_loadcnt 0x0
	s_delay_alu instid0(VALU_DEP_1)
	v_mov_b64_e32 v[56:57], v[0:1]
.LBB44_15:                              ;   in Loop: Header=BB44_11 Depth=3
	s_or_b32 exec_lo, exec_lo, s7
	v_cmp_eq_u64_e64 s7, s[46:47], v[16:17]
	v_cmp_gt_i64_e64 s8, v[12:13], v[54:55]
	v_add_nc_u64_e32 v[52:53], s[38:39], v[30:31]
	s_wait_loadcnt 0x0
	ds_store_b64 v61, v[56:57]
	s_and_b32 s7, s52, s7
	s_or_b32 s6, s6, s8
	s_delay_alu instid0(SALU_CYCLE_1) | instskip(NEXT) | instid1(SALU_CYCLE_1)
	s_or_b32 s6, s6, s7
	s_nor_b32 s6, s3, s6
	s_delay_alu instid0(SALU_CYCLE_1) | instskip(NEXT) | instid1(SALU_CYCLE_1)
	s_and_saveexec_b32 s8, s6
	s_xor_b32 s6, exec_lo, s8
	s_cbranch_execz .LBB44_17
; %bb.16:                               ;   in Loop: Header=BB44_11 Depth=3
	global_load_b64 v[56:57], v[52:53], off
	s_wait_loadcnt 0x0
	ds_store_b64 v61, v[56:57] offset:128
.LBB44_17:                              ;   in Loop: Header=BB44_11 Depth=3
	s_wait_xcnt 0x0
	s_and_not1_saveexec_b32 s6, s6
	s_cbranch_execz .LBB44_23
; %bb.18:                               ;   in Loop: Header=BB44_11 Depth=3
	s_xor_b32 s7, s7, -1
	s_delay_alu instid0(SALU_CYCLE_1) | instskip(NEXT) | instid1(SALU_CYCLE_1)
	s_and_saveexec_b32 s8, s7
	s_xor_b32 s7, exec_lo, s8
; %bb.19:                               ;   in Loop: Header=BB44_11 Depth=3
	ds_store_b64 v61, v[4:5] offset:128
; %bb.20:                               ;   in Loop: Header=BB44_11 Depth=3
	s_and_not1_saveexec_b32 s7, s7
; %bb.21:                               ;   in Loop: Header=BB44_11 Depth=3
	ds_store_b64 v61, v[6:7] offset:128
; %bb.22:                               ;   in Loop: Header=BB44_11 Depth=3
	s_or_b32 exec_lo, exec_lo, s7
.LBB44_23:                              ;   in Loop: Header=BB44_11 Depth=3
	s_delay_alu instid0(SALU_CYCLE_1) | instskip(SKIP_2) | instid1(VALU_DEP_2)
	s_or_b32 exec_lo, exec_lo, s6
	v_add_nc_u64_e32 v[54:55], 16, v[54:55]
	v_cmp_eq_u64_e64 s7, s[46:47], v[18:19]
	v_cmp_le_i64_e64 s6, s[42:43], v[54:55]
	v_cmp_lt_i64_e64 s8, v[54:55], v[2:3]
	s_and_b32 s7, s52, s7
                                        ; implicit-def: $vgpr54_vgpr55
	s_or_b32 s8, s6, s8
	s_delay_alu instid0(SALU_CYCLE_1) | instskip(NEXT) | instid1(SALU_CYCLE_1)
	s_or_b32 s8, s8, s7
	s_nor_b32 s8, s0, s8
	s_delay_alu instid0(SALU_CYCLE_1) | instskip(NEXT) | instid1(SALU_CYCLE_1)
	s_and_saveexec_b32 s56, s8
	s_xor_b32 s8, exec_lo, s56
	s_cbranch_execz .LBB44_25
; %bb.24:                               ;   in Loop: Header=BB44_11 Depth=3
	global_load_b64 v[54:55], v[50:51], off offset:128
.LBB44_25:                              ;   in Loop: Header=BB44_11 Depth=3
	s_wait_xcnt 0x0
	s_and_not1_saveexec_b32 s8, s8
	s_cbranch_execz .LBB44_27
; %bb.26:                               ;   in Loop: Header=BB44_11 Depth=3
	v_cndmask_b32_e64 v1, 0, 0x3ff00000, s7
	s_wait_loadcnt 0x0
	s_delay_alu instid0(VALU_DEP_1)
	v_mov_b64_e32 v[54:55], v[0:1]
.LBB44_27:                              ;   in Loop: Header=BB44_11 Depth=3
	s_or_b32 exec_lo, exec_lo, s8
	s_or_b32 s5, s6, s5
	s_wait_loadcnt 0x0
	ds_store_b64 v61, v[54:55] offset:4096
	s_or_b32 s5, s5, s55
	s_delay_alu instid0(SALU_CYCLE_1) | instskip(NEXT) | instid1(SALU_CYCLE_1)
	s_nor_b32 s5, s3, s5
	s_and_saveexec_b32 s6, s5
	s_delay_alu instid0(SALU_CYCLE_1)
	s_xor_b32 s5, exec_lo, s6
	s_cbranch_execz .LBB44_29
; %bb.28:                               ;   in Loop: Header=BB44_11 Depth=3
	global_load_b64 v[50:51], v[52:53], off offset:128
	s_wait_loadcnt 0x0
	ds_store_b64 v61, v[50:51] offset:4224
.LBB44_29:                              ;   in Loop: Header=BB44_11 Depth=3
	s_wait_xcnt 0x0
	s_and_not1_saveexec_b32 s5, s5
	s_cbranch_execz .LBB44_35
; %bb.30:                               ;   in Loop: Header=BB44_11 Depth=3
	s_xor_b32 s6, s55, -1
	s_delay_alu instid0(SALU_CYCLE_1) | instskip(NEXT) | instid1(SALU_CYCLE_1)
	s_and_saveexec_b32 s7, s6
	s_xor_b32 s6, exec_lo, s7
; %bb.31:                               ;   in Loop: Header=BB44_11 Depth=3
	ds_store_b64 v61, v[4:5] offset:4224
; %bb.32:                               ;   in Loop: Header=BB44_11 Depth=3
	s_and_not1_saveexec_b32 s6, s6
; %bb.33:                               ;   in Loop: Header=BB44_11 Depth=3
	ds_store_b64 v61, v[6:7] offset:4224
; %bb.34:                               ;   in Loop: Header=BB44_11 Depth=3
	s_or_b32 exec_lo, exec_lo, s6
.LBB44_35:                              ;   in Loop: Header=BB44_11 Depth=3
	s_delay_alu instid0(SALU_CYCLE_1) | instskip(SKIP_3) | instid1(VALU_DEP_3)
	s_or_b32 exec_lo, exec_lo, s5
	v_add_nc_u64_e32 v[52:53], s[46:47], v[2:3]
	v_add_nc_u64_e32 v[50:51], s[38:39], v[46:47]
	v_mov_b64_e32 v[54:55], 0
	v_cmp_gt_i64_e64 s5, s[42:43], v[52:53]
	s_and_b32 s7, vcc_lo, s5
	s_delay_alu instid0(SALU_CYCLE_1)
	s_and_saveexec_b32 s6, s7
	s_cbranch_execz .LBB44_37
; %bb.36:                               ;   in Loop: Header=BB44_11 Depth=3
	global_load_b64 v[54:55], v[50:51], off offset:-128
.LBB44_37:                              ;   in Loop: Header=BB44_11 Depth=3
	s_wait_xcnt 0x0
	s_or_b32 exec_lo, exec_lo, s6
	v_cmp_gt_i64_e64 s6, s[20:21], v[52:53]
	s_wait_loadcnt 0x0
	ds_store_b64 v62, v[54:55]
	s_and_b32 s7, vcc_lo, s6
	s_delay_alu instid0(SALU_CYCLE_1) | instskip(NEXT) | instid1(SALU_CYCLE_1)
	s_xor_b32 s7, s7, -1
	s_and_saveexec_b32 s8, s7
	s_delay_alu instid0(SALU_CYCLE_1)
	s_xor_b32 s7, exec_lo, s8
; %bb.38:                               ;   in Loop: Header=BB44_11 Depth=3
	ds_store_b64 v62, v[4:5] offset:128
                                        ; implicit-def: $vgpr50_vgpr51
; %bb.39:                               ;   in Loop: Header=BB44_11 Depth=3
	s_and_not1_saveexec_b32 s7, s7
	s_cbranch_execz .LBB44_41
; %bb.40:                               ;   in Loop: Header=BB44_11 Depth=3
	global_load_b64 v[50:51], v[50:51], off
	s_wait_loadcnt 0x0
	ds_store_b64 v62, v[50:51] offset:128
.LBB44_41:                              ;   in Loop: Header=BB44_11 Depth=3
	s_wait_xcnt 0x0
	s_or_b32 exec_lo, exec_lo, s7
	v_add_nc_u64_e32 v[50:51], s[38:39], v[48:49]
	v_mov_b64_e32 v[52:53], 0
	s_and_b32 s7, s4, s5
	s_delay_alu instid0(SALU_CYCLE_1)
	s_and_saveexec_b32 s5, s7
	s_cbranch_execz .LBB44_43
; %bb.42:                               ;   in Loop: Header=BB44_11 Depth=3
	global_load_b64 v[52:53], v[50:51], off offset:-128
.LBB44_43:                              ;   in Loop: Header=BB44_11 Depth=3
	s_wait_xcnt 0x0
	s_or_b32 exec_lo, exec_lo, s5
	s_and_b32 s5, s4, s6
	s_wait_loadcnt 0x0
	ds_store_b64 v62, v[52:53] offset:4096
	s_xor_b32 s5, s5, -1
	s_delay_alu instid0(SALU_CYCLE_1) | instskip(NEXT) | instid1(SALU_CYCLE_1)
	s_and_saveexec_b32 s6, s5
	s_xor_b32 s5, exec_lo, s6
; %bb.44:                               ;   in Loop: Header=BB44_11 Depth=3
	ds_store_b64 v62, v[4:5] offset:4224
                                        ; implicit-def: $vgpr50_vgpr51
; %bb.45:                               ;   in Loop: Header=BB44_11 Depth=3
	s_and_not1_saveexec_b32 s5, s5
	s_cbranch_execz .LBB44_10
; %bb.46:                               ;   in Loop: Header=BB44_11 Depth=3
	global_load_b64 v[50:51], v[50:51], off
	s_wait_loadcnt 0x0
	ds_store_b64 v62, v[50:51] offset:4224
	s_branch .LBB44_10
.LBB44_47:                              ;   in Loop: Header=BB44_8 Depth=2
	v_mov_b64_e32 v[44:45], 0
	v_mov_b64_e32 v[42:43], 0
	;; [unrolled: 1-line block ×4, first 2 shown]
.LBB44_48:                              ;   in Loop: Header=BB44_8 Depth=2
	v_mul_u64_e32 v[46:47], s[28:29], v[36:37]
	v_cmp_gt_i32_e32 vcc_lo, s10, v36
	s_and_b32 s5, s1, vcc_lo
	s_delay_alu instid0(VALU_DEP_2)
	v_lshl_add_u64 v[46:47], v[46:47], 3, s[26:27]
	s_and_saveexec_b32 s4, s5
	s_cbranch_execz .LBB44_50
; %bb.49:                               ;   in Loop: Header=BB44_8 Depth=2
	s_delay_alu instid0(VALU_DEP_1)
	v_lshl_add_u64 v[48:49], v[2:3], 3, v[46:47]
	global_load_b64 v[50:51], v[48:49], off
	s_wait_loadcnt 0x0
	v_fmac_f64_e32 v[50:51], v[26:27], v[44:45]
	global_store_b64 v[48:49], v[50:51], off
.LBB44_50:                              ;   in Loop: Header=BB44_8 Depth=2
	s_wait_xcnt 0x0
	s_or_b32 exec_lo, exec_lo, s4
	s_and_b32 s5, s2, vcc_lo
	s_delay_alu instid0(SALU_CYCLE_1)
	s_and_saveexec_b32 s4, s5
	s_cbranch_execz .LBB44_52
; %bb.51:                               ;   in Loop: Header=BB44_8 Depth=2
	v_lshl_add_u64 v[44:45], v[10:11], 3, v[46:47]
	global_load_b64 v[46:47], v[44:45], off
	s_wait_loadcnt 0x0
	v_fmac_f64_e32 v[46:47], v[26:27], v[42:43]
	global_store_b64 v[44:45], v[46:47], off
.LBB44_52:                              ;   in Loop: Header=BB44_8 Depth=2
	s_wait_xcnt 0x0
	s_or_b32 exec_lo, exec_lo, s4
	v_add_nc_u32_e32 v36, 16, v36
	s_delay_alu instid0(VALU_DEP_1) | instskip(SKIP_1) | instid1(VALU_DEP_2)
	v_ashrrev_i32_e32 v37, 31, v36
	v_cmp_gt_i32_e32 vcc_lo, s10, v36
	v_mul_u64_e32 v[42:43], s[28:29], v[36:37]
	s_and_b32 s5, s1, vcc_lo
	s_delay_alu instid0(VALU_DEP_1)
	v_lshl_add_u64 v[36:37], v[42:43], 3, s[26:27]
	s_and_saveexec_b32 s4, s5
	s_cbranch_execz .LBB44_54
; %bb.53:                               ;   in Loop: Header=BB44_8 Depth=2
	s_delay_alu instid0(VALU_DEP_1)
	v_lshl_add_u64 v[42:43], v[2:3], 3, v[36:37]
	global_load_b64 v[44:45], v[42:43], off
	s_wait_loadcnt 0x0
	v_fmac_f64_e32 v[44:45], v[26:27], v[40:41]
	global_store_b64 v[42:43], v[44:45], off
.LBB44_54:                              ;   in Loop: Header=BB44_8 Depth=2
	s_wait_xcnt 0x0
	s_or_b32 exec_lo, exec_lo, s4
	s_and_b32 s5, s2, vcc_lo
	s_delay_alu instid0(SALU_CYCLE_1)
	s_and_saveexec_b32 s4, s5
	s_cbranch_execz .LBB44_7
; %bb.55:                               ;   in Loop: Header=BB44_8 Depth=2
	v_lshl_add_u64 v[36:37], v[10:11], 3, v[36:37]
	global_load_b64 v[40:41], v[36:37], off
	s_wait_loadcnt 0x0
	v_fmac_f64_e32 v[40:41], v[26:27], v[38:39]
	global_store_b64 v[36:37], v[40:41], off
	s_branch .LBB44_7
.LBB44_56:
	s_sendmsg sendmsg(MSG_DEALLOC_VGPRS)
	s_endpgm
	.section	.rodata,"a",@progbits
	.p2align	6, 0x0
	.amdhsa_kernel _ZL30rocblas_trmm_outofplace_kernelIdLi32ELi2ELb1ELb0ELb1ELb1EPKdS0_dEv17rocblas_diagonal_iiT6_lPT7_lllS5_lllPT8_llli
		.amdhsa_group_segment_fixed_size 16384
		.amdhsa_private_segment_fixed_size 0
		.amdhsa_kernarg_size 392
		.amdhsa_user_sgpr_count 2
		.amdhsa_user_sgpr_dispatch_ptr 0
		.amdhsa_user_sgpr_queue_ptr 0
		.amdhsa_user_sgpr_kernarg_segment_ptr 1
		.amdhsa_user_sgpr_dispatch_id 0
		.amdhsa_user_sgpr_kernarg_preload_length 0
		.amdhsa_user_sgpr_kernarg_preload_offset 0
		.amdhsa_user_sgpr_private_segment_size 0
		.amdhsa_wavefront_size32 1
		.amdhsa_uses_dynamic_stack 0
		.amdhsa_enable_private_segment 0
		.amdhsa_system_sgpr_workgroup_id_x 1
		.amdhsa_system_sgpr_workgroup_id_y 1
		.amdhsa_system_sgpr_workgroup_id_z 1
		.amdhsa_system_sgpr_workgroup_info 0
		.amdhsa_system_vgpr_workitem_id 1
		.amdhsa_next_free_vgpr 80
		.amdhsa_next_free_sgpr 57
		.amdhsa_named_barrier_count 0
		.amdhsa_reserve_vcc 1
		.amdhsa_float_round_mode_32 0
		.amdhsa_float_round_mode_16_64 0
		.amdhsa_float_denorm_mode_32 3
		.amdhsa_float_denorm_mode_16_64 3
		.amdhsa_fp16_overflow 0
		.amdhsa_memory_ordered 1
		.amdhsa_forward_progress 1
		.amdhsa_inst_pref_size 26
		.amdhsa_round_robin_scheduling 0
		.amdhsa_exception_fp_ieee_invalid_op 0
		.amdhsa_exception_fp_denorm_src 0
		.amdhsa_exception_fp_ieee_div_zero 0
		.amdhsa_exception_fp_ieee_overflow 0
		.amdhsa_exception_fp_ieee_underflow 0
		.amdhsa_exception_fp_ieee_inexact 0
		.amdhsa_exception_int_div_zero 0
	.end_amdhsa_kernel
	.section	.text._ZL30rocblas_trmm_outofplace_kernelIdLi32ELi2ELb1ELb0ELb1ELb1EPKdS0_dEv17rocblas_diagonal_iiT6_lPT7_lllS5_lllPT8_llli,"axG",@progbits,_ZL30rocblas_trmm_outofplace_kernelIdLi32ELi2ELb1ELb0ELb1ELb1EPKdS0_dEv17rocblas_diagonal_iiT6_lPT7_lllS5_lllPT8_llli,comdat
.Lfunc_end44:
	.size	_ZL30rocblas_trmm_outofplace_kernelIdLi32ELi2ELb1ELb0ELb1ELb1EPKdS0_dEv17rocblas_diagonal_iiT6_lPT7_lllS5_lllPT8_llli, .Lfunc_end44-_ZL30rocblas_trmm_outofplace_kernelIdLi32ELi2ELb1ELb0ELb1ELb1EPKdS0_dEv17rocblas_diagonal_iiT6_lPT7_lllS5_lllPT8_llli
                                        ; -- End function
	.set _ZL30rocblas_trmm_outofplace_kernelIdLi32ELi2ELb1ELb0ELb1ELb1EPKdS0_dEv17rocblas_diagonal_iiT6_lPT7_lllS5_lllPT8_llli.num_vgpr, 80
	.set _ZL30rocblas_trmm_outofplace_kernelIdLi32ELi2ELb1ELb0ELb1ELb1EPKdS0_dEv17rocblas_diagonal_iiT6_lPT7_lllS5_lllPT8_llli.num_agpr, 0
	.set _ZL30rocblas_trmm_outofplace_kernelIdLi32ELi2ELb1ELb0ELb1ELb1EPKdS0_dEv17rocblas_diagonal_iiT6_lPT7_lllS5_lllPT8_llli.numbered_sgpr, 57
	.set _ZL30rocblas_trmm_outofplace_kernelIdLi32ELi2ELb1ELb0ELb1ELb1EPKdS0_dEv17rocblas_diagonal_iiT6_lPT7_lllS5_lllPT8_llli.num_named_barrier, 0
	.set _ZL30rocblas_trmm_outofplace_kernelIdLi32ELi2ELb1ELb0ELb1ELb1EPKdS0_dEv17rocblas_diagonal_iiT6_lPT7_lllS5_lllPT8_llli.private_seg_size, 0
	.set _ZL30rocblas_trmm_outofplace_kernelIdLi32ELi2ELb1ELb0ELb1ELb1EPKdS0_dEv17rocblas_diagonal_iiT6_lPT7_lllS5_lllPT8_llli.uses_vcc, 1
	.set _ZL30rocblas_trmm_outofplace_kernelIdLi32ELi2ELb1ELb0ELb1ELb1EPKdS0_dEv17rocblas_diagonal_iiT6_lPT7_lllS5_lllPT8_llli.uses_flat_scratch, 0
	.set _ZL30rocblas_trmm_outofplace_kernelIdLi32ELi2ELb1ELb0ELb1ELb1EPKdS0_dEv17rocblas_diagonal_iiT6_lPT7_lllS5_lllPT8_llli.has_dyn_sized_stack, 0
	.set _ZL30rocblas_trmm_outofplace_kernelIdLi32ELi2ELb1ELb0ELb1ELb1EPKdS0_dEv17rocblas_diagonal_iiT6_lPT7_lllS5_lllPT8_llli.has_recursion, 0
	.set _ZL30rocblas_trmm_outofplace_kernelIdLi32ELi2ELb1ELb0ELb1ELb1EPKdS0_dEv17rocblas_diagonal_iiT6_lPT7_lllS5_lllPT8_llli.has_indirect_call, 0
	.section	.AMDGPU.csdata,"",@progbits
; Kernel info:
; codeLenInByte = 3276
; TotalNumSgprs: 59
; NumVgprs: 80
; ScratchSize: 0
; MemoryBound: 0
; FloatMode: 240
; IeeeMode: 1
; LDSByteSize: 16384 bytes/workgroup (compile time only)
; SGPRBlocks: 0
; VGPRBlocks: 4
; NumSGPRsForWavesPerEU: 59
; NumVGPRsForWavesPerEU: 80
; NamedBarCnt: 0
; Occupancy: 12
; WaveLimiterHint : 0
; COMPUTE_PGM_RSRC2:SCRATCH_EN: 0
; COMPUTE_PGM_RSRC2:USER_SGPR: 2
; COMPUTE_PGM_RSRC2:TRAP_HANDLER: 0
; COMPUTE_PGM_RSRC2:TGID_X_EN: 1
; COMPUTE_PGM_RSRC2:TGID_Y_EN: 1
; COMPUTE_PGM_RSRC2:TGID_Z_EN: 1
; COMPUTE_PGM_RSRC2:TIDIG_COMP_CNT: 1
	.section	.text._ZL30rocblas_trmm_outofplace_kernelIdLi32ELi2ELb1ELb0ELb1ELb1EdKddEv17rocblas_diagonal_iiT6_lPT7_lllS4_lllPT8_llli,"axG",@progbits,_ZL30rocblas_trmm_outofplace_kernelIdLi32ELi2ELb1ELb0ELb1ELb1EdKddEv17rocblas_diagonal_iiT6_lPT7_lllS4_lllPT8_llli,comdat
	.globl	_ZL30rocblas_trmm_outofplace_kernelIdLi32ELi2ELb1ELb0ELb1ELb1EdKddEv17rocblas_diagonal_iiT6_lPT7_lllS4_lllPT8_llli ; -- Begin function _ZL30rocblas_trmm_outofplace_kernelIdLi32ELi2ELb1ELb0ELb1ELb1EdKddEv17rocblas_diagonal_iiT6_lPT7_lllS4_lllPT8_llli
	.p2align	8
	.type	_ZL30rocblas_trmm_outofplace_kernelIdLi32ELi2ELb1ELb0ELb1ELb1EdKddEv17rocblas_diagonal_iiT6_lPT7_lllS4_lllPT8_llli,@function
_ZL30rocblas_trmm_outofplace_kernelIdLi32ELi2ELb1ELb0ELb1ELb1EdKddEv17rocblas_diagonal_iiT6_lPT7_lllS4_lllPT8_llli: ; @_ZL30rocblas_trmm_outofplace_kernelIdLi32ELi2ELb1ELb0ELb1ELb1EdKddEv17rocblas_diagonal_iiT6_lPT7_lllS4_lllPT8_llli
; %bb.0:
	s_load_b32 s31, s[0:1], 0x80
	s_bfe_u32 s2, ttmp6, 0x40014
	s_lshr_b32 s3, ttmp7, 16
	s_add_co_i32 s2, s2, 1
	s_bfe_u32 s5, ttmp6, 0x40008
	s_mul_i32 s4, s3, s2
	s_getreg_b32 s2, hwreg(HW_REG_IB_STS2, 6, 4)
	s_add_co_i32 s5, s5, s4
	s_cmp_eq_u32 s2, 0
	s_cselect_b32 s34, s3, s5
	s_wait_kmcnt 0x0
	s_cmp_ge_u32 s34, s31
	s_cbranch_scc1 .LBB45_55
; %bb.1:
	s_load_b64 s[36:37], s[0:1], 0x10
	s_wait_kmcnt 0x0
	v_cmp_eq_f64_e64 s3, s[36:37], 0
	s_and_b32 vcc_lo, exec_lo, s3
	s_cbranch_vccnz .LBB45_55
; %bb.2:
	s_load_b96 s[28:30], s[0:1], 0x0
	s_bfe_u32 s4, ttmp6, 0x4000c
	s_bfe_u32 s6, ttmp6, 0x40010
	s_and_b32 s5, ttmp7, 0xffff
	s_add_co_i32 s4, s4, 1
	s_add_co_i32 s6, s6, 1
	s_and_b32 s3, ttmp6, 15
	s_bfe_u32 s7, ttmp6, 0x40004
	s_mul_i32 s4, ttmp9, s4
	s_mul_i32 s6, s5, s6
	s_add_co_i32 s3, s3, s4
	s_add_co_i32 s7, s7, s6
	v_and_b32_e32 v1, 0x3ff, v0
	v_bfe_u32 v54, v0, 10, 10
	s_load_b256 s[20:27], s[0:1], 0x60
	v_mov_b64_e32 v[4:5], 0
	v_mov_b64_e32 v[6:7], 1.0
	s_add_nc_u64 s[38:39], s[0:1], 0x88
	s_mov_b32 s35, 0
	v_lshlrev_b32_e32 v8, 8, v54
	s_wait_kmcnt 0x0
	s_add_co_i32 s8, s30, -1
	s_mov_b32 s40, s29
	s_ashr_i32 s9, s8, 31
	s_mov_b32 s42, s30
	s_lshr_b32 s9, s9, 27
	v_lshlrev_b32_e32 v55, 3, v1
	s_add_co_i32 s8, s8, s9
	v_add_nc_u32_e32 v56, 0x2000, v8
	s_ashr_i32 s33, s8, 5
	s_cmp_eq_u32 s2, 0
	v_dual_mov_b32 v0, 0 :: v_dual_add_nc_u32 v57, v55, v8
	s_cselect_b32 s46, s5, s7
	s_cselect_b32 s2, ttmp9, s3
	s_cmp_le_i32 s46, s33
	s_load_b512 s[4:19], s[0:1], 0x20
	s_cselect_b32 s47, -1, 0
	s_lshl_b32 s41, s2, 5
	s_delay_alu instid0(SALU_CYCLE_1)
	v_dual_add_nc_u32 v58, v56, v55 :: v_dual_add_nc_u32 v8, s41, v54
	v_add_nc_u32_e32 v2, s41, v1
	s_sub_co_i32 s48, s29, s41
	v_lshl_add_u32 v59, s46, 5, v54
	s_cmp_gt_i32 s48, 0
	v_add_nc_u32_e32 v60, 0x800, v55
	v_ashrrev_i32_e32 v3, 31, v2
	s_cselect_b32 s49, -1, 0
	s_cmp_eq_u32 s28, 0x84
	s_wait_xcnt 0x0
	v_cmp_le_i32_e64 s0, s29, v2
	s_cselect_b32 s50, -1, 0
	v_lshlrev_b64_e32 v[16:17], 3, v[2:3]
	s_ashr_i32 s41, s29, 31
	v_ashrrev_i32_e32 v9, 31, v8
	v_cmp_gt_i32_e64 s1, s29, v2
	v_add_nc_u32_e32 v61, 0x1000, v55
	s_wait_kmcnt 0x0
	v_mul_u64_e32 v[12:13], s[8:9], v[2:3]
	s_lshl_b64 s[2:3], s[6:7], 3
	v_add_nc_u64_e32 v[10:11], 0x80, v[16:17]
	s_lshl_b64 s[6:7], s[22:23], 3
	s_lshl_b64 s[22:23], s[14:15], 3
	s_add_nc_u64 s[14:15], s[20:21], s[6:7]
	s_add_nc_u64 s[6:7], s[12:13], s[22:23]
	v_add_nc_u32_e32 v62, 0x1800, v55
	v_add_nc_u64_e32 v[24:25], s[6:7], v[16:17]
	v_mad_nc_u64_u32 v[18:19], s8, v10, s[2:3]
	s_ashr_i32 s43, s30, 31
	s_add_nc_u64 s[20:21], s[40:41], -16
	s_lshl_b64 s[12:13], s[18:19], 3
	s_lshl_b64 s[18:19], s[16:17], 3
	;; [unrolled: 1-line block ×3, first 2 shown]
	s_delay_alu instid0(VALU_DEP_1) | instskip(SKIP_3) | instid1(VALU_DEP_1)
	v_mad_u32 v1, s9, v10, v19
	v_add_nc_u32_e32 v10, 16, v2
	v_lshlrev_b64_e32 v[20:21], 3, v[8:9]
	v_sub_nc_u64_e32 v[14:15], v[2:3], v[8:9]
	v_add_nc_u64_e32 v[16:17], 16, v[14:15]
	v_mad_u32 v19, s8, v11, v1
	v_lshl_add_u64 v[22:23], v[12:13], 3, s[2:3]
	v_add_nc_u64_e32 v[12:13], 16, v[2:3]
	v_cmp_gt_i32_e64 s2, s29, v10
	v_ashrrev_i32_e32 v11, 31, v10
	s_delay_alu instid0(VALU_DEP_4) | instskip(NEXT) | instid1(VALU_DEP_4)
	v_add_nc_u64_e32 v[22:23], v[22:23], v[20:21]
	v_cmp_le_i64_e64 s3, s[40:41], v[12:13]
	v_add_nc_u64_e32 v[26:27], v[18:19], v[20:21]
	v_add_nc_u64_e32 v[18:19], -16, v[14:15]
	v_add_nc_u64_e32 v[20:21], 0x80, v[24:25]
	v_add_nc_u64_e32 v[22:23], s[4:5], v[22:23]
	s_delay_alu instid0(VALU_DEP_4)
	v_add_nc_u64_e32 v[24:25], s[4:5], v[26:27]
	s_branch .LBB45_4
.LBB45_3:                               ;   in Loop: Header=BB45_4 Depth=1
	s_add_co_i32 s34, s34, 0x10000
	s_delay_alu instid0(SALU_CYCLE_1)
	s_cmp_ge_u32 s34, s31
	s_cbranch_scc1 .LBB45_55
.LBB45_4:                               ; =>This Loop Header: Depth=1
                                        ;     Child Loop BB45_7 Depth 2
                                        ;       Child Loop BB45_10 Depth 3
	s_and_not1_b32 vcc_lo, exec_lo, s47
	s_cbranch_vccnz .LBB45_3
; %bb.5:                                ;   in Loop: Header=BB45_4 Depth=1
	s_load_b32 s9, s[38:39], 0x4
	v_mad_nc_u64_u32 v[26:27], s12, s34, v[20:21]
	s_delay_alu instid0(VALU_DEP_2)
	v_mad_nc_u64_u32 v[28:29], s10, s34, v[24:25]
	v_mad_nc_u64_u32 v[30:31], s10, s34, v[22:23]
	s_mul_i32 s6, s11, s34
	s_mul_u64 s[4:5], s[26:27], s[34:35]
	v_mov_b32_e32 v32, v59
	s_lshl_b64 s[4:5], s[4:5], 3
	s_mov_b32 s52, s46
	s_add_nc_u64 s[22:23], s[14:15], s[4:5]
	s_delay_alu instid0(VALU_DEP_4) | instskip(NEXT) | instid1(VALU_DEP_3)
	v_mad_u32 v27, s13, s34, v27
	v_dual_add_nc_u32 v29, s6, v29 :: v_dual_add_nc_u32 v31, s6, v31
	s_wait_kmcnt 0x0
	s_lshl_b32 s51, s9, 5
	s_branch .LBB45_7
.LBB45_6:                               ;   in Loop: Header=BB45_7 Depth=2
	s_wait_xcnt 0x0
	s_or_b32 exec_lo, exec_lo, s4
	v_add_nc_u32_e32 v32, s51, v32
	s_add_co_i32 s52, s9, s52
	s_delay_alu instid0(SALU_CYCLE_1)
	s_cmp_gt_i32 s52, s33
	s_cbranch_scc1 .LBB45_3
.LBB45_7:                               ;   Parent Loop BB45_4 Depth=1
                                        ; =>  This Loop Header: Depth=2
                                        ;       Child Loop BB45_10 Depth 3
	v_lshl_add_u32 v34, s52, 5, v54
	s_and_not1_b32 vcc_lo, exec_lo, s49
	s_delay_alu instid0(VALU_DEP_1)
	v_ashrrev_i32_e32 v35, 31, v34
	s_cbranch_vccnz .LBB45_46
; %bb.8:                                ;   in Loop: Header=BB45_7 Depth=2
	v_ashrrev_i32_e32 v33, 31, v32
	v_mad_nc_u64_u32 v[44:45], s18, v32, v[26:27]
	s_delay_alu instid0(VALU_DEP_3)
	v_sub_nc_u64_e32 v[38:39], s[42:43], v[34:35]
	v_mov_b64_e32 v[40:41], 0
	v_mov_b64_e32 v[42:43], 0
	v_lshl_add_u64 v[36:37], v[32:33], 3, 0x80
	s_mov_b64 s[28:29], 0
	s_mov_b64 s[44:45], 0
	s_delay_alu instid0(VALU_DEP_4) | instskip(NEXT) | instid1(VALU_DEP_2)
	v_cmp_lt_i64_e32 vcc_lo, 0, v[38:39]
	v_mad_nc_u64_u32 v[46:47], s16, v36, v[26:27]
	v_cmp_lt_i64_e64 s4, 16, v[38:39]
	v_mad_u32 v1, s19, v32, v45
	v_mov_b64_e32 v[38:39], 0
	s_delay_alu instid0(VALU_DEP_4) | instskip(NEXT) | instid1(VALU_DEP_3)
	v_mad_u32 v36, s17, v36, v47
	v_mad_u32 v45, s18, v33, v1
	s_delay_alu instid0(VALU_DEP_2)
	v_mad_u32 v47, s16, v37, v36
	v_mov_b64_e32 v[36:37], 0
	s_branch .LBB45_10
.LBB45_9:                               ;   in Loop: Header=BB45_10 Depth=3
	s_wait_xcnt 0x0
	s_or_b32 exec_lo, exec_lo, s5
	s_wait_dscnt 0x0
	s_barrier_signal -1
	s_barrier_wait -1
	ds_load_b128 v[48:51], v56
	ds_load_2addr_b64 v[64:67], v55 offset1:16
	ds_load_b128 v[68:71], v56 offset:4096
	ds_load_b128 v[72:75], v56 offset:16
	;; [unrolled: 1-line block ×3, first 2 shown]
	s_add_nc_u64 s[44:45], s[44:45], 32
	s_add_nc_u64 s[28:29], s[28:29], 0x100
	s_cmp_ge_i32 s44, s48
	s_wait_dscnt 0x3
	v_fmac_f64_e32 v[42:43], v[64:65], v[48:49]
	v_fmac_f64_e32 v[40:41], v[66:67], v[48:49]
	s_wait_dscnt 0x2
	v_fmac_f64_e32 v[38:39], v[64:65], v[68:69]
	v_fmac_f64_e32 v[36:37], v[66:67], v[68:69]
	ds_load_2addr_b64 v[64:67], v55 offset0:32 offset1:48
	s_wait_dscnt 0x0
	v_fmac_f64_e32 v[42:43], v[64:65], v[50:51]
	v_fmac_f64_e32 v[40:41], v[66:67], v[50:51]
	v_fmac_f64_e32 v[38:39], v[64:65], v[70:71]
	v_fmac_f64_e32 v[36:37], v[66:67], v[70:71]
	ds_load_2addr_b64 v[48:51], v55 offset0:64 offset1:80
	s_wait_dscnt 0x0
	v_fmac_f64_e32 v[42:43], v[48:49], v[72:73]
	v_fmac_f64_e32 v[40:41], v[50:51], v[72:73]
	v_fmac_f64_e32 v[38:39], v[48:49], v[76:77]
	v_fmac_f64_e32 v[36:37], v[50:51], v[76:77]
	ds_load_2addr_b64 v[48:51], v55 offset0:96 offset1:112
	s_wait_dscnt 0x0
	v_fmac_f64_e32 v[42:43], v[48:49], v[74:75]
	v_fmac_f64_e32 v[40:41], v[50:51], v[74:75]
	v_fmac_f64_e32 v[38:39], v[48:49], v[78:79]
	v_fmac_f64_e32 v[36:37], v[50:51], v[78:79]
	ds_load_b128 v[48:51], v56 offset:32
	ds_load_2addr_b64 v[64:67], v55 offset0:128 offset1:144
	ds_load_b128 v[68:71], v56 offset:4128
	ds_load_b128 v[72:75], v56 offset:48
	ds_load_b128 v[76:79], v56 offset:4144
	s_wait_dscnt 0x3
	v_fmac_f64_e32 v[42:43], v[64:65], v[48:49]
	v_fmac_f64_e32 v[40:41], v[66:67], v[48:49]
	s_wait_dscnt 0x2
	v_fmac_f64_e32 v[38:39], v[64:65], v[68:69]
	v_fmac_f64_e32 v[36:37], v[66:67], v[68:69]
	ds_load_2addr_b64 v[64:67], v55 offset0:160 offset1:176
	s_wait_dscnt 0x0
	v_fmac_f64_e32 v[42:43], v[64:65], v[50:51]
	v_fmac_f64_e32 v[40:41], v[66:67], v[50:51]
	v_fmac_f64_e32 v[38:39], v[64:65], v[70:71]
	v_fmac_f64_e32 v[36:37], v[66:67], v[70:71]
	ds_load_2addr_b64 v[48:51], v55 offset0:192 offset1:208
	s_wait_dscnt 0x0
	v_fmac_f64_e32 v[42:43], v[48:49], v[72:73]
	v_fmac_f64_e32 v[40:41], v[50:51], v[72:73]
	v_fmac_f64_e32 v[38:39], v[48:49], v[76:77]
	v_fmac_f64_e32 v[36:37], v[50:51], v[76:77]
	ds_load_2addr_b64 v[48:51], v55 offset0:224 offset1:240
	s_wait_dscnt 0x0
	v_fmac_f64_e32 v[42:43], v[48:49], v[74:75]
	v_fmac_f64_e32 v[40:41], v[50:51], v[74:75]
	v_fmac_f64_e32 v[38:39], v[48:49], v[78:79]
	v_fmac_f64_e32 v[36:37], v[50:51], v[78:79]
	ds_load_b128 v[48:51], v56 offset:64
	ds_load_2addr_b64 v[64:67], v60 offset1:16
	ds_load_b128 v[68:71], v56 offset:4160
	ds_load_b128 v[72:75], v56 offset:80
	ds_load_b128 v[76:79], v56 offset:4176
	s_wait_dscnt 0x3
	v_fmac_f64_e32 v[42:43], v[64:65], v[48:49]
	v_fmac_f64_e32 v[40:41], v[66:67], v[48:49]
	s_wait_dscnt 0x2
	v_fmac_f64_e32 v[38:39], v[64:65], v[68:69]
	v_fmac_f64_e32 v[36:37], v[66:67], v[68:69]
	ds_load_2addr_b64 v[64:67], v60 offset0:32 offset1:48
	s_wait_dscnt 0x0
	v_fmac_f64_e32 v[42:43], v[64:65], v[50:51]
	v_fmac_f64_e32 v[40:41], v[66:67], v[50:51]
	v_fmac_f64_e32 v[38:39], v[64:65], v[70:71]
	v_fmac_f64_e32 v[36:37], v[66:67], v[70:71]
	ds_load_2addr_b64 v[48:51], v60 offset0:64 offset1:80
	s_wait_dscnt 0x0
	v_fmac_f64_e32 v[42:43], v[48:49], v[72:73]
	v_fmac_f64_e32 v[40:41], v[50:51], v[72:73]
	v_fmac_f64_e32 v[38:39], v[48:49], v[76:77]
	v_fmac_f64_e32 v[36:37], v[50:51], v[76:77]
	ds_load_2addr_b64 v[48:51], v60 offset0:96 offset1:112
	s_wait_dscnt 0x0
	v_fmac_f64_e32 v[42:43], v[48:49], v[74:75]
	v_fmac_f64_e32 v[40:41], v[50:51], v[74:75]
	v_fmac_f64_e32 v[38:39], v[48:49], v[78:79]
	v_fmac_f64_e32 v[36:37], v[50:51], v[78:79]
	ds_load_b128 v[48:51], v56 offset:96
	ds_load_2addr_b64 v[64:67], v60 offset0:128 offset1:144
	ds_load_b128 v[68:71], v56 offset:4192
	ds_load_b128 v[72:75], v56 offset:112
	ds_load_b128 v[76:79], v56 offset:4208
	s_wait_dscnt 0x3
	v_fmac_f64_e32 v[42:43], v[64:65], v[48:49]
	v_fmac_f64_e32 v[40:41], v[66:67], v[48:49]
	s_wait_dscnt 0x2
	v_fmac_f64_e32 v[38:39], v[64:65], v[68:69]
	v_fmac_f64_e32 v[36:37], v[66:67], v[68:69]
	ds_load_2addr_b64 v[64:67], v60 offset0:160 offset1:176
	s_wait_dscnt 0x0
	v_fmac_f64_e32 v[42:43], v[64:65], v[50:51]
	v_fmac_f64_e32 v[40:41], v[66:67], v[50:51]
	v_fmac_f64_e32 v[38:39], v[64:65], v[70:71]
	v_fmac_f64_e32 v[36:37], v[66:67], v[70:71]
	ds_load_2addr_b64 v[48:51], v60 offset0:192 offset1:208
	s_wait_dscnt 0x0
	v_fmac_f64_e32 v[42:43], v[48:49], v[72:73]
	v_fmac_f64_e32 v[40:41], v[50:51], v[72:73]
	v_fmac_f64_e32 v[38:39], v[48:49], v[76:77]
	v_fmac_f64_e32 v[36:37], v[50:51], v[76:77]
	ds_load_2addr_b64 v[48:51], v60 offset0:224 offset1:240
	s_wait_dscnt 0x0
	v_fmac_f64_e32 v[42:43], v[48:49], v[74:75]
	v_fmac_f64_e32 v[40:41], v[50:51], v[74:75]
	v_fmac_f64_e32 v[38:39], v[48:49], v[78:79]
	v_fmac_f64_e32 v[36:37], v[50:51], v[78:79]
	ds_load_b128 v[48:51], v56 offset:128
	ds_load_2addr_b64 v[64:67], v61 offset1:16
	ds_load_b128 v[68:71], v56 offset:4224
	ds_load_b128 v[72:75], v56 offset:144
	ds_load_b128 v[76:79], v56 offset:4240
	;; [unrolled: 58-line block ×3, first 2 shown]
	s_wait_dscnt 0x3
	v_fmac_f64_e32 v[42:43], v[64:65], v[48:49]
	v_fmac_f64_e32 v[40:41], v[66:67], v[48:49]
	s_wait_dscnt 0x2
	v_fmac_f64_e32 v[38:39], v[64:65], v[68:69]
	v_fmac_f64_e32 v[36:37], v[66:67], v[68:69]
	ds_load_2addr_b64 v[64:67], v62 offset0:32 offset1:48
	s_wait_dscnt 0x0
	v_fmac_f64_e32 v[42:43], v[64:65], v[50:51]
	v_fmac_f64_e32 v[40:41], v[66:67], v[50:51]
	v_fmac_f64_e32 v[38:39], v[64:65], v[70:71]
	v_fmac_f64_e32 v[36:37], v[66:67], v[70:71]
	ds_load_2addr_b64 v[48:51], v62 offset0:64 offset1:80
	s_wait_dscnt 0x0
	v_fmac_f64_e32 v[42:43], v[48:49], v[72:73]
	v_fmac_f64_e32 v[40:41], v[50:51], v[72:73]
	;; [unrolled: 6-line block ×3, first 2 shown]
	v_fmac_f64_e32 v[38:39], v[48:49], v[78:79]
	v_fmac_f64_e32 v[36:37], v[50:51], v[78:79]
	ds_load_b128 v[48:51], v56 offset:224
	ds_load_2addr_b64 v[64:67], v62 offset0:128 offset1:144
	ds_load_b128 v[68:71], v56 offset:4320
	ds_load_b128 v[72:75], v56 offset:240
	;; [unrolled: 1-line block ×3, first 2 shown]
	s_wait_dscnt 0x3
	v_fmac_f64_e32 v[42:43], v[64:65], v[48:49]
	v_fmac_f64_e32 v[40:41], v[66:67], v[48:49]
	s_wait_dscnt 0x2
	v_fmac_f64_e32 v[38:39], v[64:65], v[68:69]
	v_fmac_f64_e32 v[36:37], v[66:67], v[68:69]
	ds_load_2addr_b64 v[64:67], v62 offset0:160 offset1:176
	s_wait_dscnt 0x0
	v_fmac_f64_e32 v[42:43], v[64:65], v[50:51]
	v_fmac_f64_e32 v[40:41], v[66:67], v[50:51]
	v_fmac_f64_e32 v[38:39], v[64:65], v[70:71]
	v_fmac_f64_e32 v[36:37], v[66:67], v[70:71]
	ds_load_2addr_b64 v[48:51], v62 offset0:192 offset1:208
	s_wait_dscnt 0x0
	v_fmac_f64_e32 v[42:43], v[48:49], v[72:73]
	v_fmac_f64_e32 v[40:41], v[50:51], v[72:73]
	;; [unrolled: 1-line block ×4, first 2 shown]
	ds_load_2addr_b64 v[48:51], v62 offset0:224 offset1:240
	s_wait_dscnt 0x0
	s_barrier_signal -1
	s_barrier_wait -1
	v_fmac_f64_e32 v[42:43], v[48:49], v[74:75]
	v_fmac_f64_e32 v[40:41], v[50:51], v[74:75]
	;; [unrolled: 1-line block ×4, first 2 shown]
	s_cbranch_scc1 .LBB45_47
.LBB45_10:                              ;   Parent Loop BB45_4 Depth=1
                                        ;     Parent Loop BB45_7 Depth=2
                                        ; =>    This Inner Loop Header: Depth=3
	v_add_nc_u64_e32 v[50:51], s[44:45], v[8:9]
	v_cmp_eq_u64_e64 s7, s[44:45], v[14:15]
	v_add_nc_u64_e32 v[48:49], s[28:29], v[30:31]
                                        ; implicit-def: $vgpr52_vgpr53
	s_delay_alu instid0(VALU_DEP_3) | instskip(SKIP_3) | instid1(SALU_CYCLE_1)
	v_cmp_le_i64_e64 s6, s[40:41], v[50:51]
	v_cmp_lt_i64_e64 s5, v[50:51], v[2:3]
	s_and_b32 s53, s50, s7
	s_or_b32 s7, s6, s5
	s_or_b32 s7, s7, s53
	s_delay_alu instid0(SALU_CYCLE_1) | instskip(NEXT) | instid1(SALU_CYCLE_1)
	s_nor_b32 s7, s0, s7
	s_and_saveexec_b32 s8, s7
	s_delay_alu instid0(SALU_CYCLE_1)
	s_xor_b32 s7, exec_lo, s8
	s_cbranch_execz .LBB45_12
; %bb.11:                               ;   in Loop: Header=BB45_10 Depth=3
	global_load_b64 v[52:53], v[48:49], off
.LBB45_12:                              ;   in Loop: Header=BB45_10 Depth=3
	s_wait_xcnt 0x0
	s_and_not1_saveexec_b32 s7, s7
	s_cbranch_execz .LBB45_14
; %bb.13:                               ;   in Loop: Header=BB45_10 Depth=3
	v_cndmask_b32_e64 v1, 0, 0x3ff00000, s53
	s_wait_loadcnt 0x0
	s_delay_alu instid0(VALU_DEP_1)
	v_mov_b64_e32 v[52:53], v[0:1]
.LBB45_14:                              ;   in Loop: Header=BB45_10 Depth=3
	s_or_b32 exec_lo, exec_lo, s7
	v_cmp_eq_u64_e64 s7, s[44:45], v[16:17]
	s_wait_loadcnt 0x0
	ds_store_b64 v57, v[52:53]
	v_add_nc_u64_e32 v[52:53], s[28:29], v[28:29]
	s_and_b32 s8, s50, s7
	v_cmp_gt_i64_e64 s7, v[12:13], v[50:51]
	s_or_b32 s6, s6, s7
	s_delay_alu instid0(SALU_CYCLE_1) | instskip(NEXT) | instid1(SALU_CYCLE_1)
	s_or_b32 s6, s6, s8
	s_nor_b32 s6, s3, s6
	s_delay_alu instid0(SALU_CYCLE_1) | instskip(NEXT) | instid1(SALU_CYCLE_1)
	s_and_saveexec_b32 s7, s6
	s_xor_b32 s6, exec_lo, s7
	s_cbranch_execz .LBB45_16
; %bb.15:                               ;   in Loop: Header=BB45_10 Depth=3
	global_load_b64 v[64:65], v[52:53], off
	s_wait_loadcnt 0x0
	ds_store_b64 v57, v[64:65] offset:128
.LBB45_16:                              ;   in Loop: Header=BB45_10 Depth=3
	s_wait_xcnt 0x0
	s_and_not1_saveexec_b32 s6, s6
	s_cbranch_execz .LBB45_22
; %bb.17:                               ;   in Loop: Header=BB45_10 Depth=3
	s_xor_b32 s7, s8, -1
	s_delay_alu instid0(SALU_CYCLE_1) | instskip(NEXT) | instid1(SALU_CYCLE_1)
	s_and_saveexec_b32 s8, s7
	s_xor_b32 s7, exec_lo, s8
; %bb.18:                               ;   in Loop: Header=BB45_10 Depth=3
	ds_store_b64 v57, v[4:5] offset:128
; %bb.19:                               ;   in Loop: Header=BB45_10 Depth=3
	s_and_not1_saveexec_b32 s7, s7
; %bb.20:                               ;   in Loop: Header=BB45_10 Depth=3
	ds_store_b64 v57, v[6:7] offset:128
; %bb.21:                               ;   in Loop: Header=BB45_10 Depth=3
	s_or_b32 exec_lo, exec_lo, s7
.LBB45_22:                              ;   in Loop: Header=BB45_10 Depth=3
	s_delay_alu instid0(SALU_CYCLE_1) | instskip(SKIP_2) | instid1(VALU_DEP_2)
	s_or_b32 exec_lo, exec_lo, s6
	v_add_nc_u64_e32 v[50:51], 16, v[50:51]
	v_cmp_eq_u64_e64 s7, s[44:45], v[18:19]
	v_cmp_le_i64_e64 s6, s[40:41], v[50:51]
	v_cmp_lt_i64_e64 s8, v[50:51], v[2:3]
	s_and_b32 s7, s50, s7
                                        ; implicit-def: $vgpr50_vgpr51
	s_or_b32 s8, s6, s8
	s_delay_alu instid0(SALU_CYCLE_1) | instskip(NEXT) | instid1(SALU_CYCLE_1)
	s_or_b32 s8, s8, s7
	s_nor_b32 s8, s0, s8
	s_delay_alu instid0(SALU_CYCLE_1) | instskip(NEXT) | instid1(SALU_CYCLE_1)
	s_and_saveexec_b32 s54, s8
	s_xor_b32 s8, exec_lo, s54
	s_cbranch_execz .LBB45_24
; %bb.23:                               ;   in Loop: Header=BB45_10 Depth=3
	global_load_b64 v[50:51], v[48:49], off offset:128
.LBB45_24:                              ;   in Loop: Header=BB45_10 Depth=3
	s_wait_xcnt 0x0
	s_and_not1_saveexec_b32 s8, s8
	s_cbranch_execz .LBB45_26
; %bb.25:                               ;   in Loop: Header=BB45_10 Depth=3
	v_cndmask_b32_e64 v1, 0, 0x3ff00000, s7
	s_wait_loadcnt 0x0
	s_delay_alu instid0(VALU_DEP_1)
	v_mov_b64_e32 v[50:51], v[0:1]
.LBB45_26:                              ;   in Loop: Header=BB45_10 Depth=3
	s_or_b32 exec_lo, exec_lo, s8
	s_or_b32 s5, s6, s5
	s_wait_loadcnt 0x0
	ds_store_b64 v57, v[50:51] offset:4096
	s_or_b32 s5, s5, s53
	s_delay_alu instid0(SALU_CYCLE_1) | instskip(NEXT) | instid1(SALU_CYCLE_1)
	s_nor_b32 s5, s3, s5
	s_and_saveexec_b32 s6, s5
	s_delay_alu instid0(SALU_CYCLE_1)
	s_xor_b32 s5, exec_lo, s6
	s_cbranch_execz .LBB45_28
; %bb.27:                               ;   in Loop: Header=BB45_10 Depth=3
	global_load_b64 v[48:49], v[52:53], off offset:128
	s_wait_loadcnt 0x0
	ds_store_b64 v57, v[48:49] offset:4224
.LBB45_28:                              ;   in Loop: Header=BB45_10 Depth=3
	s_wait_xcnt 0x0
	s_and_not1_saveexec_b32 s5, s5
	s_cbranch_execz .LBB45_34
; %bb.29:                               ;   in Loop: Header=BB45_10 Depth=3
	s_xor_b32 s6, s53, -1
	s_delay_alu instid0(SALU_CYCLE_1) | instskip(NEXT) | instid1(SALU_CYCLE_1)
	s_and_saveexec_b32 s7, s6
	s_xor_b32 s6, exec_lo, s7
; %bb.30:                               ;   in Loop: Header=BB45_10 Depth=3
	ds_store_b64 v57, v[4:5] offset:4224
; %bb.31:                               ;   in Loop: Header=BB45_10 Depth=3
	s_and_not1_saveexec_b32 s6, s6
; %bb.32:                               ;   in Loop: Header=BB45_10 Depth=3
	ds_store_b64 v57, v[6:7] offset:4224
; %bb.33:                               ;   in Loop: Header=BB45_10 Depth=3
	s_or_b32 exec_lo, exec_lo, s6
.LBB45_34:                              ;   in Loop: Header=BB45_10 Depth=3
	s_delay_alu instid0(SALU_CYCLE_1) | instskip(SKIP_3) | instid1(VALU_DEP_3)
	s_or_b32 exec_lo, exec_lo, s5
	v_add_nc_u64_e32 v[50:51], s[44:45], v[2:3]
	v_add_nc_u64_e32 v[48:49], s[28:29], v[44:45]
	v_mov_b64_e32 v[52:53], 0
	v_cmp_gt_i64_e64 s5, s[40:41], v[50:51]
	s_and_b32 s7, vcc_lo, s5
	s_delay_alu instid0(SALU_CYCLE_1)
	s_and_saveexec_b32 s6, s7
	s_cbranch_execz .LBB45_36
; %bb.35:                               ;   in Loop: Header=BB45_10 Depth=3
	global_load_b64 v[52:53], v[48:49], off offset:-128
.LBB45_36:                              ;   in Loop: Header=BB45_10 Depth=3
	s_wait_xcnt 0x0
	s_or_b32 exec_lo, exec_lo, s6
	v_cmp_gt_i64_e64 s6, s[20:21], v[50:51]
	s_wait_loadcnt 0x0
	ds_store_b64 v58, v[52:53]
	s_and_b32 s7, vcc_lo, s6
	s_delay_alu instid0(SALU_CYCLE_1) | instskip(NEXT) | instid1(SALU_CYCLE_1)
	s_xor_b32 s7, s7, -1
	s_and_saveexec_b32 s8, s7
	s_delay_alu instid0(SALU_CYCLE_1)
	s_xor_b32 s7, exec_lo, s8
; %bb.37:                               ;   in Loop: Header=BB45_10 Depth=3
	ds_store_b64 v58, v[4:5] offset:128
                                        ; implicit-def: $vgpr48_vgpr49
; %bb.38:                               ;   in Loop: Header=BB45_10 Depth=3
	s_and_not1_saveexec_b32 s7, s7
	s_cbranch_execz .LBB45_40
; %bb.39:                               ;   in Loop: Header=BB45_10 Depth=3
	global_load_b64 v[48:49], v[48:49], off
	s_wait_loadcnt 0x0
	ds_store_b64 v58, v[48:49] offset:128
.LBB45_40:                              ;   in Loop: Header=BB45_10 Depth=3
	s_wait_xcnt 0x0
	s_or_b32 exec_lo, exec_lo, s7
	v_add_nc_u64_e32 v[48:49], s[28:29], v[46:47]
	v_mov_b64_e32 v[50:51], 0
	s_and_b32 s7, s4, s5
	s_delay_alu instid0(SALU_CYCLE_1)
	s_and_saveexec_b32 s5, s7
	s_cbranch_execz .LBB45_42
; %bb.41:                               ;   in Loop: Header=BB45_10 Depth=3
	global_load_b64 v[50:51], v[48:49], off offset:-128
.LBB45_42:                              ;   in Loop: Header=BB45_10 Depth=3
	s_wait_xcnt 0x0
	s_or_b32 exec_lo, exec_lo, s5
	s_and_b32 s5, s4, s6
	s_wait_loadcnt 0x0
	ds_store_b64 v58, v[50:51] offset:4096
	s_xor_b32 s5, s5, -1
	s_delay_alu instid0(SALU_CYCLE_1) | instskip(NEXT) | instid1(SALU_CYCLE_1)
	s_and_saveexec_b32 s6, s5
	s_xor_b32 s5, exec_lo, s6
; %bb.43:                               ;   in Loop: Header=BB45_10 Depth=3
	ds_store_b64 v58, v[4:5] offset:4224
                                        ; implicit-def: $vgpr48_vgpr49
; %bb.44:                               ;   in Loop: Header=BB45_10 Depth=3
	s_and_not1_saveexec_b32 s5, s5
	s_cbranch_execz .LBB45_9
; %bb.45:                               ;   in Loop: Header=BB45_10 Depth=3
	global_load_b64 v[48:49], v[48:49], off
	s_wait_loadcnt 0x0
	ds_store_b64 v58, v[48:49] offset:4224
	s_branch .LBB45_9
.LBB45_46:                              ;   in Loop: Header=BB45_7 Depth=2
	v_mov_b64_e32 v[42:43], 0
	v_mov_b64_e32 v[40:41], 0
	v_mov_b64_e32 v[38:39], 0
	v_mov_b64_e32 v[36:37], 0
.LBB45_47:                              ;   in Loop: Header=BB45_7 Depth=2
	v_mul_u64_e32 v[44:45], s[24:25], v[34:35]
	v_cmp_gt_i32_e32 vcc_lo, s30, v34
	s_and_b32 s5, s1, vcc_lo
	s_delay_alu instid0(VALU_DEP_2)
	v_lshl_add_u64 v[44:45], v[44:45], 3, s[22:23]
	s_and_saveexec_b32 s4, s5
	s_cbranch_execz .LBB45_49
; %bb.48:                               ;   in Loop: Header=BB45_7 Depth=2
	s_delay_alu instid0(VALU_DEP_1)
	v_lshl_add_u64 v[46:47], v[2:3], 3, v[44:45]
	global_load_b64 v[48:49], v[46:47], off
	s_wait_loadcnt 0x0
	v_fmac_f64_e32 v[48:49], s[36:37], v[42:43]
	global_store_b64 v[46:47], v[48:49], off
.LBB45_49:                              ;   in Loop: Header=BB45_7 Depth=2
	s_wait_xcnt 0x0
	s_or_b32 exec_lo, exec_lo, s4
	s_and_b32 s5, s2, vcc_lo
	s_delay_alu instid0(SALU_CYCLE_1)
	s_and_saveexec_b32 s4, s5
	s_cbranch_execz .LBB45_51
; %bb.50:                               ;   in Loop: Header=BB45_7 Depth=2
	v_lshl_add_u64 v[42:43], v[10:11], 3, v[44:45]
	global_load_b64 v[44:45], v[42:43], off
	s_wait_loadcnt 0x0
	v_fmac_f64_e32 v[44:45], s[36:37], v[40:41]
	global_store_b64 v[42:43], v[44:45], off
.LBB45_51:                              ;   in Loop: Header=BB45_7 Depth=2
	s_wait_xcnt 0x0
	s_or_b32 exec_lo, exec_lo, s4
	v_add_nc_u32_e32 v34, 16, v34
	s_delay_alu instid0(VALU_DEP_1) | instskip(SKIP_1) | instid1(VALU_DEP_2)
	v_ashrrev_i32_e32 v35, 31, v34
	v_cmp_gt_i32_e32 vcc_lo, s30, v34
	v_mul_u64_e32 v[40:41], s[24:25], v[34:35]
	s_and_b32 s5, s1, vcc_lo
	s_delay_alu instid0(VALU_DEP_1)
	v_lshl_add_u64 v[34:35], v[40:41], 3, s[22:23]
	s_and_saveexec_b32 s4, s5
	s_cbranch_execz .LBB45_53
; %bb.52:                               ;   in Loop: Header=BB45_7 Depth=2
	s_delay_alu instid0(VALU_DEP_1)
	v_lshl_add_u64 v[40:41], v[2:3], 3, v[34:35]
	global_load_b64 v[42:43], v[40:41], off
	s_wait_loadcnt 0x0
	v_fmac_f64_e32 v[42:43], s[36:37], v[38:39]
	global_store_b64 v[40:41], v[42:43], off
.LBB45_53:                              ;   in Loop: Header=BB45_7 Depth=2
	s_wait_xcnt 0x0
	s_or_b32 exec_lo, exec_lo, s4
	s_and_b32 s5, s2, vcc_lo
	s_delay_alu instid0(SALU_CYCLE_1)
	s_and_saveexec_b32 s4, s5
	s_cbranch_execz .LBB45_6
; %bb.54:                               ;   in Loop: Header=BB45_7 Depth=2
	v_lshl_add_u64 v[34:35], v[10:11], 3, v[34:35]
	global_load_b64 v[38:39], v[34:35], off
	s_wait_loadcnt 0x0
	v_fmac_f64_e32 v[38:39], s[36:37], v[36:37]
	global_store_b64 v[34:35], v[38:39], off
	s_branch .LBB45_6
.LBB45_55:
	s_sendmsg sendmsg(MSG_DEALLOC_VGPRS)
	s_endpgm
	.section	.rodata,"a",@progbits
	.p2align	6, 0x0
	.amdhsa_kernel _ZL30rocblas_trmm_outofplace_kernelIdLi32ELi2ELb1ELb0ELb1ELb1EdKddEv17rocblas_diagonal_iiT6_lPT7_lllS4_lllPT8_llli
		.amdhsa_group_segment_fixed_size 16384
		.amdhsa_private_segment_fixed_size 0
		.amdhsa_kernarg_size 392
		.amdhsa_user_sgpr_count 2
		.amdhsa_user_sgpr_dispatch_ptr 0
		.amdhsa_user_sgpr_queue_ptr 0
		.amdhsa_user_sgpr_kernarg_segment_ptr 1
		.amdhsa_user_sgpr_dispatch_id 0
		.amdhsa_user_sgpr_kernarg_preload_length 0
		.amdhsa_user_sgpr_kernarg_preload_offset 0
		.amdhsa_user_sgpr_private_segment_size 0
		.amdhsa_wavefront_size32 1
		.amdhsa_uses_dynamic_stack 0
		.amdhsa_enable_private_segment 0
		.amdhsa_system_sgpr_workgroup_id_x 1
		.amdhsa_system_sgpr_workgroup_id_y 1
		.amdhsa_system_sgpr_workgroup_id_z 1
		.amdhsa_system_sgpr_workgroup_info 0
		.amdhsa_system_vgpr_workitem_id 1
		.amdhsa_next_free_vgpr 80
		.amdhsa_next_free_sgpr 55
		.amdhsa_named_barrier_count 0
		.amdhsa_reserve_vcc 1
		.amdhsa_float_round_mode_32 0
		.amdhsa_float_round_mode_16_64 0
		.amdhsa_float_denorm_mode_32 3
		.amdhsa_float_denorm_mode_16_64 3
		.amdhsa_fp16_overflow 0
		.amdhsa_memory_ordered 1
		.amdhsa_forward_progress 1
		.amdhsa_inst_pref_size 26
		.amdhsa_round_robin_scheduling 0
		.amdhsa_exception_fp_ieee_invalid_op 0
		.amdhsa_exception_fp_denorm_src 0
		.amdhsa_exception_fp_ieee_div_zero 0
		.amdhsa_exception_fp_ieee_overflow 0
		.amdhsa_exception_fp_ieee_underflow 0
		.amdhsa_exception_fp_ieee_inexact 0
		.amdhsa_exception_int_div_zero 0
	.end_amdhsa_kernel
	.section	.text._ZL30rocblas_trmm_outofplace_kernelIdLi32ELi2ELb1ELb0ELb1ELb1EdKddEv17rocblas_diagonal_iiT6_lPT7_lllS4_lllPT8_llli,"axG",@progbits,_ZL30rocblas_trmm_outofplace_kernelIdLi32ELi2ELb1ELb0ELb1ELb1EdKddEv17rocblas_diagonal_iiT6_lPT7_lllS4_lllPT8_llli,comdat
.Lfunc_end45:
	.size	_ZL30rocblas_trmm_outofplace_kernelIdLi32ELi2ELb1ELb0ELb1ELb1EdKddEv17rocblas_diagonal_iiT6_lPT7_lllS4_lllPT8_llli, .Lfunc_end45-_ZL30rocblas_trmm_outofplace_kernelIdLi32ELi2ELb1ELb0ELb1ELb1EdKddEv17rocblas_diagonal_iiT6_lPT7_lllS4_lllPT8_llli
                                        ; -- End function
	.set _ZL30rocblas_trmm_outofplace_kernelIdLi32ELi2ELb1ELb0ELb1ELb1EdKddEv17rocblas_diagonal_iiT6_lPT7_lllS4_lllPT8_llli.num_vgpr, 80
	.set _ZL30rocblas_trmm_outofplace_kernelIdLi32ELi2ELb1ELb0ELb1ELb1EdKddEv17rocblas_diagonal_iiT6_lPT7_lllS4_lllPT8_llli.num_agpr, 0
	.set _ZL30rocblas_trmm_outofplace_kernelIdLi32ELi2ELb1ELb0ELb1ELb1EdKddEv17rocblas_diagonal_iiT6_lPT7_lllS4_lllPT8_llli.numbered_sgpr, 55
	.set _ZL30rocblas_trmm_outofplace_kernelIdLi32ELi2ELb1ELb0ELb1ELb1EdKddEv17rocblas_diagonal_iiT6_lPT7_lllS4_lllPT8_llli.num_named_barrier, 0
	.set _ZL30rocblas_trmm_outofplace_kernelIdLi32ELi2ELb1ELb0ELb1ELb1EdKddEv17rocblas_diagonal_iiT6_lPT7_lllS4_lllPT8_llli.private_seg_size, 0
	.set _ZL30rocblas_trmm_outofplace_kernelIdLi32ELi2ELb1ELb0ELb1ELb1EdKddEv17rocblas_diagonal_iiT6_lPT7_lllS4_lllPT8_llli.uses_vcc, 1
	.set _ZL30rocblas_trmm_outofplace_kernelIdLi32ELi2ELb1ELb0ELb1ELb1EdKddEv17rocblas_diagonal_iiT6_lPT7_lllS4_lllPT8_llli.uses_flat_scratch, 0
	.set _ZL30rocblas_trmm_outofplace_kernelIdLi32ELi2ELb1ELb0ELb1ELb1EdKddEv17rocblas_diagonal_iiT6_lPT7_lllS4_lllPT8_llli.has_dyn_sized_stack, 0
	.set _ZL30rocblas_trmm_outofplace_kernelIdLi32ELi2ELb1ELb0ELb1ELb1EdKddEv17rocblas_diagonal_iiT6_lPT7_lllS4_lllPT8_llli.has_recursion, 0
	.set _ZL30rocblas_trmm_outofplace_kernelIdLi32ELi2ELb1ELb0ELb1ELb1EdKddEv17rocblas_diagonal_iiT6_lPT7_lllS4_lllPT8_llli.has_indirect_call, 0
	.section	.AMDGPU.csdata,"",@progbits
; Kernel info:
; codeLenInByte = 3228
; TotalNumSgprs: 57
; NumVgprs: 80
; ScratchSize: 0
; MemoryBound: 0
; FloatMode: 240
; IeeeMode: 1
; LDSByteSize: 16384 bytes/workgroup (compile time only)
; SGPRBlocks: 0
; VGPRBlocks: 4
; NumSGPRsForWavesPerEU: 57
; NumVGPRsForWavesPerEU: 80
; NamedBarCnt: 0
; Occupancy: 12
; WaveLimiterHint : 0
; COMPUTE_PGM_RSRC2:SCRATCH_EN: 0
; COMPUTE_PGM_RSRC2:USER_SGPR: 2
; COMPUTE_PGM_RSRC2:TRAP_HANDLER: 0
; COMPUTE_PGM_RSRC2:TGID_X_EN: 1
; COMPUTE_PGM_RSRC2:TGID_Y_EN: 1
; COMPUTE_PGM_RSRC2:TGID_Z_EN: 1
; COMPUTE_PGM_RSRC2:TIDIG_COMP_CNT: 1
	.section	.text._ZL30rocblas_trmm_outofplace_kernelIdLi32ELi2ELb1ELb1ELb1ELb1EPKdS0_dEv17rocblas_diagonal_iiT6_lPT7_lllS5_lllPT8_llli,"axG",@progbits,_ZL30rocblas_trmm_outofplace_kernelIdLi32ELi2ELb1ELb1ELb1ELb1EPKdS0_dEv17rocblas_diagonal_iiT6_lPT7_lllS5_lllPT8_llli,comdat
	.globl	_ZL30rocblas_trmm_outofplace_kernelIdLi32ELi2ELb1ELb1ELb1ELb1EPKdS0_dEv17rocblas_diagonal_iiT6_lPT7_lllS5_lllPT8_llli ; -- Begin function _ZL30rocblas_trmm_outofplace_kernelIdLi32ELi2ELb1ELb1ELb1ELb1EPKdS0_dEv17rocblas_diagonal_iiT6_lPT7_lllS5_lllPT8_llli
	.p2align	8
	.type	_ZL30rocblas_trmm_outofplace_kernelIdLi32ELi2ELb1ELb1ELb1ELb1EPKdS0_dEv17rocblas_diagonal_iiT6_lPT7_lllS5_lllPT8_llli,@function
_ZL30rocblas_trmm_outofplace_kernelIdLi32ELi2ELb1ELb1ELb1ELb1EPKdS0_dEv17rocblas_diagonal_iiT6_lPT7_lllS5_lllPT8_llli: ; @_ZL30rocblas_trmm_outofplace_kernelIdLi32ELi2ELb1ELb1ELb1ELb1EPKdS0_dEv17rocblas_diagonal_iiT6_lPT7_lllS5_lllPT8_llli
; %bb.0:
	s_load_b32 s11, s[0:1], 0x80
	s_bfe_u32 s2, ttmp6, 0x40014
	s_lshr_b32 s3, ttmp7, 16
	s_add_co_i32 s2, s2, 1
	s_bfe_u32 s5, ttmp6, 0x40008
	s_mul_i32 s4, s3, s2
	s_getreg_b32 s2, hwreg(HW_REG_IB_STS2, 6, 4)
	s_add_co_i32 s5, s5, s4
	s_cmp_eq_u32 s2, 0
	s_mov_b32 s35, 0
	s_cselect_b32 s34, s3, s5
	s_wait_kmcnt 0x0
	s_cmp_ge_u32 s34, s11
	s_cbranch_scc1 .LBB46_55
; %bb.1:
	s_clause 0x2
	s_load_b96 s[8:10], s[0:1], 0x0
	s_load_b256 s[36:43], s[0:1], 0x50
	s_load_b512 s[12:27], s[0:1], 0x10
	s_bfe_u32 s4, ttmp6, 0x4000c
	s_and_b32 s3, ttmp6, 15
	s_add_co_i32 s4, s4, 1
	s_bfe_u32 s5, ttmp6, 0x40010
	s_mul_i32 s4, ttmp9, s4
	s_and_b32 s6, ttmp7, 0xffff
	s_add_co_i32 s5, s5, 1
	s_add_co_i32 s3, s3, s4
	s_bfe_u32 s7, ttmp6, 0x40004
	s_mul_i32 s5, s6, s5
	v_and_b32_e32 v2, 0x3ff, v0
	s_add_co_i32 s7, s7, s5
	v_bfe_u32 v0, v0, 10, 10
	v_mov_b64_e32 v[8:9], 0
	v_mov_b64_e32 v[10:11], 1.0
	v_dual_mov_b32 v6, 0 :: v_dual_lshlrev_b32 v12, 3, v2
	s_wait_kmcnt 0x0
	s_add_co_i32 s28, s10, -1
	v_lshlrev_b32_e32 v7, 8, v0
	s_ashr_i32 s29, s28, 31
	s_mov_b32 s44, s10
	s_lshr_b32 s4, s29, 27
	v_mov_b32_e32 v1, v6
	s_add_co_i32 s28, s28, s4
	s_lshl_b64 s[4:5], s[42:43], 3
	s_ashr_i32 s33, s28, 5
	s_cmp_eq_u32 s2, 0
	v_mov_b32_e32 v3, v6
	s_cselect_b32 s48, s6, s7
	s_cselect_b32 s2, ttmp9, s3
	s_cmp_le_i32 s48, s33
	v_dual_mov_b32 v23, v6 :: v_dual_add_nc_u32 v62, 0x2000, v7
	s_cselect_b32 s49, -1, 0
	s_lshl_b32 s50, s2, 5
	s_cmp_gt_i32 s2, -1
	v_add_nc_u32_e32 v4, s50, v2
	s_cselect_b32 s51, -1, 0
	s_cmp_eq_u32 s8, 0x84
	v_mov_b32_e32 v13, v6
	s_cselect_b32 s52, -1, 0
	v_ashrrev_i32_e32 v5, 31, v4
	s_lshl_b64 s[2:3], s[18:19], 3
	v_dual_lshlrev_b32 v22, 3, v0 :: v_dual_add_nc_u32 v63, v12, v7
	s_load_b128 s[28:31], s[0:1], 0x70
	s_delay_alu instid0(VALU_DEP_2)
	v_lshl_add_u64 v[14:15], v[4:5], 3, 0x80
	v_mul_u64_e32 v[16:17], s[20:21], v[4:5]
	s_add_nc_u64 s[40:41], s[40:41], s[4:5]
	s_lshl_b64 s[4:5], s[26:27], 3
	v_sub_nc_u64_e32 v[18:19], v[4:5], v[0:1]
	v_mad_nc_u64_u32 v[20:21], s20, v14, s[2:3]
	s_add_nc_u64 s[4:5], s[24:25], s[4:5]
	s_mov_b32 s18, s9
	v_add_nc_u64_e32 v[26:27], s[4:5], v[12:13]
	s_ashr_i32 s19, s9, 31
	s_add_nc_u64 s[42:43], s[0:1], 0x88
	v_lshl_add_u32 v65, s48, 5, v0
	s_wait_xcnt 0x0
	v_cmp_le_i32_e64 s0, s9, v4
	v_cmp_gt_i32_e64 s1, s9, v4
	v_add_nc_u32_e32 v13, 0x800, v12
	v_add_nc_u32_e32 v66, 0x1000, v12
	v_mad_u32 v7, s21, v14, v21
	v_add_nc_u32_e32 v14, 16, v4
	v_add_nc_u32_e32 v64, v62, v12
	;; [unrolled: 1-line block ×3, first 2 shown]
	s_ashr_i32 s45, s10, 31
	s_lshl_b64 s[24:25], s[36:37], 3
	s_lshl_b64 s[22:23], s[22:23], 3
	s_delay_alu instid0(VALU_DEP_4)
	v_mad_u32 v21, s20, v15, v7
	v_ashrrev_i32_e32 v15, 31, v14
	s_add_nc_u64 s[20:21], s[18:19], -16
	v_lshl_add_u64 v[24:25], v[16:17], 3, s[2:3]
	v_add_nc_u64_e32 v[16:17], 16, v[4:5]
	v_cmp_gt_i32_e64 s2, s9, v14
	s_delay_alu instid0(VALU_DEP_3)
	v_add_nc_u64_e32 v[28:29], v[24:25], v[22:23]
	v_add_nc_u64_e32 v[30:31], v[20:21], v[22:23]
	;; [unrolled: 1-line block ×3, first 2 shown]
	v_cmp_le_i64_e64 s3, s[18:19], v[16:17]
	v_add_nc_u64_e32 v[22:23], 16, v[18:19]
	v_add_nc_u64_e32 v[24:25], -16, v[18:19]
	v_add_nc_u64_e32 v[26:27], s[16:17], v[28:29]
	v_add_nc_u64_e32 v[28:29], s[16:17], v[30:31]
	s_lshl_b64 s[16:17], s[38:39], 3
	s_branch .LBB46_4
.LBB46_2:                               ;   in Loop: Header=BB46_4 Depth=1
	s_add_co_i32 s34, s34, 0x10000
	s_delay_alu instid0(SALU_CYCLE_1)
	s_cmp_ge_u32 s34, s11
	s_cselect_b32 s4, -1, 0
.LBB46_3:                               ;   in Loop: Header=BB46_4 Depth=1
	s_delay_alu instid0(SALU_CYCLE_1)
	s_and_b32 vcc_lo, exec_lo, s4
	s_cbranch_vccnz .LBB46_55
.LBB46_4:                               ; =>This Loop Header: Depth=1
                                        ;     Child Loop BB46_8 Depth 2
                                        ;       Child Loop BB46_11 Depth 3
	s_mul_u64 s[4:5], s[14:15], s[34:35]
	s_delay_alu instid0(SALU_CYCLE_1) | instskip(NEXT) | instid1(SALU_CYCLE_1)
	s_lshl_b64 s[4:5], s[4:5], 3
	s_add_nc_u64 s[4:5], s[12:13], s[4:5]
	global_load_b64 v[30:31], v6, s[4:5]
	s_wait_xcnt 0x0
	s_mov_b32 s4, -1
	s_wait_loadcnt 0x0
	v_cmp_eq_f64_e32 vcc_lo, 0, v[30:31]
	s_cbranch_vccnz .LBB46_3
; %bb.5:                                ;   in Loop: Header=BB46_4 Depth=1
	s_and_not1_b32 vcc_lo, exec_lo, s49
	s_cbranch_vccnz .LBB46_2
; %bb.6:                                ;   in Loop: Header=BB46_4 Depth=1
	s_load_b32 s9, s[42:43], 0x4
	v_mad_nc_u64_u32 v[32:33], s16, s34, v[20:21]
	v_mad_nc_u64_u32 v[34:35], s22, s34, v[28:29]
	;; [unrolled: 1-line block ×3, first 2 shown]
	s_mul_i32 s6, s23, s34
	s_wait_kmcnt 0x0
	s_mul_u64 s[4:5], s[30:31], s[34:35]
	v_mov_b32_e32 v38, v65
	s_lshl_b64 s[4:5], s[4:5], 3
	s_mov_b32 s54, s48
	s_add_nc_u64 s[26:27], s[40:41], s[4:5]
	s_delay_alu instid0(VALU_DEP_4) | instskip(NEXT) | instid1(VALU_DEP_3)
	v_mad_u32 v33, s17, s34, v33
	v_dual_add_nc_u32 v35, s6, v35 :: v_dual_add_nc_u32 v37, s6, v37
	s_lshl_b32 s53, s9, 5
	s_branch .LBB46_8
.LBB46_7:                               ;   in Loop: Header=BB46_8 Depth=2
	s_wait_xcnt 0x0
	s_or_b32 exec_lo, exec_lo, s4
	v_add_nc_u32_e32 v38, s53, v38
	s_add_co_i32 s54, s9, s54
	s_delay_alu instid0(SALU_CYCLE_1)
	s_cmp_gt_i32 s54, s33
	s_cbranch_scc1 .LBB46_2
.LBB46_8:                               ;   Parent Loop BB46_4 Depth=1
                                        ; =>  This Loop Header: Depth=2
                                        ;       Child Loop BB46_11 Depth 3
	v_lshl_add_u32 v40, s54, 5, v0
	v_mov_b64_e32 v[48:49], 0
	v_mov_b64_e32 v[46:47], 0
	;; [unrolled: 1-line block ×4, first 2 shown]
	v_ashrrev_i32_e32 v41, 31, v40
	s_and_not1_b32 vcc_lo, exec_lo, s51
	s_cbranch_vccnz .LBB46_47
; %bb.9:                                ;   in Loop: Header=BB46_8 Depth=2
	v_ashrrev_i32_e32 v39, 31, v38
	v_mad_nc_u64_u32 v[50:51], s24, v38, v[32:33]
	v_sub_nc_u64_e32 v[44:45], s[44:45], v[40:41]
	v_mov_b64_e32 v[46:47], 0
	v_mov_b64_e32 v[48:49], 0
	v_lshl_add_u64 v[42:43], v[38:39], 3, 0x80
	s_mov_b64 s[38:39], 0
	s_mov_b64 s[46:47], 0
	s_delay_alu instid0(VALU_DEP_4) | instskip(NEXT) | instid1(VALU_DEP_2)
	v_cmp_lt_i64_e32 vcc_lo, 0, v[44:45]
	v_mad_nc_u64_u32 v[52:53], s36, v42, v[32:33]
	v_cmp_lt_i64_e64 s4, 16, v[44:45]
	v_mad_u32 v7, s25, v38, v51
	v_mov_b64_e32 v[44:45], 0
	s_delay_alu instid0(VALU_DEP_4) | instskip(NEXT) | instid1(VALU_DEP_3)
	v_mad_u32 v42, s37, v42, v53
	v_mad_u32 v51, s24, v39, v7
	s_delay_alu instid0(VALU_DEP_2)
	v_mad_u32 v53, s36, v43, v42
	v_mov_b64_e32 v[42:43], 0
	s_branch .LBB46_11
.LBB46_10:                              ;   in Loop: Header=BB46_11 Depth=3
	s_wait_xcnt 0x0
	s_or_b32 exec_lo, exec_lo, s5
	s_wait_dscnt 0x0
	s_barrier_signal -1
	s_barrier_wait -1
	ds_load_b128 v[54:57], v62
	ds_load_2addr_b64 v[58:61], v12 offset1:16
	ds_load_b128 v[68:71], v62 offset:4096
	ds_load_b128 v[72:75], v62 offset:16
	;; [unrolled: 1-line block ×3, first 2 shown]
	s_add_nc_u64 s[46:47], s[46:47], 32
	s_add_nc_u64 s[38:39], s[38:39], 0x100
	s_sub_co_i32 s5, s46, 32
	s_delay_alu instid0(SALU_CYCLE_1)
	s_cmp_ge_i32 s5, s50
	s_wait_dscnt 0x3
	v_fmac_f64_e32 v[48:49], v[58:59], v[54:55]
	v_fmac_f64_e32 v[46:47], v[60:61], v[54:55]
	s_wait_dscnt 0x2
	v_fmac_f64_e32 v[44:45], v[58:59], v[68:69]
	v_fmac_f64_e32 v[42:43], v[60:61], v[68:69]
	ds_load_2addr_b64 v[58:61], v12 offset0:32 offset1:48
	s_wait_dscnt 0x0
	v_fmac_f64_e32 v[48:49], v[58:59], v[56:57]
	v_fmac_f64_e32 v[46:47], v[60:61], v[56:57]
	v_fmac_f64_e32 v[44:45], v[58:59], v[70:71]
	v_fmac_f64_e32 v[42:43], v[60:61], v[70:71]
	ds_load_2addr_b64 v[54:57], v12 offset0:64 offset1:80
	s_wait_dscnt 0x0
	v_fmac_f64_e32 v[48:49], v[54:55], v[72:73]
	v_fmac_f64_e32 v[46:47], v[56:57], v[72:73]
	v_fmac_f64_e32 v[44:45], v[54:55], v[76:77]
	v_fmac_f64_e32 v[42:43], v[56:57], v[76:77]
	ds_load_2addr_b64 v[54:57], v12 offset0:96 offset1:112
	s_wait_dscnt 0x0
	v_fmac_f64_e32 v[48:49], v[54:55], v[74:75]
	v_fmac_f64_e32 v[46:47], v[56:57], v[74:75]
	v_fmac_f64_e32 v[44:45], v[54:55], v[78:79]
	v_fmac_f64_e32 v[42:43], v[56:57], v[78:79]
	ds_load_b128 v[54:57], v62 offset:32
	ds_load_2addr_b64 v[58:61], v12 offset0:128 offset1:144
	ds_load_b128 v[68:71], v62 offset:4128
	ds_load_b128 v[72:75], v62 offset:48
	ds_load_b128 v[76:79], v62 offset:4144
	s_wait_dscnt 0x3
	v_fmac_f64_e32 v[48:49], v[58:59], v[54:55]
	v_fmac_f64_e32 v[46:47], v[60:61], v[54:55]
	s_wait_dscnt 0x2
	v_fmac_f64_e32 v[44:45], v[58:59], v[68:69]
	v_fmac_f64_e32 v[42:43], v[60:61], v[68:69]
	ds_load_2addr_b64 v[58:61], v12 offset0:160 offset1:176
	s_wait_dscnt 0x0
	v_fmac_f64_e32 v[48:49], v[58:59], v[56:57]
	v_fmac_f64_e32 v[46:47], v[60:61], v[56:57]
	v_fmac_f64_e32 v[44:45], v[58:59], v[70:71]
	v_fmac_f64_e32 v[42:43], v[60:61], v[70:71]
	ds_load_2addr_b64 v[54:57], v12 offset0:192 offset1:208
	s_wait_dscnt 0x0
	v_fmac_f64_e32 v[48:49], v[54:55], v[72:73]
	v_fmac_f64_e32 v[46:47], v[56:57], v[72:73]
	v_fmac_f64_e32 v[44:45], v[54:55], v[76:77]
	v_fmac_f64_e32 v[42:43], v[56:57], v[76:77]
	ds_load_2addr_b64 v[54:57], v12 offset0:224 offset1:240
	s_wait_dscnt 0x0
	v_fmac_f64_e32 v[48:49], v[54:55], v[74:75]
	v_fmac_f64_e32 v[46:47], v[56:57], v[74:75]
	v_fmac_f64_e32 v[44:45], v[54:55], v[78:79]
	v_fmac_f64_e32 v[42:43], v[56:57], v[78:79]
	ds_load_b128 v[54:57], v62 offset:64
	ds_load_2addr_b64 v[58:61], v13 offset1:16
	ds_load_b128 v[68:71], v62 offset:4160
	ds_load_b128 v[72:75], v62 offset:80
	ds_load_b128 v[76:79], v62 offset:4176
	s_wait_dscnt 0x3
	v_fmac_f64_e32 v[48:49], v[58:59], v[54:55]
	v_fmac_f64_e32 v[46:47], v[60:61], v[54:55]
	s_wait_dscnt 0x2
	v_fmac_f64_e32 v[44:45], v[58:59], v[68:69]
	v_fmac_f64_e32 v[42:43], v[60:61], v[68:69]
	ds_load_2addr_b64 v[58:61], v13 offset0:32 offset1:48
	s_wait_dscnt 0x0
	v_fmac_f64_e32 v[48:49], v[58:59], v[56:57]
	v_fmac_f64_e32 v[46:47], v[60:61], v[56:57]
	v_fmac_f64_e32 v[44:45], v[58:59], v[70:71]
	v_fmac_f64_e32 v[42:43], v[60:61], v[70:71]
	ds_load_2addr_b64 v[54:57], v13 offset0:64 offset1:80
	s_wait_dscnt 0x0
	v_fmac_f64_e32 v[48:49], v[54:55], v[72:73]
	v_fmac_f64_e32 v[46:47], v[56:57], v[72:73]
	v_fmac_f64_e32 v[44:45], v[54:55], v[76:77]
	v_fmac_f64_e32 v[42:43], v[56:57], v[76:77]
	ds_load_2addr_b64 v[54:57], v13 offset0:96 offset1:112
	s_wait_dscnt 0x0
	v_fmac_f64_e32 v[48:49], v[54:55], v[74:75]
	v_fmac_f64_e32 v[46:47], v[56:57], v[74:75]
	v_fmac_f64_e32 v[44:45], v[54:55], v[78:79]
	v_fmac_f64_e32 v[42:43], v[56:57], v[78:79]
	ds_load_b128 v[54:57], v62 offset:96
	ds_load_2addr_b64 v[58:61], v13 offset0:128 offset1:144
	ds_load_b128 v[68:71], v62 offset:4192
	ds_load_b128 v[72:75], v62 offset:112
	ds_load_b128 v[76:79], v62 offset:4208
	s_wait_dscnt 0x3
	v_fmac_f64_e32 v[48:49], v[58:59], v[54:55]
	v_fmac_f64_e32 v[46:47], v[60:61], v[54:55]
	s_wait_dscnt 0x2
	v_fmac_f64_e32 v[44:45], v[58:59], v[68:69]
	v_fmac_f64_e32 v[42:43], v[60:61], v[68:69]
	ds_load_2addr_b64 v[58:61], v13 offset0:160 offset1:176
	s_wait_dscnt 0x0
	v_fmac_f64_e32 v[48:49], v[58:59], v[56:57]
	v_fmac_f64_e32 v[46:47], v[60:61], v[56:57]
	v_fmac_f64_e32 v[44:45], v[58:59], v[70:71]
	v_fmac_f64_e32 v[42:43], v[60:61], v[70:71]
	ds_load_2addr_b64 v[54:57], v13 offset0:192 offset1:208
	s_wait_dscnt 0x0
	v_fmac_f64_e32 v[48:49], v[54:55], v[72:73]
	v_fmac_f64_e32 v[46:47], v[56:57], v[72:73]
	v_fmac_f64_e32 v[44:45], v[54:55], v[76:77]
	v_fmac_f64_e32 v[42:43], v[56:57], v[76:77]
	ds_load_2addr_b64 v[54:57], v13 offset0:224 offset1:240
	s_wait_dscnt 0x0
	v_fmac_f64_e32 v[48:49], v[54:55], v[74:75]
	v_fmac_f64_e32 v[46:47], v[56:57], v[74:75]
	v_fmac_f64_e32 v[44:45], v[54:55], v[78:79]
	v_fmac_f64_e32 v[42:43], v[56:57], v[78:79]
	ds_load_b128 v[54:57], v62 offset:128
	ds_load_2addr_b64 v[58:61], v66 offset1:16
	ds_load_b128 v[68:71], v62 offset:4224
	ds_load_b128 v[72:75], v62 offset:144
	ds_load_b128 v[76:79], v62 offset:4240
	;; [unrolled: 58-line block ×3, first 2 shown]
	s_wait_dscnt 0x3
	v_fmac_f64_e32 v[48:49], v[58:59], v[54:55]
	v_fmac_f64_e32 v[46:47], v[60:61], v[54:55]
	s_wait_dscnt 0x2
	v_fmac_f64_e32 v[44:45], v[58:59], v[68:69]
	v_fmac_f64_e32 v[42:43], v[60:61], v[68:69]
	ds_load_2addr_b64 v[58:61], v67 offset0:32 offset1:48
	s_wait_dscnt 0x0
	v_fmac_f64_e32 v[48:49], v[58:59], v[56:57]
	v_fmac_f64_e32 v[46:47], v[60:61], v[56:57]
	v_fmac_f64_e32 v[44:45], v[58:59], v[70:71]
	v_fmac_f64_e32 v[42:43], v[60:61], v[70:71]
	ds_load_2addr_b64 v[54:57], v67 offset0:64 offset1:80
	s_wait_dscnt 0x0
	v_fmac_f64_e32 v[48:49], v[54:55], v[72:73]
	v_fmac_f64_e32 v[46:47], v[56:57], v[72:73]
	;; [unrolled: 6-line block ×3, first 2 shown]
	v_fmac_f64_e32 v[44:45], v[54:55], v[78:79]
	v_fmac_f64_e32 v[42:43], v[56:57], v[78:79]
	ds_load_b128 v[54:57], v62 offset:224
	ds_load_2addr_b64 v[58:61], v67 offset0:128 offset1:144
	ds_load_b128 v[68:71], v62 offset:4320
	ds_load_b128 v[72:75], v62 offset:240
	;; [unrolled: 1-line block ×3, first 2 shown]
	s_wait_dscnt 0x3
	v_fmac_f64_e32 v[48:49], v[58:59], v[54:55]
	v_fmac_f64_e32 v[46:47], v[60:61], v[54:55]
	s_wait_dscnt 0x2
	v_fmac_f64_e32 v[44:45], v[58:59], v[68:69]
	v_fmac_f64_e32 v[42:43], v[60:61], v[68:69]
	ds_load_2addr_b64 v[58:61], v67 offset0:160 offset1:176
	s_wait_dscnt 0x0
	v_fmac_f64_e32 v[48:49], v[58:59], v[56:57]
	v_fmac_f64_e32 v[46:47], v[60:61], v[56:57]
	;; [unrolled: 1-line block ×4, first 2 shown]
	ds_load_2addr_b64 v[54:57], v67 offset0:192 offset1:208
	s_wait_dscnt 0x0
	v_fmac_f64_e32 v[48:49], v[54:55], v[72:73]
	v_fmac_f64_e32 v[46:47], v[56:57], v[72:73]
	;; [unrolled: 1-line block ×4, first 2 shown]
	ds_load_2addr_b64 v[54:57], v67 offset0:224 offset1:240
	s_wait_dscnt 0x0
	s_barrier_signal -1
	s_barrier_wait -1
	v_fmac_f64_e32 v[48:49], v[54:55], v[74:75]
	v_fmac_f64_e32 v[46:47], v[56:57], v[74:75]
	;; [unrolled: 1-line block ×4, first 2 shown]
	s_cbranch_scc1 .LBB46_47
.LBB46_11:                              ;   Parent Loop BB46_4 Depth=1
                                        ;     Parent Loop BB46_8 Depth=2
                                        ; =>    This Inner Loop Header: Depth=3
	v_add_nc_u64_e32 v[58:59], s[46:47], v[0:1]
	v_cmp_eq_u64_e64 s7, s[46:47], v[18:19]
	v_add_nc_u64_e32 v[54:55], s[38:39], v[36:37]
                                        ; implicit-def: $vgpr60_vgpr61
	s_delay_alu instid0(VALU_DEP_3) | instskip(SKIP_3) | instid1(SALU_CYCLE_1)
	v_cmp_le_i64_e64 s6, s[18:19], v[58:59]
	v_cmp_gt_i64_e64 s5, v[58:59], v[4:5]
	s_and_b32 s55, s52, s7
	s_or_b32 s7, s6, s5
	s_or_b32 s7, s7, s55
	s_delay_alu instid0(SALU_CYCLE_1) | instskip(NEXT) | instid1(SALU_CYCLE_1)
	s_nor_b32 s7, s0, s7
	s_and_saveexec_b32 s8, s7
	s_delay_alu instid0(SALU_CYCLE_1)
	s_xor_b32 s7, exec_lo, s8
	s_cbranch_execz .LBB46_13
; %bb.12:                               ;   in Loop: Header=BB46_11 Depth=3
	global_load_b64 v[60:61], v[54:55], off
.LBB46_13:                              ;   in Loop: Header=BB46_11 Depth=3
	s_wait_xcnt 0x0
	s_and_not1_saveexec_b32 s7, s7
	s_cbranch_execz .LBB46_15
; %bb.14:                               ;   in Loop: Header=BB46_11 Depth=3
	v_cndmask_b32_e64 v7, 0, 0x3ff00000, s55
	s_wait_loadcnt 0x0
	s_delay_alu instid0(VALU_DEP_1)
	v_mov_b64_e32 v[60:61], v[6:7]
.LBB46_15:                              ;   in Loop: Header=BB46_11 Depth=3
	s_or_b32 exec_lo, exec_lo, s7
	v_cmp_eq_u64_e64 s7, s[46:47], v[22:23]
	v_cmp_lt_i64_e64 s8, v[16:17], v[58:59]
	v_add_nc_u64_e32 v[56:57], s[38:39], v[34:35]
	s_wait_loadcnt 0x0
	ds_store_b64 v63, v[60:61]
	s_and_b32 s7, s52, s7
	s_or_b32 s6, s6, s8
	s_delay_alu instid0(SALU_CYCLE_1) | instskip(NEXT) | instid1(SALU_CYCLE_1)
	s_or_b32 s6, s6, s7
	s_nor_b32 s6, s3, s6
	s_delay_alu instid0(SALU_CYCLE_1) | instskip(NEXT) | instid1(SALU_CYCLE_1)
	s_and_saveexec_b32 s8, s6
	s_xor_b32 s6, exec_lo, s8
	s_cbranch_execz .LBB46_17
; %bb.16:                               ;   in Loop: Header=BB46_11 Depth=3
	global_load_b64 v[60:61], v[56:57], off
	s_wait_loadcnt 0x0
	ds_store_b64 v63, v[60:61] offset:128
.LBB46_17:                              ;   in Loop: Header=BB46_11 Depth=3
	s_wait_xcnt 0x0
	s_and_not1_saveexec_b32 s6, s6
	s_cbranch_execz .LBB46_23
; %bb.18:                               ;   in Loop: Header=BB46_11 Depth=3
	s_xor_b32 s7, s7, -1
	s_delay_alu instid0(SALU_CYCLE_1) | instskip(NEXT) | instid1(SALU_CYCLE_1)
	s_and_saveexec_b32 s8, s7
	s_xor_b32 s7, exec_lo, s8
; %bb.19:                               ;   in Loop: Header=BB46_11 Depth=3
	ds_store_b64 v63, v[8:9] offset:128
; %bb.20:                               ;   in Loop: Header=BB46_11 Depth=3
	s_and_not1_saveexec_b32 s7, s7
; %bb.21:                               ;   in Loop: Header=BB46_11 Depth=3
	ds_store_b64 v63, v[10:11] offset:128
; %bb.22:                               ;   in Loop: Header=BB46_11 Depth=3
	s_or_b32 exec_lo, exec_lo, s7
.LBB46_23:                              ;   in Loop: Header=BB46_11 Depth=3
	s_delay_alu instid0(SALU_CYCLE_1) | instskip(SKIP_2) | instid1(VALU_DEP_2)
	s_or_b32 exec_lo, exec_lo, s6
	v_add_nc_u64_e32 v[58:59], 16, v[58:59]
	v_cmp_eq_u64_e64 s7, s[46:47], v[24:25]
	v_cmp_le_i64_e64 s6, s[18:19], v[58:59]
	v_cmp_gt_i64_e64 s8, v[58:59], v[4:5]
	s_and_b32 s7, s52, s7
                                        ; implicit-def: $vgpr58_vgpr59
	s_or_b32 s8, s6, s8
	s_delay_alu instid0(SALU_CYCLE_1) | instskip(NEXT) | instid1(SALU_CYCLE_1)
	s_or_b32 s8, s8, s7
	s_nor_b32 s8, s0, s8
	s_delay_alu instid0(SALU_CYCLE_1) | instskip(NEXT) | instid1(SALU_CYCLE_1)
	s_and_saveexec_b32 s56, s8
	s_xor_b32 s8, exec_lo, s56
	s_cbranch_execz .LBB46_25
; %bb.24:                               ;   in Loop: Header=BB46_11 Depth=3
	global_load_b64 v[58:59], v[54:55], off offset:128
.LBB46_25:                              ;   in Loop: Header=BB46_11 Depth=3
	s_wait_xcnt 0x0
	s_and_not1_saveexec_b32 s8, s8
	s_cbranch_execz .LBB46_27
; %bb.26:                               ;   in Loop: Header=BB46_11 Depth=3
	v_cndmask_b32_e64 v7, 0, 0x3ff00000, s7
	s_wait_loadcnt 0x0
	s_delay_alu instid0(VALU_DEP_1)
	v_mov_b64_e32 v[58:59], v[6:7]
.LBB46_27:                              ;   in Loop: Header=BB46_11 Depth=3
	s_or_b32 exec_lo, exec_lo, s8
	s_or_b32 s5, s6, s5
	s_wait_loadcnt 0x0
	ds_store_b64 v63, v[58:59] offset:4096
	s_or_b32 s5, s5, s55
	s_delay_alu instid0(SALU_CYCLE_1) | instskip(NEXT) | instid1(SALU_CYCLE_1)
	s_nor_b32 s5, s3, s5
	s_and_saveexec_b32 s6, s5
	s_delay_alu instid0(SALU_CYCLE_1)
	s_xor_b32 s5, exec_lo, s6
	s_cbranch_execz .LBB46_29
; %bb.28:                               ;   in Loop: Header=BB46_11 Depth=3
	global_load_b64 v[54:55], v[56:57], off offset:128
	s_wait_loadcnt 0x0
	ds_store_b64 v63, v[54:55] offset:4224
.LBB46_29:                              ;   in Loop: Header=BB46_11 Depth=3
	s_wait_xcnt 0x0
	s_and_not1_saveexec_b32 s5, s5
	s_cbranch_execz .LBB46_35
; %bb.30:                               ;   in Loop: Header=BB46_11 Depth=3
	s_xor_b32 s6, s55, -1
	s_delay_alu instid0(SALU_CYCLE_1) | instskip(NEXT) | instid1(SALU_CYCLE_1)
	s_and_saveexec_b32 s7, s6
	s_xor_b32 s6, exec_lo, s7
; %bb.31:                               ;   in Loop: Header=BB46_11 Depth=3
	ds_store_b64 v63, v[8:9] offset:4224
; %bb.32:                               ;   in Loop: Header=BB46_11 Depth=3
	s_and_not1_saveexec_b32 s6, s6
; %bb.33:                               ;   in Loop: Header=BB46_11 Depth=3
	ds_store_b64 v63, v[10:11] offset:4224
; %bb.34:                               ;   in Loop: Header=BB46_11 Depth=3
	s_or_b32 exec_lo, exec_lo, s6
.LBB46_35:                              ;   in Loop: Header=BB46_11 Depth=3
	s_delay_alu instid0(SALU_CYCLE_1) | instskip(SKIP_3) | instid1(VALU_DEP_3)
	s_or_b32 exec_lo, exec_lo, s5
	v_add_nc_u64_e32 v[56:57], s[46:47], v[2:3]
	v_add_nc_u64_e32 v[54:55], s[38:39], v[50:51]
	v_mov_b64_e32 v[58:59], 0
	v_cmp_gt_i64_e64 s5, s[18:19], v[56:57]
	s_and_b32 s7, vcc_lo, s5
	s_delay_alu instid0(SALU_CYCLE_1)
	s_and_saveexec_b32 s6, s7
	s_cbranch_execz .LBB46_37
; %bb.36:                               ;   in Loop: Header=BB46_11 Depth=3
	global_load_b64 v[58:59], v[54:55], off offset:-128
.LBB46_37:                              ;   in Loop: Header=BB46_11 Depth=3
	s_wait_xcnt 0x0
	s_or_b32 exec_lo, exec_lo, s6
	v_cmp_gt_i64_e64 s6, s[20:21], v[56:57]
	s_wait_loadcnt 0x0
	ds_store_b64 v64, v[58:59]
	s_and_b32 s7, vcc_lo, s6
	s_delay_alu instid0(SALU_CYCLE_1) | instskip(NEXT) | instid1(SALU_CYCLE_1)
	s_xor_b32 s7, s7, -1
	s_and_saveexec_b32 s8, s7
	s_delay_alu instid0(SALU_CYCLE_1)
	s_xor_b32 s7, exec_lo, s8
; %bb.38:                               ;   in Loop: Header=BB46_11 Depth=3
	ds_store_b64 v64, v[8:9] offset:128
                                        ; implicit-def: $vgpr54_vgpr55
; %bb.39:                               ;   in Loop: Header=BB46_11 Depth=3
	s_and_not1_saveexec_b32 s7, s7
	s_cbranch_execz .LBB46_41
; %bb.40:                               ;   in Loop: Header=BB46_11 Depth=3
	global_load_b64 v[54:55], v[54:55], off
	s_wait_loadcnt 0x0
	ds_store_b64 v64, v[54:55] offset:128
.LBB46_41:                              ;   in Loop: Header=BB46_11 Depth=3
	s_wait_xcnt 0x0
	s_or_b32 exec_lo, exec_lo, s7
	v_add_nc_u64_e32 v[54:55], s[38:39], v[52:53]
	v_mov_b64_e32 v[56:57], 0
	s_and_b32 s7, s4, s5
	s_delay_alu instid0(SALU_CYCLE_1)
	s_and_saveexec_b32 s5, s7
	s_cbranch_execz .LBB46_43
; %bb.42:                               ;   in Loop: Header=BB46_11 Depth=3
	global_load_b64 v[56:57], v[54:55], off offset:-128
.LBB46_43:                              ;   in Loop: Header=BB46_11 Depth=3
	s_wait_xcnt 0x0
	s_or_b32 exec_lo, exec_lo, s5
	s_and_b32 s5, s4, s6
	s_wait_loadcnt 0x0
	ds_store_b64 v64, v[56:57] offset:4096
	s_xor_b32 s5, s5, -1
	s_delay_alu instid0(SALU_CYCLE_1) | instskip(NEXT) | instid1(SALU_CYCLE_1)
	s_and_saveexec_b32 s6, s5
	s_xor_b32 s5, exec_lo, s6
; %bb.44:                               ;   in Loop: Header=BB46_11 Depth=3
	ds_store_b64 v64, v[8:9] offset:4224
                                        ; implicit-def: $vgpr54_vgpr55
; %bb.45:                               ;   in Loop: Header=BB46_11 Depth=3
	s_and_not1_saveexec_b32 s5, s5
	s_cbranch_execz .LBB46_10
; %bb.46:                               ;   in Loop: Header=BB46_11 Depth=3
	global_load_b64 v[54:55], v[54:55], off
	s_wait_loadcnt 0x0
	ds_store_b64 v64, v[54:55] offset:4224
	s_branch .LBB46_10
.LBB46_47:                              ;   in Loop: Header=BB46_8 Depth=2
	s_delay_alu instid0(VALU_DEP_1) | instskip(SKIP_2) | instid1(VALU_DEP_2)
	v_mul_u64_e32 v[50:51], s[28:29], v[40:41]
	v_cmp_gt_i32_e32 vcc_lo, s10, v40
	s_and_b32 s5, s1, vcc_lo
	v_lshl_add_u64 v[50:51], v[50:51], 3, s[26:27]
	s_and_saveexec_b32 s4, s5
	s_cbranch_execz .LBB46_49
; %bb.48:                               ;   in Loop: Header=BB46_8 Depth=2
	s_delay_alu instid0(VALU_DEP_1)
	v_lshl_add_u64 v[52:53], v[4:5], 3, v[50:51]
	global_load_b64 v[54:55], v[52:53], off
	s_wait_loadcnt 0x0
	v_fmac_f64_e32 v[54:55], v[30:31], v[48:49]
	global_store_b64 v[52:53], v[54:55], off
.LBB46_49:                              ;   in Loop: Header=BB46_8 Depth=2
	s_wait_xcnt 0x0
	s_or_b32 exec_lo, exec_lo, s4
	s_and_b32 s5, s2, vcc_lo
	s_delay_alu instid0(SALU_CYCLE_1)
	s_and_saveexec_b32 s4, s5
	s_cbranch_execz .LBB46_51
; %bb.50:                               ;   in Loop: Header=BB46_8 Depth=2
	v_lshl_add_u64 v[48:49], v[14:15], 3, v[50:51]
	global_load_b64 v[50:51], v[48:49], off
	s_wait_loadcnt 0x0
	v_fmac_f64_e32 v[50:51], v[30:31], v[46:47]
	global_store_b64 v[48:49], v[50:51], off
.LBB46_51:                              ;   in Loop: Header=BB46_8 Depth=2
	s_wait_xcnt 0x0
	s_or_b32 exec_lo, exec_lo, s4
	v_add_nc_u32_e32 v40, 16, v40
	s_delay_alu instid0(VALU_DEP_1) | instskip(SKIP_1) | instid1(VALU_DEP_2)
	v_ashrrev_i32_e32 v41, 31, v40
	v_cmp_gt_i32_e32 vcc_lo, s10, v40
	v_mul_u64_e32 v[46:47], s[28:29], v[40:41]
	s_and_b32 s5, s1, vcc_lo
	s_delay_alu instid0(VALU_DEP_1)
	v_lshl_add_u64 v[40:41], v[46:47], 3, s[26:27]
	s_and_saveexec_b32 s4, s5
	s_cbranch_execz .LBB46_53
; %bb.52:                               ;   in Loop: Header=BB46_8 Depth=2
	s_delay_alu instid0(VALU_DEP_1)
	v_lshl_add_u64 v[46:47], v[4:5], 3, v[40:41]
	global_load_b64 v[48:49], v[46:47], off
	s_wait_loadcnt 0x0
	v_fmac_f64_e32 v[48:49], v[30:31], v[44:45]
	global_store_b64 v[46:47], v[48:49], off
.LBB46_53:                              ;   in Loop: Header=BB46_8 Depth=2
	s_wait_xcnt 0x0
	s_or_b32 exec_lo, exec_lo, s4
	s_and_b32 s5, s2, vcc_lo
	s_delay_alu instid0(SALU_CYCLE_1)
	s_and_saveexec_b32 s4, s5
	s_cbranch_execz .LBB46_7
; %bb.54:                               ;   in Loop: Header=BB46_8 Depth=2
	v_lshl_add_u64 v[40:41], v[14:15], 3, v[40:41]
	global_load_b64 v[44:45], v[40:41], off
	s_wait_loadcnt 0x0
	v_fmac_f64_e32 v[44:45], v[30:31], v[42:43]
	global_store_b64 v[40:41], v[44:45], off
	s_branch .LBB46_7
.LBB46_55:
	s_sendmsg sendmsg(MSG_DEALLOC_VGPRS)
	s_endpgm
	.section	.rodata,"a",@progbits
	.p2align	6, 0x0
	.amdhsa_kernel _ZL30rocblas_trmm_outofplace_kernelIdLi32ELi2ELb1ELb1ELb1ELb1EPKdS0_dEv17rocblas_diagonal_iiT6_lPT7_lllS5_lllPT8_llli
		.amdhsa_group_segment_fixed_size 16384
		.amdhsa_private_segment_fixed_size 0
		.amdhsa_kernarg_size 392
		.amdhsa_user_sgpr_count 2
		.amdhsa_user_sgpr_dispatch_ptr 0
		.amdhsa_user_sgpr_queue_ptr 0
		.amdhsa_user_sgpr_kernarg_segment_ptr 1
		.amdhsa_user_sgpr_dispatch_id 0
		.amdhsa_user_sgpr_kernarg_preload_length 0
		.amdhsa_user_sgpr_kernarg_preload_offset 0
		.amdhsa_user_sgpr_private_segment_size 0
		.amdhsa_wavefront_size32 1
		.amdhsa_uses_dynamic_stack 0
		.amdhsa_enable_private_segment 0
		.amdhsa_system_sgpr_workgroup_id_x 1
		.amdhsa_system_sgpr_workgroup_id_y 1
		.amdhsa_system_sgpr_workgroup_id_z 1
		.amdhsa_system_sgpr_workgroup_info 0
		.amdhsa_system_vgpr_workitem_id 1
		.amdhsa_next_free_vgpr 80
		.amdhsa_next_free_sgpr 57
		.amdhsa_named_barrier_count 0
		.amdhsa_reserve_vcc 1
		.amdhsa_float_round_mode_32 0
		.amdhsa_float_round_mode_16_64 0
		.amdhsa_float_denorm_mode_32 3
		.amdhsa_float_denorm_mode_16_64 3
		.amdhsa_fp16_overflow 0
		.amdhsa_memory_ordered 1
		.amdhsa_forward_progress 1
		.amdhsa_inst_pref_size 26
		.amdhsa_round_robin_scheduling 0
		.amdhsa_exception_fp_ieee_invalid_op 0
		.amdhsa_exception_fp_denorm_src 0
		.amdhsa_exception_fp_ieee_div_zero 0
		.amdhsa_exception_fp_ieee_overflow 0
		.amdhsa_exception_fp_ieee_underflow 0
		.amdhsa_exception_fp_ieee_inexact 0
		.amdhsa_exception_int_div_zero 0
	.end_amdhsa_kernel
	.section	.text._ZL30rocblas_trmm_outofplace_kernelIdLi32ELi2ELb1ELb1ELb1ELb1EPKdS0_dEv17rocblas_diagonal_iiT6_lPT7_lllS5_lllPT8_llli,"axG",@progbits,_ZL30rocblas_trmm_outofplace_kernelIdLi32ELi2ELb1ELb1ELb1ELb1EPKdS0_dEv17rocblas_diagonal_iiT6_lPT7_lllS5_lllPT8_llli,comdat
.Lfunc_end46:
	.size	_ZL30rocblas_trmm_outofplace_kernelIdLi32ELi2ELb1ELb1ELb1ELb1EPKdS0_dEv17rocblas_diagonal_iiT6_lPT7_lllS5_lllPT8_llli, .Lfunc_end46-_ZL30rocblas_trmm_outofplace_kernelIdLi32ELi2ELb1ELb1ELb1ELb1EPKdS0_dEv17rocblas_diagonal_iiT6_lPT7_lllS5_lllPT8_llli
                                        ; -- End function
	.set _ZL30rocblas_trmm_outofplace_kernelIdLi32ELi2ELb1ELb1ELb1ELb1EPKdS0_dEv17rocblas_diagonal_iiT6_lPT7_lllS5_lllPT8_llli.num_vgpr, 80
	.set _ZL30rocblas_trmm_outofplace_kernelIdLi32ELi2ELb1ELb1ELb1ELb1EPKdS0_dEv17rocblas_diagonal_iiT6_lPT7_lllS5_lllPT8_llli.num_agpr, 0
	.set _ZL30rocblas_trmm_outofplace_kernelIdLi32ELi2ELb1ELb1ELb1ELb1EPKdS0_dEv17rocblas_diagonal_iiT6_lPT7_lllS5_lllPT8_llli.numbered_sgpr, 57
	.set _ZL30rocblas_trmm_outofplace_kernelIdLi32ELi2ELb1ELb1ELb1ELb1EPKdS0_dEv17rocblas_diagonal_iiT6_lPT7_lllS5_lllPT8_llli.num_named_barrier, 0
	.set _ZL30rocblas_trmm_outofplace_kernelIdLi32ELi2ELb1ELb1ELb1ELb1EPKdS0_dEv17rocblas_diagonal_iiT6_lPT7_lllS5_lllPT8_llli.private_seg_size, 0
	.set _ZL30rocblas_trmm_outofplace_kernelIdLi32ELi2ELb1ELb1ELb1ELb1EPKdS0_dEv17rocblas_diagonal_iiT6_lPT7_lllS5_lllPT8_llli.uses_vcc, 1
	.set _ZL30rocblas_trmm_outofplace_kernelIdLi32ELi2ELb1ELb1ELb1ELb1EPKdS0_dEv17rocblas_diagonal_iiT6_lPT7_lllS5_lllPT8_llli.uses_flat_scratch, 0
	.set _ZL30rocblas_trmm_outofplace_kernelIdLi32ELi2ELb1ELb1ELb1ELb1EPKdS0_dEv17rocblas_diagonal_iiT6_lPT7_lllS5_lllPT8_llli.has_dyn_sized_stack, 0
	.set _ZL30rocblas_trmm_outofplace_kernelIdLi32ELi2ELb1ELb1ELb1ELb1EPKdS0_dEv17rocblas_diagonal_iiT6_lPT7_lllS5_lllPT8_llli.has_recursion, 0
	.set _ZL30rocblas_trmm_outofplace_kernelIdLi32ELi2ELb1ELb1ELb1ELb1EPKdS0_dEv17rocblas_diagonal_iiT6_lPT7_lllS5_lllPT8_llli.has_indirect_call, 0
	.section	.AMDGPU.csdata,"",@progbits
; Kernel info:
; codeLenInByte = 3268
; TotalNumSgprs: 59
; NumVgprs: 80
; ScratchSize: 0
; MemoryBound: 0
; FloatMode: 240
; IeeeMode: 1
; LDSByteSize: 16384 bytes/workgroup (compile time only)
; SGPRBlocks: 0
; VGPRBlocks: 4
; NumSGPRsForWavesPerEU: 59
; NumVGPRsForWavesPerEU: 80
; NamedBarCnt: 0
; Occupancy: 12
; WaveLimiterHint : 0
; COMPUTE_PGM_RSRC2:SCRATCH_EN: 0
; COMPUTE_PGM_RSRC2:USER_SGPR: 2
; COMPUTE_PGM_RSRC2:TRAP_HANDLER: 0
; COMPUTE_PGM_RSRC2:TGID_X_EN: 1
; COMPUTE_PGM_RSRC2:TGID_Y_EN: 1
; COMPUTE_PGM_RSRC2:TGID_Z_EN: 1
; COMPUTE_PGM_RSRC2:TIDIG_COMP_CNT: 1
	.section	.text._ZL30rocblas_trmm_outofplace_kernelIdLi32ELi2ELb1ELb1ELb1ELb1EdKddEv17rocblas_diagonal_iiT6_lPT7_lllS4_lllPT8_llli,"axG",@progbits,_ZL30rocblas_trmm_outofplace_kernelIdLi32ELi2ELb1ELb1ELb1ELb1EdKddEv17rocblas_diagonal_iiT6_lPT7_lllS4_lllPT8_llli,comdat
	.globl	_ZL30rocblas_trmm_outofplace_kernelIdLi32ELi2ELb1ELb1ELb1ELb1EdKddEv17rocblas_diagonal_iiT6_lPT7_lllS4_lllPT8_llli ; -- Begin function _ZL30rocblas_trmm_outofplace_kernelIdLi32ELi2ELb1ELb1ELb1ELb1EdKddEv17rocblas_diagonal_iiT6_lPT7_lllS4_lllPT8_llli
	.p2align	8
	.type	_ZL30rocblas_trmm_outofplace_kernelIdLi32ELi2ELb1ELb1ELb1ELb1EdKddEv17rocblas_diagonal_iiT6_lPT7_lllS4_lllPT8_llli,@function
_ZL30rocblas_trmm_outofplace_kernelIdLi32ELi2ELb1ELb1ELb1ELb1EdKddEv17rocblas_diagonal_iiT6_lPT7_lllS4_lllPT8_llli: ; @_ZL30rocblas_trmm_outofplace_kernelIdLi32ELi2ELb1ELb1ELb1ELb1EdKddEv17rocblas_diagonal_iiT6_lPT7_lllS4_lllPT8_llli
; %bb.0:
	s_load_b32 s31, s[0:1], 0x80
	s_bfe_u32 s2, ttmp6, 0x40014
	s_lshr_b32 s3, ttmp7, 16
	s_add_co_i32 s2, s2, 1
	s_bfe_u32 s5, ttmp6, 0x40008
	s_mul_i32 s4, s3, s2
	s_getreg_b32 s2, hwreg(HW_REG_IB_STS2, 6, 4)
	s_add_co_i32 s5, s5, s4
	s_cmp_eq_u32 s2, 0
	s_cselect_b32 s34, s3, s5
	s_wait_kmcnt 0x0
	s_cmp_ge_u32 s34, s31
	s_cbranch_scc1 .LBB47_54
; %bb.1:
	s_load_b64 s[36:37], s[0:1], 0x10
	s_wait_kmcnt 0x0
	v_cmp_eq_f64_e64 s3, s[36:37], 0
	s_and_b32 vcc_lo, exec_lo, s3
	s_cbranch_vccnz .LBB47_54
; %bb.2:
	s_clause 0x1
	s_load_b96 s[28:30], s[0:1], 0x0
	s_load_b512 s[4:19], s[0:1], 0x20
	s_bfe_u32 s20, ttmp6, 0x4000c
	s_bfe_u32 s22, ttmp6, 0x40010
	s_and_b32 s21, ttmp7, 0xffff
	s_add_co_i32 s20, s20, 1
	s_add_co_i32 s22, s22, 1
	s_and_b32 s3, ttmp6, 15
	s_bfe_u32 s23, ttmp6, 0x40004
	s_mul_i32 s20, ttmp9, s20
	s_mul_i32 s22, s21, s22
	s_add_co_i32 s3, s3, s20
	s_add_co_i32 s23, s23, s22
	v_and_b32_e32 v2, 0x3ff, v0
	v_bfe_u32 v0, v0, 10, 10
	s_add_nc_u64 s[38:39], s[0:1], 0x88
	v_mov_b64_e32 v[8:9], 0
	v_mov_b64_e32 v[10:11], 1.0
	s_mov_b32 s35, 0
	v_mov_b32_e32 v6, 0
	s_wait_kmcnt 0x0
	s_add_co_i32 s24, s30, -1
	v_lshlrev_b32_e32 v7, 8, v0
	s_ashr_i32 s25, s24, 31
	v_dual_mov_b32 v13, v6 :: v_dual_lshlrev_b32 v12, 3, v2
	s_lshr_b32 s25, s25, 27
	v_mov_b32_e32 v1, v6
	s_add_co_i32 s24, s24, s25
	v_mov_b32_e32 v3, v6
	s_ashr_i32 s33, s24, 5
	s_cmp_eq_u32 s2, 0
	v_dual_mov_b32 v23, v6 :: v_dual_add_nc_u32 v60, 0x2000, v7
	s_cselect_b32 s46, s21, s23
	s_cselect_b32 s2, ttmp9, s3
	s_cmp_le_i32 s46, s33
	v_dual_lshlrev_b32 v22, 3, v0 :: v_dual_add_nc_u32 v61, v12, v7
	s_cselect_b32 s47, -1, 0
	s_lshl_b32 s48, s2, 5
	s_cmp_gt_i32 s2, -1
	v_add_nc_u32_e32 v4, s48, v2
	s_cselect_b32 s49, -1, 0
	s_cmp_eq_u32 s28, 0x84
	s_load_b256 s[20:27], s[0:1], 0x60
	s_cselect_b32 s50, -1, 0
	v_ashrrev_i32_e32 v5, 31, v4
	s_lshl_b64 s[2:3], s[6:7], 3
	s_lshl_b64 s[6:7], s[14:15], 3
	s_mov_b32 s40, s29
	s_add_nc_u64 s[6:7], s[12:13], s[6:7]
	v_lshl_add_u64 v[14:15], v[4:5], 3, 0x80
	v_mul_u64_e32 v[16:17], s[8:9], v[4:5]
	v_add_nc_u64_e32 v[26:27], s[6:7], v[12:13]
	v_sub_nc_u64_e32 v[18:19], v[4:5], v[0:1]
	s_ashr_i32 s41, s29, 31
	v_mad_nc_u64_u32 v[20:21], s8, v14, s[2:3]
	v_lshl_add_u32 v63, s46, 5, v0
	v_add_nc_u32_e32 v13, 0x800, v12
	v_add_nc_u32_e32 v64, 0x1000, v12
	;; [unrolled: 1-line block ×3, first 2 shown]
	s_mov_b32 s42, s30
	s_ashr_i32 s43, s30, 31
	s_lshl_b64 s[12:13], s[18:19], 3
	s_wait_kmcnt 0x0
	s_lshl_b64 s[0:1], s[22:23], 3
	s_lshl_b64 s[18:19], s[16:17], 3
	s_add_nc_u64 s[14:15], s[20:21], s[0:1]
	v_mad_u32 v7, s9, v14, v21
	v_add_nc_u32_e32 v14, 16, v4
	v_add_nc_u32_e32 v62, v60, v12
	v_cmp_le_i32_e64 s0, s29, v4
	v_cmp_gt_i32_e64 s1, s29, v4
	s_add_nc_u64 s[20:21], s[40:41], -16
	s_lshl_b64 s[10:11], s[10:11], 3
	v_mad_u32 v21, s8, v15, v7
	v_ashrrev_i32_e32 v15, 31, v14
	v_lshl_add_u64 v[24:25], v[16:17], 3, s[2:3]
	v_add_nc_u64_e32 v[16:17], 16, v[4:5]
	v_cmp_gt_i32_e64 s2, s29, v14
	s_delay_alu instid0(VALU_DEP_3)
	v_add_nc_u64_e32 v[28:29], v[24:25], v[22:23]
	v_add_nc_u64_e32 v[30:31], v[20:21], v[22:23]
	v_add_nc_u64_e32 v[20:21], 0x80, v[26:27]
	v_cmp_le_i64_e64 s3, s[40:41], v[16:17]
	v_add_nc_u64_e32 v[22:23], 16, v[18:19]
	v_add_nc_u64_e32 v[24:25], -16, v[18:19]
	v_add_nc_u64_e32 v[26:27], s[4:5], v[28:29]
	v_add_nc_u64_e32 v[28:29], s[4:5], v[30:31]
	s_branch .LBB47_4
.LBB47_3:                               ;   in Loop: Header=BB47_4 Depth=1
	s_add_co_i32 s34, s34, 0x10000
	s_delay_alu instid0(SALU_CYCLE_1)
	s_cmp_ge_u32 s34, s31
	s_cbranch_scc1 .LBB47_54
.LBB47_4:                               ; =>This Loop Header: Depth=1
                                        ;     Child Loop BB47_7 Depth 2
                                        ;       Child Loop BB47_10 Depth 3
	s_and_not1_b32 vcc_lo, exec_lo, s47
	s_cbranch_vccnz .LBB47_3
; %bb.5:                                ;   in Loop: Header=BB47_4 Depth=1
	s_load_b32 s9, s[38:39], 0x4
	v_mad_nc_u64_u32 v[30:31], s12, s34, v[20:21]
	s_delay_alu instid0(VALU_DEP_2)
	v_mad_nc_u64_u32 v[32:33], s10, s34, v[28:29]
	v_mad_nc_u64_u32 v[34:35], s10, s34, v[26:27]
	s_mul_i32 s6, s11, s34
	s_mul_u64 s[4:5], s[26:27], s[34:35]
	v_mov_b32_e32 v36, v63
	s_lshl_b64 s[4:5], s[4:5], 3
	s_mov_b32 s52, s46
	s_add_nc_u64 s[22:23], s[14:15], s[4:5]
	s_delay_alu instid0(VALU_DEP_4) | instskip(NEXT) | instid1(VALU_DEP_3)
	v_mad_u32 v31, s13, s34, v31
	v_dual_add_nc_u32 v33, s6, v33 :: v_dual_add_nc_u32 v35, s6, v35
	s_wait_kmcnt 0x0
	s_lshl_b32 s51, s9, 5
	s_branch .LBB47_7
.LBB47_6:                               ;   in Loop: Header=BB47_7 Depth=2
	s_wait_xcnt 0x0
	s_or_b32 exec_lo, exec_lo, s4
	v_add_nc_u32_e32 v36, s51, v36
	s_add_co_i32 s52, s9, s52
	s_delay_alu instid0(SALU_CYCLE_1)
	s_cmp_gt_i32 s52, s33
	s_cbranch_scc1 .LBB47_3
.LBB47_7:                               ;   Parent Loop BB47_4 Depth=1
                                        ; =>  This Loop Header: Depth=2
                                        ;       Child Loop BB47_10 Depth 3
	v_lshl_add_u32 v38, s52, 5, v0
	v_mov_b64_e32 v[46:47], 0
	v_mov_b64_e32 v[44:45], 0
	;; [unrolled: 1-line block ×4, first 2 shown]
	v_ashrrev_i32_e32 v39, 31, v38
	s_and_not1_b32 vcc_lo, exec_lo, s49
	s_cbranch_vccnz .LBB47_46
; %bb.8:                                ;   in Loop: Header=BB47_7 Depth=2
	v_ashrrev_i32_e32 v37, 31, v36
	v_mad_nc_u64_u32 v[48:49], s18, v36, v[30:31]
	v_sub_nc_u64_e32 v[42:43], s[42:43], v[38:39]
	v_mov_b64_e32 v[44:45], 0
	v_mov_b64_e32 v[46:47], 0
	v_lshl_add_u64 v[40:41], v[36:37], 3, 0x80
	s_mov_b64 s[28:29], 0
	s_mov_b64 s[44:45], 0
	s_delay_alu instid0(VALU_DEP_4) | instskip(NEXT) | instid1(VALU_DEP_2)
	v_cmp_lt_i64_e32 vcc_lo, 0, v[42:43]
	v_mad_nc_u64_u32 v[50:51], s16, v40, v[30:31]
	v_cmp_lt_i64_e64 s4, 16, v[42:43]
	v_mad_u32 v7, s19, v36, v49
	v_mov_b64_e32 v[42:43], 0
	s_delay_alu instid0(VALU_DEP_4) | instskip(NEXT) | instid1(VALU_DEP_3)
	v_mad_u32 v40, s17, v40, v51
	v_mad_u32 v49, s18, v37, v7
	s_delay_alu instid0(VALU_DEP_2)
	v_mad_u32 v51, s16, v41, v40
	v_mov_b64_e32 v[40:41], 0
	s_branch .LBB47_10
.LBB47_9:                               ;   in Loop: Header=BB47_10 Depth=3
	s_wait_xcnt 0x0
	s_or_b32 exec_lo, exec_lo, s5
	s_wait_dscnt 0x0
	s_barrier_signal -1
	s_barrier_wait -1
	ds_load_b128 v[52:55], v60
	ds_load_2addr_b64 v[56:59], v12 offset1:16
	ds_load_b128 v[66:69], v60 offset:4096
	ds_load_b128 v[70:73], v60 offset:16
	;; [unrolled: 1-line block ×3, first 2 shown]
	s_add_nc_u64 s[44:45], s[44:45], 32
	s_add_nc_u64 s[28:29], s[28:29], 0x100
	s_sub_co_i32 s5, s44, 32
	s_delay_alu instid0(SALU_CYCLE_1)
	s_cmp_ge_i32 s5, s48
	s_wait_dscnt 0x3
	v_fmac_f64_e32 v[46:47], v[56:57], v[52:53]
	v_fmac_f64_e32 v[44:45], v[58:59], v[52:53]
	s_wait_dscnt 0x2
	v_fmac_f64_e32 v[42:43], v[56:57], v[66:67]
	v_fmac_f64_e32 v[40:41], v[58:59], v[66:67]
	ds_load_2addr_b64 v[56:59], v12 offset0:32 offset1:48
	s_wait_dscnt 0x0
	v_fmac_f64_e32 v[46:47], v[56:57], v[54:55]
	v_fmac_f64_e32 v[44:45], v[58:59], v[54:55]
	v_fmac_f64_e32 v[42:43], v[56:57], v[68:69]
	v_fmac_f64_e32 v[40:41], v[58:59], v[68:69]
	ds_load_2addr_b64 v[52:55], v12 offset0:64 offset1:80
	s_wait_dscnt 0x0
	v_fmac_f64_e32 v[46:47], v[52:53], v[70:71]
	v_fmac_f64_e32 v[44:45], v[54:55], v[70:71]
	v_fmac_f64_e32 v[42:43], v[52:53], v[74:75]
	v_fmac_f64_e32 v[40:41], v[54:55], v[74:75]
	ds_load_2addr_b64 v[52:55], v12 offset0:96 offset1:112
	s_wait_dscnt 0x0
	v_fmac_f64_e32 v[46:47], v[52:53], v[72:73]
	v_fmac_f64_e32 v[44:45], v[54:55], v[72:73]
	v_fmac_f64_e32 v[42:43], v[52:53], v[76:77]
	v_fmac_f64_e32 v[40:41], v[54:55], v[76:77]
	ds_load_b128 v[52:55], v60 offset:32
	ds_load_2addr_b64 v[56:59], v12 offset0:128 offset1:144
	ds_load_b128 v[66:69], v60 offset:4128
	ds_load_b128 v[70:73], v60 offset:48
	ds_load_b128 v[74:77], v60 offset:4144
	s_wait_dscnt 0x3
	v_fmac_f64_e32 v[46:47], v[56:57], v[52:53]
	v_fmac_f64_e32 v[44:45], v[58:59], v[52:53]
	s_wait_dscnt 0x2
	v_fmac_f64_e32 v[42:43], v[56:57], v[66:67]
	v_fmac_f64_e32 v[40:41], v[58:59], v[66:67]
	ds_load_2addr_b64 v[56:59], v12 offset0:160 offset1:176
	s_wait_dscnt 0x0
	v_fmac_f64_e32 v[46:47], v[56:57], v[54:55]
	v_fmac_f64_e32 v[44:45], v[58:59], v[54:55]
	v_fmac_f64_e32 v[42:43], v[56:57], v[68:69]
	v_fmac_f64_e32 v[40:41], v[58:59], v[68:69]
	ds_load_2addr_b64 v[52:55], v12 offset0:192 offset1:208
	s_wait_dscnt 0x0
	v_fmac_f64_e32 v[46:47], v[52:53], v[70:71]
	v_fmac_f64_e32 v[44:45], v[54:55], v[70:71]
	v_fmac_f64_e32 v[42:43], v[52:53], v[74:75]
	v_fmac_f64_e32 v[40:41], v[54:55], v[74:75]
	ds_load_2addr_b64 v[52:55], v12 offset0:224 offset1:240
	s_wait_dscnt 0x0
	v_fmac_f64_e32 v[46:47], v[52:53], v[72:73]
	v_fmac_f64_e32 v[44:45], v[54:55], v[72:73]
	v_fmac_f64_e32 v[42:43], v[52:53], v[76:77]
	v_fmac_f64_e32 v[40:41], v[54:55], v[76:77]
	ds_load_b128 v[52:55], v60 offset:64
	ds_load_2addr_b64 v[56:59], v13 offset1:16
	ds_load_b128 v[66:69], v60 offset:4160
	ds_load_b128 v[70:73], v60 offset:80
	ds_load_b128 v[74:77], v60 offset:4176
	s_wait_dscnt 0x3
	v_fmac_f64_e32 v[46:47], v[56:57], v[52:53]
	v_fmac_f64_e32 v[44:45], v[58:59], v[52:53]
	s_wait_dscnt 0x2
	v_fmac_f64_e32 v[42:43], v[56:57], v[66:67]
	v_fmac_f64_e32 v[40:41], v[58:59], v[66:67]
	ds_load_2addr_b64 v[56:59], v13 offset0:32 offset1:48
	s_wait_dscnt 0x0
	v_fmac_f64_e32 v[46:47], v[56:57], v[54:55]
	v_fmac_f64_e32 v[44:45], v[58:59], v[54:55]
	v_fmac_f64_e32 v[42:43], v[56:57], v[68:69]
	v_fmac_f64_e32 v[40:41], v[58:59], v[68:69]
	ds_load_2addr_b64 v[52:55], v13 offset0:64 offset1:80
	s_wait_dscnt 0x0
	v_fmac_f64_e32 v[46:47], v[52:53], v[70:71]
	v_fmac_f64_e32 v[44:45], v[54:55], v[70:71]
	v_fmac_f64_e32 v[42:43], v[52:53], v[74:75]
	v_fmac_f64_e32 v[40:41], v[54:55], v[74:75]
	ds_load_2addr_b64 v[52:55], v13 offset0:96 offset1:112
	s_wait_dscnt 0x0
	v_fmac_f64_e32 v[46:47], v[52:53], v[72:73]
	v_fmac_f64_e32 v[44:45], v[54:55], v[72:73]
	v_fmac_f64_e32 v[42:43], v[52:53], v[76:77]
	v_fmac_f64_e32 v[40:41], v[54:55], v[76:77]
	ds_load_b128 v[52:55], v60 offset:96
	ds_load_2addr_b64 v[56:59], v13 offset0:128 offset1:144
	ds_load_b128 v[66:69], v60 offset:4192
	ds_load_b128 v[70:73], v60 offset:112
	ds_load_b128 v[74:77], v60 offset:4208
	s_wait_dscnt 0x3
	v_fmac_f64_e32 v[46:47], v[56:57], v[52:53]
	v_fmac_f64_e32 v[44:45], v[58:59], v[52:53]
	s_wait_dscnt 0x2
	v_fmac_f64_e32 v[42:43], v[56:57], v[66:67]
	v_fmac_f64_e32 v[40:41], v[58:59], v[66:67]
	ds_load_2addr_b64 v[56:59], v13 offset0:160 offset1:176
	s_wait_dscnt 0x0
	v_fmac_f64_e32 v[46:47], v[56:57], v[54:55]
	v_fmac_f64_e32 v[44:45], v[58:59], v[54:55]
	v_fmac_f64_e32 v[42:43], v[56:57], v[68:69]
	v_fmac_f64_e32 v[40:41], v[58:59], v[68:69]
	ds_load_2addr_b64 v[52:55], v13 offset0:192 offset1:208
	s_wait_dscnt 0x0
	v_fmac_f64_e32 v[46:47], v[52:53], v[70:71]
	v_fmac_f64_e32 v[44:45], v[54:55], v[70:71]
	v_fmac_f64_e32 v[42:43], v[52:53], v[74:75]
	v_fmac_f64_e32 v[40:41], v[54:55], v[74:75]
	ds_load_2addr_b64 v[52:55], v13 offset0:224 offset1:240
	s_wait_dscnt 0x0
	v_fmac_f64_e32 v[46:47], v[52:53], v[72:73]
	v_fmac_f64_e32 v[44:45], v[54:55], v[72:73]
	v_fmac_f64_e32 v[42:43], v[52:53], v[76:77]
	v_fmac_f64_e32 v[40:41], v[54:55], v[76:77]
	ds_load_b128 v[52:55], v60 offset:128
	ds_load_2addr_b64 v[56:59], v64 offset1:16
	ds_load_b128 v[66:69], v60 offset:4224
	ds_load_b128 v[70:73], v60 offset:144
	ds_load_b128 v[74:77], v60 offset:4240
	;; [unrolled: 58-line block ×3, first 2 shown]
	s_wait_dscnt 0x3
	v_fmac_f64_e32 v[46:47], v[56:57], v[52:53]
	v_fmac_f64_e32 v[44:45], v[58:59], v[52:53]
	s_wait_dscnt 0x2
	v_fmac_f64_e32 v[42:43], v[56:57], v[66:67]
	v_fmac_f64_e32 v[40:41], v[58:59], v[66:67]
	ds_load_2addr_b64 v[56:59], v65 offset0:32 offset1:48
	s_wait_dscnt 0x0
	v_fmac_f64_e32 v[46:47], v[56:57], v[54:55]
	v_fmac_f64_e32 v[44:45], v[58:59], v[54:55]
	v_fmac_f64_e32 v[42:43], v[56:57], v[68:69]
	v_fmac_f64_e32 v[40:41], v[58:59], v[68:69]
	ds_load_2addr_b64 v[52:55], v65 offset0:64 offset1:80
	s_wait_dscnt 0x0
	v_fmac_f64_e32 v[46:47], v[52:53], v[70:71]
	v_fmac_f64_e32 v[44:45], v[54:55], v[70:71]
	;; [unrolled: 6-line block ×3, first 2 shown]
	v_fmac_f64_e32 v[42:43], v[52:53], v[76:77]
	v_fmac_f64_e32 v[40:41], v[54:55], v[76:77]
	ds_load_b128 v[52:55], v60 offset:224
	ds_load_2addr_b64 v[56:59], v65 offset0:128 offset1:144
	ds_load_b128 v[66:69], v60 offset:4320
	ds_load_b128 v[70:73], v60 offset:240
	;; [unrolled: 1-line block ×3, first 2 shown]
	s_wait_dscnt 0x3
	v_fmac_f64_e32 v[46:47], v[56:57], v[52:53]
	v_fmac_f64_e32 v[44:45], v[58:59], v[52:53]
	s_wait_dscnt 0x2
	v_fmac_f64_e32 v[42:43], v[56:57], v[66:67]
	v_fmac_f64_e32 v[40:41], v[58:59], v[66:67]
	ds_load_2addr_b64 v[56:59], v65 offset0:160 offset1:176
	s_wait_dscnt 0x0
	v_fmac_f64_e32 v[46:47], v[56:57], v[54:55]
	v_fmac_f64_e32 v[44:45], v[58:59], v[54:55]
	v_fmac_f64_e32 v[42:43], v[56:57], v[68:69]
	v_fmac_f64_e32 v[40:41], v[58:59], v[68:69]
	ds_load_2addr_b64 v[52:55], v65 offset0:192 offset1:208
	s_wait_dscnt 0x0
	v_fmac_f64_e32 v[46:47], v[52:53], v[70:71]
	v_fmac_f64_e32 v[44:45], v[54:55], v[70:71]
	;; [unrolled: 1-line block ×4, first 2 shown]
	ds_load_2addr_b64 v[52:55], v65 offset0:224 offset1:240
	s_wait_dscnt 0x0
	s_barrier_signal -1
	s_barrier_wait -1
	v_fmac_f64_e32 v[46:47], v[52:53], v[72:73]
	v_fmac_f64_e32 v[44:45], v[54:55], v[72:73]
	;; [unrolled: 1-line block ×4, first 2 shown]
	s_cbranch_scc1 .LBB47_46
.LBB47_10:                              ;   Parent Loop BB47_4 Depth=1
                                        ;     Parent Loop BB47_7 Depth=2
                                        ; =>    This Inner Loop Header: Depth=3
	v_add_nc_u64_e32 v[56:57], s[44:45], v[0:1]
	v_cmp_eq_u64_e64 s7, s[44:45], v[18:19]
	v_add_nc_u64_e32 v[52:53], s[28:29], v[34:35]
                                        ; implicit-def: $vgpr58_vgpr59
	s_delay_alu instid0(VALU_DEP_3) | instskip(SKIP_3) | instid1(SALU_CYCLE_1)
	v_cmp_le_i64_e64 s6, s[40:41], v[56:57]
	v_cmp_gt_i64_e64 s5, v[56:57], v[4:5]
	s_and_b32 s53, s50, s7
	s_or_b32 s7, s6, s5
	s_or_b32 s7, s7, s53
	s_delay_alu instid0(SALU_CYCLE_1) | instskip(NEXT) | instid1(SALU_CYCLE_1)
	s_nor_b32 s7, s0, s7
	s_and_saveexec_b32 s8, s7
	s_delay_alu instid0(SALU_CYCLE_1)
	s_xor_b32 s7, exec_lo, s8
	s_cbranch_execz .LBB47_12
; %bb.11:                               ;   in Loop: Header=BB47_10 Depth=3
	global_load_b64 v[58:59], v[52:53], off
.LBB47_12:                              ;   in Loop: Header=BB47_10 Depth=3
	s_wait_xcnt 0x0
	s_and_not1_saveexec_b32 s7, s7
	s_cbranch_execz .LBB47_14
; %bb.13:                               ;   in Loop: Header=BB47_10 Depth=3
	v_cndmask_b32_e64 v7, 0, 0x3ff00000, s53
	s_wait_loadcnt 0x0
	s_delay_alu instid0(VALU_DEP_1)
	v_mov_b64_e32 v[58:59], v[6:7]
.LBB47_14:                              ;   in Loop: Header=BB47_10 Depth=3
	s_or_b32 exec_lo, exec_lo, s7
	v_cmp_eq_u64_e64 s7, s[44:45], v[22:23]
	v_cmp_lt_i64_e64 s8, v[16:17], v[56:57]
	v_add_nc_u64_e32 v[54:55], s[28:29], v[32:33]
	s_wait_loadcnt 0x0
	ds_store_b64 v61, v[58:59]
	s_and_b32 s7, s50, s7
	s_or_b32 s6, s6, s8
	s_delay_alu instid0(SALU_CYCLE_1) | instskip(NEXT) | instid1(SALU_CYCLE_1)
	s_or_b32 s6, s6, s7
	s_nor_b32 s6, s3, s6
	s_delay_alu instid0(SALU_CYCLE_1) | instskip(NEXT) | instid1(SALU_CYCLE_1)
	s_and_saveexec_b32 s8, s6
	s_xor_b32 s6, exec_lo, s8
	s_cbranch_execz .LBB47_16
; %bb.15:                               ;   in Loop: Header=BB47_10 Depth=3
	global_load_b64 v[58:59], v[54:55], off
	s_wait_loadcnt 0x0
	ds_store_b64 v61, v[58:59] offset:128
.LBB47_16:                              ;   in Loop: Header=BB47_10 Depth=3
	s_wait_xcnt 0x0
	s_and_not1_saveexec_b32 s6, s6
	s_cbranch_execz .LBB47_22
; %bb.17:                               ;   in Loop: Header=BB47_10 Depth=3
	s_xor_b32 s7, s7, -1
	s_delay_alu instid0(SALU_CYCLE_1) | instskip(NEXT) | instid1(SALU_CYCLE_1)
	s_and_saveexec_b32 s8, s7
	s_xor_b32 s7, exec_lo, s8
; %bb.18:                               ;   in Loop: Header=BB47_10 Depth=3
	ds_store_b64 v61, v[8:9] offset:128
; %bb.19:                               ;   in Loop: Header=BB47_10 Depth=3
	s_and_not1_saveexec_b32 s7, s7
; %bb.20:                               ;   in Loop: Header=BB47_10 Depth=3
	ds_store_b64 v61, v[10:11] offset:128
; %bb.21:                               ;   in Loop: Header=BB47_10 Depth=3
	s_or_b32 exec_lo, exec_lo, s7
.LBB47_22:                              ;   in Loop: Header=BB47_10 Depth=3
	s_delay_alu instid0(SALU_CYCLE_1) | instskip(SKIP_2) | instid1(VALU_DEP_2)
	s_or_b32 exec_lo, exec_lo, s6
	v_add_nc_u64_e32 v[56:57], 16, v[56:57]
	v_cmp_eq_u64_e64 s7, s[44:45], v[24:25]
	v_cmp_le_i64_e64 s6, s[40:41], v[56:57]
	v_cmp_gt_i64_e64 s8, v[56:57], v[4:5]
	s_and_b32 s7, s50, s7
                                        ; implicit-def: $vgpr56_vgpr57
	s_or_b32 s8, s6, s8
	s_delay_alu instid0(SALU_CYCLE_1) | instskip(NEXT) | instid1(SALU_CYCLE_1)
	s_or_b32 s8, s8, s7
	s_nor_b32 s8, s0, s8
	s_delay_alu instid0(SALU_CYCLE_1) | instskip(NEXT) | instid1(SALU_CYCLE_1)
	s_and_saveexec_b32 s54, s8
	s_xor_b32 s8, exec_lo, s54
	s_cbranch_execz .LBB47_24
; %bb.23:                               ;   in Loop: Header=BB47_10 Depth=3
	global_load_b64 v[56:57], v[52:53], off offset:128
.LBB47_24:                              ;   in Loop: Header=BB47_10 Depth=3
	s_wait_xcnt 0x0
	s_and_not1_saveexec_b32 s8, s8
	s_cbranch_execz .LBB47_26
; %bb.25:                               ;   in Loop: Header=BB47_10 Depth=3
	v_cndmask_b32_e64 v7, 0, 0x3ff00000, s7
	s_wait_loadcnt 0x0
	s_delay_alu instid0(VALU_DEP_1)
	v_mov_b64_e32 v[56:57], v[6:7]
.LBB47_26:                              ;   in Loop: Header=BB47_10 Depth=3
	s_or_b32 exec_lo, exec_lo, s8
	s_or_b32 s5, s6, s5
	s_wait_loadcnt 0x0
	ds_store_b64 v61, v[56:57] offset:4096
	s_or_b32 s5, s5, s53
	s_delay_alu instid0(SALU_CYCLE_1) | instskip(NEXT) | instid1(SALU_CYCLE_1)
	s_nor_b32 s5, s3, s5
	s_and_saveexec_b32 s6, s5
	s_delay_alu instid0(SALU_CYCLE_1)
	s_xor_b32 s5, exec_lo, s6
	s_cbranch_execz .LBB47_28
; %bb.27:                               ;   in Loop: Header=BB47_10 Depth=3
	global_load_b64 v[52:53], v[54:55], off offset:128
	s_wait_loadcnt 0x0
	ds_store_b64 v61, v[52:53] offset:4224
.LBB47_28:                              ;   in Loop: Header=BB47_10 Depth=3
	s_wait_xcnt 0x0
	s_and_not1_saveexec_b32 s5, s5
	s_cbranch_execz .LBB47_34
; %bb.29:                               ;   in Loop: Header=BB47_10 Depth=3
	s_xor_b32 s6, s53, -1
	s_delay_alu instid0(SALU_CYCLE_1) | instskip(NEXT) | instid1(SALU_CYCLE_1)
	s_and_saveexec_b32 s7, s6
	s_xor_b32 s6, exec_lo, s7
; %bb.30:                               ;   in Loop: Header=BB47_10 Depth=3
	ds_store_b64 v61, v[8:9] offset:4224
; %bb.31:                               ;   in Loop: Header=BB47_10 Depth=3
	s_and_not1_saveexec_b32 s6, s6
; %bb.32:                               ;   in Loop: Header=BB47_10 Depth=3
	ds_store_b64 v61, v[10:11] offset:4224
; %bb.33:                               ;   in Loop: Header=BB47_10 Depth=3
	s_or_b32 exec_lo, exec_lo, s6
.LBB47_34:                              ;   in Loop: Header=BB47_10 Depth=3
	s_delay_alu instid0(SALU_CYCLE_1) | instskip(SKIP_3) | instid1(VALU_DEP_3)
	s_or_b32 exec_lo, exec_lo, s5
	v_add_nc_u64_e32 v[54:55], s[44:45], v[2:3]
	v_add_nc_u64_e32 v[52:53], s[28:29], v[48:49]
	v_mov_b64_e32 v[56:57], 0
	v_cmp_gt_i64_e64 s5, s[40:41], v[54:55]
	s_and_b32 s7, vcc_lo, s5
	s_delay_alu instid0(SALU_CYCLE_1)
	s_and_saveexec_b32 s6, s7
	s_cbranch_execz .LBB47_36
; %bb.35:                               ;   in Loop: Header=BB47_10 Depth=3
	global_load_b64 v[56:57], v[52:53], off offset:-128
.LBB47_36:                              ;   in Loop: Header=BB47_10 Depth=3
	s_wait_xcnt 0x0
	s_or_b32 exec_lo, exec_lo, s6
	v_cmp_gt_i64_e64 s6, s[20:21], v[54:55]
	s_wait_loadcnt 0x0
	ds_store_b64 v62, v[56:57]
	s_and_b32 s7, vcc_lo, s6
	s_delay_alu instid0(SALU_CYCLE_1) | instskip(NEXT) | instid1(SALU_CYCLE_1)
	s_xor_b32 s7, s7, -1
	s_and_saveexec_b32 s8, s7
	s_delay_alu instid0(SALU_CYCLE_1)
	s_xor_b32 s7, exec_lo, s8
; %bb.37:                               ;   in Loop: Header=BB47_10 Depth=3
	ds_store_b64 v62, v[8:9] offset:128
                                        ; implicit-def: $vgpr52_vgpr53
; %bb.38:                               ;   in Loop: Header=BB47_10 Depth=3
	s_and_not1_saveexec_b32 s7, s7
	s_cbranch_execz .LBB47_40
; %bb.39:                               ;   in Loop: Header=BB47_10 Depth=3
	global_load_b64 v[52:53], v[52:53], off
	s_wait_loadcnt 0x0
	ds_store_b64 v62, v[52:53] offset:128
.LBB47_40:                              ;   in Loop: Header=BB47_10 Depth=3
	s_wait_xcnt 0x0
	s_or_b32 exec_lo, exec_lo, s7
	v_add_nc_u64_e32 v[52:53], s[28:29], v[50:51]
	v_mov_b64_e32 v[54:55], 0
	s_and_b32 s7, s4, s5
	s_delay_alu instid0(SALU_CYCLE_1)
	s_and_saveexec_b32 s5, s7
	s_cbranch_execz .LBB47_42
; %bb.41:                               ;   in Loop: Header=BB47_10 Depth=3
	global_load_b64 v[54:55], v[52:53], off offset:-128
.LBB47_42:                              ;   in Loop: Header=BB47_10 Depth=3
	s_wait_xcnt 0x0
	s_or_b32 exec_lo, exec_lo, s5
	s_and_b32 s5, s4, s6
	s_wait_loadcnt 0x0
	ds_store_b64 v62, v[54:55] offset:4096
	s_xor_b32 s5, s5, -1
	s_delay_alu instid0(SALU_CYCLE_1) | instskip(NEXT) | instid1(SALU_CYCLE_1)
	s_and_saveexec_b32 s6, s5
	s_xor_b32 s5, exec_lo, s6
; %bb.43:                               ;   in Loop: Header=BB47_10 Depth=3
	ds_store_b64 v62, v[8:9] offset:4224
                                        ; implicit-def: $vgpr52_vgpr53
; %bb.44:                               ;   in Loop: Header=BB47_10 Depth=3
	s_and_not1_saveexec_b32 s5, s5
	s_cbranch_execz .LBB47_9
; %bb.45:                               ;   in Loop: Header=BB47_10 Depth=3
	global_load_b64 v[52:53], v[52:53], off
	s_wait_loadcnt 0x0
	ds_store_b64 v62, v[52:53] offset:4224
	s_branch .LBB47_9
.LBB47_46:                              ;   in Loop: Header=BB47_7 Depth=2
	s_delay_alu instid0(VALU_DEP_1) | instskip(SKIP_2) | instid1(VALU_DEP_2)
	v_mul_u64_e32 v[48:49], s[24:25], v[38:39]
	v_cmp_gt_i32_e32 vcc_lo, s30, v38
	s_and_b32 s5, s1, vcc_lo
	v_lshl_add_u64 v[48:49], v[48:49], 3, s[22:23]
	s_and_saveexec_b32 s4, s5
	s_cbranch_execz .LBB47_48
; %bb.47:                               ;   in Loop: Header=BB47_7 Depth=2
	s_delay_alu instid0(VALU_DEP_1)
	v_lshl_add_u64 v[50:51], v[4:5], 3, v[48:49]
	global_load_b64 v[52:53], v[50:51], off
	s_wait_loadcnt 0x0
	v_fmac_f64_e32 v[52:53], s[36:37], v[46:47]
	global_store_b64 v[50:51], v[52:53], off
.LBB47_48:                              ;   in Loop: Header=BB47_7 Depth=2
	s_wait_xcnt 0x0
	s_or_b32 exec_lo, exec_lo, s4
	s_and_b32 s5, s2, vcc_lo
	s_delay_alu instid0(SALU_CYCLE_1)
	s_and_saveexec_b32 s4, s5
	s_cbranch_execz .LBB47_50
; %bb.49:                               ;   in Loop: Header=BB47_7 Depth=2
	v_lshl_add_u64 v[46:47], v[14:15], 3, v[48:49]
	global_load_b64 v[48:49], v[46:47], off
	s_wait_loadcnt 0x0
	v_fmac_f64_e32 v[48:49], s[36:37], v[44:45]
	global_store_b64 v[46:47], v[48:49], off
.LBB47_50:                              ;   in Loop: Header=BB47_7 Depth=2
	s_wait_xcnt 0x0
	s_or_b32 exec_lo, exec_lo, s4
	v_add_nc_u32_e32 v38, 16, v38
	s_delay_alu instid0(VALU_DEP_1) | instskip(SKIP_1) | instid1(VALU_DEP_2)
	v_ashrrev_i32_e32 v39, 31, v38
	v_cmp_gt_i32_e32 vcc_lo, s30, v38
	v_mul_u64_e32 v[44:45], s[24:25], v[38:39]
	s_and_b32 s5, s1, vcc_lo
	s_delay_alu instid0(VALU_DEP_1)
	v_lshl_add_u64 v[38:39], v[44:45], 3, s[22:23]
	s_and_saveexec_b32 s4, s5
	s_cbranch_execz .LBB47_52
; %bb.51:                               ;   in Loop: Header=BB47_7 Depth=2
	s_delay_alu instid0(VALU_DEP_1)
	v_lshl_add_u64 v[44:45], v[4:5], 3, v[38:39]
	global_load_b64 v[46:47], v[44:45], off
	s_wait_loadcnt 0x0
	v_fmac_f64_e32 v[46:47], s[36:37], v[42:43]
	global_store_b64 v[44:45], v[46:47], off
.LBB47_52:                              ;   in Loop: Header=BB47_7 Depth=2
	s_wait_xcnt 0x0
	s_or_b32 exec_lo, exec_lo, s4
	s_and_b32 s5, s2, vcc_lo
	s_delay_alu instid0(SALU_CYCLE_1)
	s_and_saveexec_b32 s4, s5
	s_cbranch_execz .LBB47_6
; %bb.53:                               ;   in Loop: Header=BB47_7 Depth=2
	v_lshl_add_u64 v[38:39], v[14:15], 3, v[38:39]
	global_load_b64 v[42:43], v[38:39], off
	s_wait_loadcnt 0x0
	v_fmac_f64_e32 v[42:43], s[36:37], v[40:41]
	global_store_b64 v[38:39], v[42:43], off
	s_branch .LBB47_6
.LBB47_54:
	s_sendmsg sendmsg(MSG_DEALLOC_VGPRS)
	s_endpgm
	.section	.rodata,"a",@progbits
	.p2align	6, 0x0
	.amdhsa_kernel _ZL30rocblas_trmm_outofplace_kernelIdLi32ELi2ELb1ELb1ELb1ELb1EdKddEv17rocblas_diagonal_iiT6_lPT7_lllS4_lllPT8_llli
		.amdhsa_group_segment_fixed_size 16384
		.amdhsa_private_segment_fixed_size 0
		.amdhsa_kernarg_size 392
		.amdhsa_user_sgpr_count 2
		.amdhsa_user_sgpr_dispatch_ptr 0
		.amdhsa_user_sgpr_queue_ptr 0
		.amdhsa_user_sgpr_kernarg_segment_ptr 1
		.amdhsa_user_sgpr_dispatch_id 0
		.amdhsa_user_sgpr_kernarg_preload_length 0
		.amdhsa_user_sgpr_kernarg_preload_offset 0
		.amdhsa_user_sgpr_private_segment_size 0
		.amdhsa_wavefront_size32 1
		.amdhsa_uses_dynamic_stack 0
		.amdhsa_enable_private_segment 0
		.amdhsa_system_sgpr_workgroup_id_x 1
		.amdhsa_system_sgpr_workgroup_id_y 1
		.amdhsa_system_sgpr_workgroup_id_z 1
		.amdhsa_system_sgpr_workgroup_info 0
		.amdhsa_system_vgpr_workitem_id 1
		.amdhsa_next_free_vgpr 78
		.amdhsa_next_free_sgpr 55
		.amdhsa_named_barrier_count 0
		.amdhsa_reserve_vcc 1
		.amdhsa_float_round_mode_32 0
		.amdhsa_float_round_mode_16_64 0
		.amdhsa_float_denorm_mode_32 3
		.amdhsa_float_denorm_mode_16_64 3
		.amdhsa_fp16_overflow 0
		.amdhsa_memory_ordered 1
		.amdhsa_forward_progress 1
		.amdhsa_inst_pref_size 26
		.amdhsa_round_robin_scheduling 0
		.amdhsa_exception_fp_ieee_invalid_op 0
		.amdhsa_exception_fp_denorm_src 0
		.amdhsa_exception_fp_ieee_div_zero 0
		.amdhsa_exception_fp_ieee_overflow 0
		.amdhsa_exception_fp_ieee_underflow 0
		.amdhsa_exception_fp_ieee_inexact 0
		.amdhsa_exception_int_div_zero 0
	.end_amdhsa_kernel
	.section	.text._ZL30rocblas_trmm_outofplace_kernelIdLi32ELi2ELb1ELb1ELb1ELb1EdKddEv17rocblas_diagonal_iiT6_lPT7_lllS4_lllPT8_llli,"axG",@progbits,_ZL30rocblas_trmm_outofplace_kernelIdLi32ELi2ELb1ELb1ELb1ELb1EdKddEv17rocblas_diagonal_iiT6_lPT7_lllS4_lllPT8_llli,comdat
.Lfunc_end47:
	.size	_ZL30rocblas_trmm_outofplace_kernelIdLi32ELi2ELb1ELb1ELb1ELb1EdKddEv17rocblas_diagonal_iiT6_lPT7_lllS4_lllPT8_llli, .Lfunc_end47-_ZL30rocblas_trmm_outofplace_kernelIdLi32ELi2ELb1ELb1ELb1ELb1EdKddEv17rocblas_diagonal_iiT6_lPT7_lllS4_lllPT8_llli
                                        ; -- End function
	.set _ZL30rocblas_trmm_outofplace_kernelIdLi32ELi2ELb1ELb1ELb1ELb1EdKddEv17rocblas_diagonal_iiT6_lPT7_lllS4_lllPT8_llli.num_vgpr, 78
	.set _ZL30rocblas_trmm_outofplace_kernelIdLi32ELi2ELb1ELb1ELb1ELb1EdKddEv17rocblas_diagonal_iiT6_lPT7_lllS4_lllPT8_llli.num_agpr, 0
	.set _ZL30rocblas_trmm_outofplace_kernelIdLi32ELi2ELb1ELb1ELb1ELb1EdKddEv17rocblas_diagonal_iiT6_lPT7_lllS4_lllPT8_llli.numbered_sgpr, 55
	.set _ZL30rocblas_trmm_outofplace_kernelIdLi32ELi2ELb1ELb1ELb1ELb1EdKddEv17rocblas_diagonal_iiT6_lPT7_lllS4_lllPT8_llli.num_named_barrier, 0
	.set _ZL30rocblas_trmm_outofplace_kernelIdLi32ELi2ELb1ELb1ELb1ELb1EdKddEv17rocblas_diagonal_iiT6_lPT7_lllS4_lllPT8_llli.private_seg_size, 0
	.set _ZL30rocblas_trmm_outofplace_kernelIdLi32ELi2ELb1ELb1ELb1ELb1EdKddEv17rocblas_diagonal_iiT6_lPT7_lllS4_lllPT8_llli.uses_vcc, 1
	.set _ZL30rocblas_trmm_outofplace_kernelIdLi32ELi2ELb1ELb1ELb1ELb1EdKddEv17rocblas_diagonal_iiT6_lPT7_lllS4_lllPT8_llli.uses_flat_scratch, 0
	.set _ZL30rocblas_trmm_outofplace_kernelIdLi32ELi2ELb1ELb1ELb1ELb1EdKddEv17rocblas_diagonal_iiT6_lPT7_lllS4_lllPT8_llli.has_dyn_sized_stack, 0
	.set _ZL30rocblas_trmm_outofplace_kernelIdLi32ELi2ELb1ELb1ELb1ELb1EdKddEv17rocblas_diagonal_iiT6_lPT7_lllS4_lllPT8_llli.has_recursion, 0
	.set _ZL30rocblas_trmm_outofplace_kernelIdLi32ELi2ELb1ELb1ELb1ELb1EdKddEv17rocblas_diagonal_iiT6_lPT7_lllS4_lllPT8_llli.has_indirect_call, 0
	.section	.AMDGPU.csdata,"",@progbits
; Kernel info:
; codeLenInByte = 3220
; TotalNumSgprs: 57
; NumVgprs: 78
; ScratchSize: 0
; MemoryBound: 0
; FloatMode: 240
; IeeeMode: 1
; LDSByteSize: 16384 bytes/workgroup (compile time only)
; SGPRBlocks: 0
; VGPRBlocks: 4
; NumSGPRsForWavesPerEU: 57
; NumVGPRsForWavesPerEU: 78
; NamedBarCnt: 0
; Occupancy: 12
; WaveLimiterHint : 0
; COMPUTE_PGM_RSRC2:SCRATCH_EN: 0
; COMPUTE_PGM_RSRC2:USER_SGPR: 2
; COMPUTE_PGM_RSRC2:TRAP_HANDLER: 0
; COMPUTE_PGM_RSRC2:TGID_X_EN: 1
; COMPUTE_PGM_RSRC2:TGID_Y_EN: 1
; COMPUTE_PGM_RSRC2:TGID_Z_EN: 1
; COMPUTE_PGM_RSRC2:TIDIG_COMP_CNT: 1
	.section	.text._ZL30rocblas_trmm_outofplace_kernelIdLi32ELi2ELb0ELb0ELb0ELb0EPKdS0_dEv17rocblas_diagonal_iiT6_lPT7_lllS5_lllPT8_llli,"axG",@progbits,_ZL30rocblas_trmm_outofplace_kernelIdLi32ELi2ELb0ELb0ELb0ELb0EPKdS0_dEv17rocblas_diagonal_iiT6_lPT7_lllS5_lllPT8_llli,comdat
	.globl	_ZL30rocblas_trmm_outofplace_kernelIdLi32ELi2ELb0ELb0ELb0ELb0EPKdS0_dEv17rocblas_diagonal_iiT6_lPT7_lllS5_lllPT8_llli ; -- Begin function _ZL30rocblas_trmm_outofplace_kernelIdLi32ELi2ELb0ELb0ELb0ELb0EPKdS0_dEv17rocblas_diagonal_iiT6_lPT7_lllS5_lllPT8_llli
	.p2align	8
	.type	_ZL30rocblas_trmm_outofplace_kernelIdLi32ELi2ELb0ELb0ELb0ELb0EPKdS0_dEv17rocblas_diagonal_iiT6_lPT7_lllS5_lllPT8_llli,@function
_ZL30rocblas_trmm_outofplace_kernelIdLi32ELi2ELb0ELb0ELb0ELb0EPKdS0_dEv17rocblas_diagonal_iiT6_lPT7_lllS5_lllPT8_llli: ; @_ZL30rocblas_trmm_outofplace_kernelIdLi32ELi2ELb0ELb0ELb0ELb0EPKdS0_dEv17rocblas_diagonal_iiT6_lPT7_lllS5_lllPT8_llli
; %bb.0:
	s_load_b32 s11, s[0:1], 0x80
	s_bfe_u32 s2, ttmp6, 0x40014
	s_lshr_b32 s3, ttmp7, 16
	s_add_co_i32 s2, s2, 1
	s_bfe_u32 s5, ttmp6, 0x40008
	s_mul_i32 s4, s3, s2
	s_getreg_b32 s2, hwreg(HW_REG_IB_STS2, 6, 4)
	s_add_co_i32 s5, s5, s4
	s_cmp_eq_u32 s2, 0
	s_mov_b32 s35, 0
	s_cselect_b32 s34, s3, s5
	s_wait_kmcnt 0x0
	s_cmp_ge_u32 s34, s11
	s_cbranch_scc1 .LBB48_56
; %bb.1:
	s_clause 0x3
	s_load_b96 s[8:10], s[0:1], 0x0
	s_load_b512 s[12:27], s[0:1], 0x10
	s_load_b128 s[28:31], s[0:1], 0x70
	s_load_b256 s[36:43], s[0:1], 0x50
	s_bfe_u32 s4, ttmp6, 0x4000c
	s_bfe_u32 s6, ttmp6, 0x40010
	s_add_co_i32 s4, s4, 1
	s_and_b32 s3, ttmp6, 15
	s_and_b32 s5, ttmp7, 0xffff
	s_add_nc_u64 s[44:45], s[0:1], 0x88
	s_add_co_i32 s6, s6, 1
	s_wait_xcnt 0x0
	s_mul_i32 s0, ttmp9, s4
	s_bfe_u32 s7, ttmp6, 0x40004
	s_mul_i32 s1, s5, s6
	s_add_co_i32 s3, s3, s0
	s_add_co_i32 s7, s7, s1
	v_bfe_u32 v56, v0, 10, 10
	v_and_b32_e32 v6, 0x3ff, v0
	v_mov_b64_e32 v[8:9], 0
	v_mov_b64_e32 v[10:11], 1.0
	s_wait_kmcnt 0x0
	s_add_co_i32 s0, s10, -1
	v_dual_lshlrev_b32 v57, 8, v56 :: v_dual_lshlrev_b32 v0, 3, v6
	s_ashr_i32 s1, s0, 31
	s_delay_alu instid0(SALU_CYCLE_1) | instskip(NEXT) | instid1(SALU_CYCLE_1)
	s_lshr_b32 s1, s1, 27
	s_add_co_i32 s4, s0, s1
	s_lshl_b64 s[0:1], s[42:43], 3
	s_ashr_i32 s33, s4, 5
	s_cmp_eq_u32 s2, 0
	v_or_b32_e32 v59, 0x2000, v0
	s_cselect_b32 s2, ttmp9, s3
	v_add_nc_u32_e32 v58, v57, v0
	v_lshl_add_u32 v0, s2, 5, v6
	s_cselect_b32 s54, s5, s7
	s_mov_b32 s2, s9
	s_cmp_le_i32 s54, s33
	s_delay_alu instid0(VALU_DEP_1)
	v_dual_add_nc_u32 v60, v59, v57 :: v_dual_ashrrev_i32 v1, 31, v0
	v_add_nc_u32_e32 v2, 16, v0
	s_cselect_b32 s55, -1, 0
	s_cmp_eq_u32 s8, 0x84
	s_add_nc_u64 s[40:41], s[40:41], s[0:1]
	s_cselect_b32 s56, -1, 0
	s_ashr_i32 s3, s9, 31
	s_lshl_b64 s[4:5], s[26:27], 3
	v_sub_nc_u64_e32 v[4:5], s[2:3], v[0:1]
	s_lshl_b32 s6, s54, 5
	s_add_nc_u64 s[4:5], s[24:25], s[4:5]
	v_cmp_gt_i32_e64 s0, s9, v0
	v_cmp_gt_i32_e64 s1, s9, v2
	v_dual_ashrrev_i32 v3, 31, v2 :: v_dual_add_nc_u32 v62, s6, v56
	s_delay_alu instid0(VALU_DEP_4)
	v_cmp_gt_i64_e64 s2, 1, v[4:5]
	v_cmp_gt_i64_e64 s3, 17, v[4:5]
	v_dual_mov_b32 v6, 0 :: v_dual_add_nc_u32 v61, s6, v6
	v_lshl_add_u64 v[4:5], v[0:1], 3, s[4:5]
	v_add_nc_u32_e32 v63, 0x800, v59
	v_add_nc_u32_e32 v64, 0x1000, v59
	;; [unrolled: 1-line block ×3, first 2 shown]
	s_mov_b32 s42, s10
	s_ashr_i32 s43, s10, 31
	s_lshl_b64 s[4:5], s[18:19], 3
	s_lshl_b64 s[46:47], s[36:37], 8
	s_add_nc_u64 s[48:49], s[42:43], -16
	s_lshl_b64 s[24:25], s[36:37], 3
	s_lshl_b64 s[26:27], s[38:39], 3
	s_add_nc_u64 s[16:17], s[16:17], s[4:5]
	s_lshl_b64 s[18:19], s[22:23], 3
	s_lshl_b64 s[22:23], s[20:21], 3
	s_branch .LBB48_4
.LBB48_2:                               ;   in Loop: Header=BB48_4 Depth=1
	s_add_co_i32 s34, s34, 0x10000
	s_delay_alu instid0(SALU_CYCLE_1)
	s_cmp_ge_u32 s34, s11
	s_cselect_b32 s4, -1, 0
.LBB48_3:                               ;   in Loop: Header=BB48_4 Depth=1
	s_delay_alu instid0(SALU_CYCLE_1)
	s_and_b32 vcc_lo, exec_lo, s4
	s_cbranch_vccnz .LBB48_56
.LBB48_4:                               ; =>This Loop Header: Depth=1
                                        ;     Child Loop BB48_8 Depth 2
                                        ;       Child Loop BB48_11 Depth 3
	s_mul_u64 s[4:5], s[14:15], s[34:35]
	s_delay_alu instid0(SALU_CYCLE_1) | instskip(NEXT) | instid1(SALU_CYCLE_1)
	s_lshl_b64 s[4:5], s[4:5], 3
	s_add_nc_u64 s[4:5], s[12:13], s[4:5]
	global_load_b64 v[12:13], v6, s[4:5]
	s_wait_xcnt 0x0
	s_mov_b32 s4, -1
	s_wait_loadcnt 0x0
	v_cmp_eq_f64_e32 vcc_lo, 0, v[12:13]
	s_cbranch_vccnz .LBB48_3
; %bb.5:                                ;   in Loop: Header=BB48_4 Depth=1
	s_and_not1_b32 vcc_lo, exec_lo, s55
	s_cbranch_vccnz .LBB48_2
; %bb.6:                                ;   in Loop: Header=BB48_4 Depth=1
	s_load_b32 s57, s[44:45], 0x4
	v_mad_nc_u64_u32 v[14:15], s26, s34, v[4:5]
	s_mul_u64 s[6:7], s[30:31], s[34:35]
	v_dual_mov_b32 v16, v62 :: v_dual_mov_b32 v18, v61
	s_mul_u64 s[4:5], s[18:19], s[34:35]
	s_lshl_b64 s[6:7], s[6:7], 3
	s_add_nc_u64 s[38:39], s[16:17], s[4:5]
	s_add_nc_u64 s[50:51], s[40:41], s[6:7]
	s_mov_b32 s59, s54
	s_delay_alu instid0(VALU_DEP_2)
	v_mad_u32 v15, s27, s34, v15
	s_wait_kmcnt 0x0
	s_lshl_b32 s58, s57, 5
	s_branch .LBB48_8
.LBB48_7:                               ;   in Loop: Header=BB48_8 Depth=2
	s_wait_xcnt 0x0
	s_or_b32 exec_lo, exec_lo, s4
	v_dual_add_nc_u32 v18, s58, v18 :: v_dual_add_nc_u32 v16, s58, v16
	s_add_co_i32 s59, s57, s59
	s_delay_alu instid0(SALU_CYCLE_1)
	s_cmp_gt_i32 s59, s33
	s_cbranch_scc1 .LBB48_2
.LBB48_8:                               ;   Parent Loop BB48_4 Depth=1
                                        ; =>  This Loop Header: Depth=2
                                        ;       Child Loop BB48_11 Depth 3
	s_lshl_b32 s4, s59, 5
	v_ashrrev_i32_e32 v17, 31, v16
	v_dual_add_nc_u32 v20, s4, v56 :: v_dual_ashrrev_i32 v19, 31, v18
	s_sub_co_i32 s60, s10, s4
	s_delay_alu instid0(SALU_CYCLE_1) | instskip(NEXT) | instid1(VALU_DEP_1)
	s_cmp_lt_i32 s60, 1
	v_ashrrev_i32_e32 v21, 31, v20
	s_cbranch_scc1 .LBB48_47
; %bb.9:                                ;   in Loop: Header=BB48_8 Depth=2
	v_lshl_add_u64 v[22:23], v[16:17], 3, 0x80
	v_mad_nc_u64_u32 v[28:29], s24, v16, 0x80
	v_mad_nc_u64_u32 v[32:33], s22, v16, s[38:39]
	v_sub_nc_u64_e32 v[40:41], v[16:17], v[18:19]
	v_add_nc_u64_e32 v[38:39], 16, v[20:21]
	v_mad_nc_u64_u32 v[34:35], s20, v22, s[38:39]
	v_mad_nc_u64_u32 v[36:37], s36, v22, 0x80
	v_lshlrev_b64_e32 v[42:43], 3, v[18:19]
	v_mov_b64_e32 v[26:27], 0
	v_mov_b64_e32 v[30:31], 0
	v_add_nc_u64_e32 v[44:45], 16, v[40:41]
	v_add_nc_u64_e32 v[46:47], -16, v[40:41]
	v_mad_u32 v7, s25, v16, v29
	v_mad_u32 v24, s23, v16, v33
	v_mov_b64_e32 v[48:49], v[14:15]
	v_cmp_le_i32_e64 s4, s10, v20
	v_mad_u32 v25, s21, v22, v35
	v_mad_u32 v22, s37, v22, v37
	s_mov_b64 s[52:53], 0
	v_cmp_le_i64_e32 vcc_lo, s[42:43], v[38:39]
	v_mad_u32 v29, s24, v17, v7
	v_mad_u32 v33, s22, v17, v24
	;; [unrolled: 1-line block ×4, first 2 shown]
	v_mov_b64_e32 v[22:23], 0
	v_mov_b64_e32 v[24:25], 0
	s_branch .LBB48_11
.LBB48_10:                              ;   in Loop: Header=BB48_11 Depth=3
	s_or_b32 exec_lo, exec_lo, s5
	s_wait_dscnt 0x0
	s_barrier_signal -1
	s_barrier_wait -1
	ds_load_b128 v[50:53], v57
	ds_load_2addr_b64 v[66:69], v59 offset1:16
	ds_load_b128 v[70:73], v57 offset:4096
	ds_load_b128 v[74:77], v57 offset:16
	;; [unrolled: 1-line block ×3, first 2 shown]
	v_add_nc_u64_e32 v[48:49], s[46:47], v[48:49]
	v_add_nc_u64_e32 v[34:35], 0x100, v[34:35]
	;; [unrolled: 1-line block ×3, first 2 shown]
	s_add_nc_u64 s[52:53], s[52:53], 32
	s_delay_alu instid0(SALU_CYCLE_1)
	s_cmp_ge_i32 s52, s60
	s_wait_dscnt 0x3
	v_fmac_f64_e32 v[30:31], v[66:67], v[50:51]
	v_fmac_f64_e32 v[26:27], v[68:69], v[50:51]
	s_wait_dscnt 0x2
	v_fmac_f64_e32 v[24:25], v[66:67], v[70:71]
	v_fmac_f64_e32 v[22:23], v[68:69], v[70:71]
	ds_load_2addr_b64 v[66:69], v59 offset0:32 offset1:48
	s_wait_dscnt 0x0
	v_fmac_f64_e32 v[30:31], v[66:67], v[52:53]
	v_fmac_f64_e32 v[26:27], v[68:69], v[52:53]
	v_fmac_f64_e32 v[24:25], v[66:67], v[72:73]
	v_fmac_f64_e32 v[22:23], v[68:69], v[72:73]
	ds_load_2addr_b64 v[50:53], v59 offset0:64 offset1:80
	s_wait_dscnt 0x0
	v_fmac_f64_e32 v[30:31], v[50:51], v[74:75]
	v_fmac_f64_e32 v[26:27], v[52:53], v[74:75]
	v_fmac_f64_e32 v[24:25], v[50:51], v[78:79]
	v_fmac_f64_e32 v[22:23], v[52:53], v[78:79]
	ds_load_2addr_b64 v[50:53], v59 offset0:96 offset1:112
	s_wait_dscnt 0x0
	v_fmac_f64_e32 v[30:31], v[50:51], v[76:77]
	v_fmac_f64_e32 v[26:27], v[52:53], v[76:77]
	v_fmac_f64_e32 v[24:25], v[50:51], v[80:81]
	v_fmac_f64_e32 v[22:23], v[52:53], v[80:81]
	ds_load_b128 v[50:53], v57 offset:32
	ds_load_2addr_b64 v[66:69], v59 offset0:128 offset1:144
	ds_load_b128 v[70:73], v57 offset:4128
	ds_load_b128 v[74:77], v57 offset:48
	ds_load_b128 v[78:81], v57 offset:4144
	s_wait_dscnt 0x3
	v_fmac_f64_e32 v[30:31], v[66:67], v[50:51]
	v_fmac_f64_e32 v[26:27], v[68:69], v[50:51]
	s_wait_dscnt 0x2
	v_fmac_f64_e32 v[24:25], v[66:67], v[70:71]
	v_fmac_f64_e32 v[22:23], v[68:69], v[70:71]
	ds_load_2addr_b64 v[66:69], v59 offset0:160 offset1:176
	s_wait_dscnt 0x0
	v_fmac_f64_e32 v[30:31], v[66:67], v[52:53]
	v_fmac_f64_e32 v[26:27], v[68:69], v[52:53]
	v_fmac_f64_e32 v[24:25], v[66:67], v[72:73]
	v_fmac_f64_e32 v[22:23], v[68:69], v[72:73]
	ds_load_2addr_b64 v[50:53], v59 offset0:192 offset1:208
	s_wait_dscnt 0x0
	v_fmac_f64_e32 v[30:31], v[50:51], v[74:75]
	v_fmac_f64_e32 v[26:27], v[52:53], v[74:75]
	v_fmac_f64_e32 v[24:25], v[50:51], v[78:79]
	v_fmac_f64_e32 v[22:23], v[52:53], v[78:79]
	ds_load_2addr_b64 v[50:53], v59 offset0:224 offset1:240
	s_wait_dscnt 0x0
	v_fmac_f64_e32 v[30:31], v[50:51], v[76:77]
	v_fmac_f64_e32 v[26:27], v[52:53], v[76:77]
	v_fmac_f64_e32 v[24:25], v[50:51], v[80:81]
	v_fmac_f64_e32 v[22:23], v[52:53], v[80:81]
	ds_load_b128 v[50:53], v57 offset:64
	ds_load_2addr_b64 v[66:69], v63 offset1:16
	ds_load_b128 v[70:73], v57 offset:4160
	ds_load_b128 v[74:77], v57 offset:80
	ds_load_b128 v[78:81], v57 offset:4176
	s_wait_dscnt 0x3
	v_fmac_f64_e32 v[30:31], v[66:67], v[50:51]
	v_fmac_f64_e32 v[26:27], v[68:69], v[50:51]
	s_wait_dscnt 0x2
	v_fmac_f64_e32 v[24:25], v[66:67], v[70:71]
	v_fmac_f64_e32 v[22:23], v[68:69], v[70:71]
	ds_load_2addr_b64 v[66:69], v63 offset0:32 offset1:48
	s_wait_dscnt 0x0
	v_fmac_f64_e32 v[30:31], v[66:67], v[52:53]
	v_fmac_f64_e32 v[26:27], v[68:69], v[52:53]
	v_fmac_f64_e32 v[24:25], v[66:67], v[72:73]
	v_fmac_f64_e32 v[22:23], v[68:69], v[72:73]
	ds_load_2addr_b64 v[50:53], v63 offset0:64 offset1:80
	s_wait_dscnt 0x0
	v_fmac_f64_e32 v[30:31], v[50:51], v[74:75]
	v_fmac_f64_e32 v[26:27], v[52:53], v[74:75]
	v_fmac_f64_e32 v[24:25], v[50:51], v[78:79]
	v_fmac_f64_e32 v[22:23], v[52:53], v[78:79]
	ds_load_2addr_b64 v[50:53], v63 offset0:96 offset1:112
	s_wait_dscnt 0x0
	v_fmac_f64_e32 v[30:31], v[50:51], v[76:77]
	v_fmac_f64_e32 v[26:27], v[52:53], v[76:77]
	v_fmac_f64_e32 v[24:25], v[50:51], v[80:81]
	v_fmac_f64_e32 v[22:23], v[52:53], v[80:81]
	ds_load_b128 v[50:53], v57 offset:96
	ds_load_2addr_b64 v[66:69], v63 offset0:128 offset1:144
	ds_load_b128 v[70:73], v57 offset:4192
	ds_load_b128 v[74:77], v57 offset:112
	ds_load_b128 v[78:81], v57 offset:4208
	s_wait_dscnt 0x3
	v_fmac_f64_e32 v[30:31], v[66:67], v[50:51]
	v_fmac_f64_e32 v[26:27], v[68:69], v[50:51]
	s_wait_dscnt 0x2
	v_fmac_f64_e32 v[24:25], v[66:67], v[70:71]
	v_fmac_f64_e32 v[22:23], v[68:69], v[70:71]
	ds_load_2addr_b64 v[66:69], v63 offset0:160 offset1:176
	s_wait_dscnt 0x0
	v_fmac_f64_e32 v[30:31], v[66:67], v[52:53]
	v_fmac_f64_e32 v[26:27], v[68:69], v[52:53]
	v_fmac_f64_e32 v[24:25], v[66:67], v[72:73]
	v_fmac_f64_e32 v[22:23], v[68:69], v[72:73]
	ds_load_2addr_b64 v[50:53], v63 offset0:192 offset1:208
	s_wait_dscnt 0x0
	v_fmac_f64_e32 v[30:31], v[50:51], v[74:75]
	v_fmac_f64_e32 v[26:27], v[52:53], v[74:75]
	v_fmac_f64_e32 v[24:25], v[50:51], v[78:79]
	v_fmac_f64_e32 v[22:23], v[52:53], v[78:79]
	ds_load_2addr_b64 v[50:53], v63 offset0:224 offset1:240
	s_wait_dscnt 0x0
	v_fmac_f64_e32 v[30:31], v[50:51], v[76:77]
	v_fmac_f64_e32 v[26:27], v[52:53], v[76:77]
	v_fmac_f64_e32 v[24:25], v[50:51], v[80:81]
	v_fmac_f64_e32 v[22:23], v[52:53], v[80:81]
	ds_load_b128 v[50:53], v57 offset:128
	ds_load_2addr_b64 v[66:69], v64 offset1:16
	ds_load_b128 v[70:73], v57 offset:4224
	ds_load_b128 v[74:77], v57 offset:144
	ds_load_b128 v[78:81], v57 offset:4240
	;; [unrolled: 58-line block ×3, first 2 shown]
	s_wait_dscnt 0x3
	v_fmac_f64_e32 v[30:31], v[66:67], v[50:51]
	v_fmac_f64_e32 v[26:27], v[68:69], v[50:51]
	s_wait_dscnt 0x2
	v_fmac_f64_e32 v[24:25], v[66:67], v[70:71]
	v_fmac_f64_e32 v[22:23], v[68:69], v[70:71]
	ds_load_2addr_b64 v[66:69], v65 offset0:32 offset1:48
	s_wait_dscnt 0x0
	v_fmac_f64_e32 v[30:31], v[66:67], v[52:53]
	v_fmac_f64_e32 v[26:27], v[68:69], v[52:53]
	v_fmac_f64_e32 v[24:25], v[66:67], v[72:73]
	v_fmac_f64_e32 v[22:23], v[68:69], v[72:73]
	ds_load_2addr_b64 v[50:53], v65 offset0:64 offset1:80
	s_wait_dscnt 0x0
	v_fmac_f64_e32 v[30:31], v[50:51], v[74:75]
	v_fmac_f64_e32 v[26:27], v[52:53], v[74:75]
	;; [unrolled: 6-line block ×3, first 2 shown]
	v_fmac_f64_e32 v[24:25], v[50:51], v[80:81]
	v_fmac_f64_e32 v[22:23], v[52:53], v[80:81]
	ds_load_b128 v[50:53], v57 offset:224
	ds_load_2addr_b64 v[66:69], v65 offset0:128 offset1:144
	ds_load_b128 v[70:73], v57 offset:4320
	ds_load_b128 v[74:77], v57 offset:240
	ds_load_b128 v[78:81], v57 offset:4336
	s_wait_dscnt 0x3
	v_fmac_f64_e32 v[30:31], v[66:67], v[50:51]
	v_fmac_f64_e32 v[26:27], v[68:69], v[50:51]
	s_wait_dscnt 0x2
	v_fmac_f64_e32 v[24:25], v[66:67], v[70:71]
	v_fmac_f64_e32 v[22:23], v[68:69], v[70:71]
	ds_load_2addr_b64 v[66:69], v65 offset0:160 offset1:176
	s_wait_dscnt 0x0
	v_fmac_f64_e32 v[30:31], v[66:67], v[52:53]
	v_fmac_f64_e32 v[26:27], v[68:69], v[52:53]
	;; [unrolled: 1-line block ×4, first 2 shown]
	ds_load_2addr_b64 v[50:53], v65 offset0:192 offset1:208
	s_wait_dscnt 0x0
	v_fmac_f64_e32 v[30:31], v[50:51], v[74:75]
	v_fmac_f64_e32 v[26:27], v[52:53], v[74:75]
	;; [unrolled: 1-line block ×4, first 2 shown]
	ds_load_2addr_b64 v[50:53], v65 offset0:224 offset1:240
	s_wait_dscnt 0x0
	s_barrier_signal -1
	s_barrier_wait -1
	v_fmac_f64_e32 v[30:31], v[50:51], v[76:77]
	v_fmac_f64_e32 v[26:27], v[52:53], v[76:77]
	;; [unrolled: 1-line block ×4, first 2 shown]
	s_cbranch_scc1 .LBB48_48
.LBB48_11:                              ;   Parent Loop BB48_4 Depth=1
                                        ;     Parent Loop BB48_8 Depth=2
                                        ; =>    This Inner Loop Header: Depth=3
	v_add_nc_u64_e32 v[50:51], s[52:53], v[18:19]
	v_cmp_eq_u64_e64 s7, s[52:53], v[40:41]
	v_add_nc_u64_e32 v[52:53], v[32:33], v[42:43]
                                        ; implicit-def: $vgpr54_vgpr55
	s_delay_alu instid0(VALU_DEP_3) | instskip(SKIP_3) | instid1(SALU_CYCLE_1)
	v_cmp_lt_i64_e64 s5, v[50:51], v[20:21]
	v_cmp_le_i64_e64 s6, s[42:43], v[50:51]
	s_and_b32 s61, s56, s7
	s_or_b32 s8, s4, s5
	s_or_b32 s7, s6, s8
	s_delay_alu instid0(SALU_CYCLE_1) | instskip(NEXT) | instid1(SALU_CYCLE_1)
	s_nor_b32 s7, s7, s61
	s_and_saveexec_b32 s8, s7
	s_delay_alu instid0(SALU_CYCLE_1)
	s_xor_b32 s7, exec_lo, s8
	s_cbranch_execz .LBB48_13
; %bb.12:                               ;   in Loop: Header=BB48_11 Depth=3
	global_load_b64 v[54:55], v[52:53], off
.LBB48_13:                              ;   in Loop: Header=BB48_11 Depth=3
	s_wait_xcnt 0x0
	s_and_not1_saveexec_b32 s7, s7
	s_cbranch_execz .LBB48_15
; %bb.14:                               ;   in Loop: Header=BB48_11 Depth=3
	v_cndmask_b32_e64 v7, 0, 0x3ff00000, s61
	s_wait_loadcnt 0x0
	s_delay_alu instid0(VALU_DEP_1)
	v_mov_b64_e32 v[54:55], v[6:7]
.LBB48_15:                              ;   in Loop: Header=BB48_11 Depth=3
	s_or_b32 exec_lo, exec_lo, s7
	v_add_nc_u64_e32 v[66:67], 16, v[50:51]
	v_cmp_eq_u64_e64 s9, s[52:53], v[46:47]
	s_wait_loadcnt 0x0
	ds_store_b64 v58, v[54:55]
	v_cmp_lt_i64_e64 s8, v[66:67], v[20:21]
	v_cmp_le_i64_e64 s7, s[42:43], v[66:67]
	s_and_b32 s9, s56, s9
	s_or_b32 s8, s4, s8
	s_delay_alu instid0(SALU_CYCLE_1) | instskip(NEXT) | instid1(SALU_CYCLE_1)
	s_or_b32 s8, s7, s8
	s_nor_b32 s8, s8, s9
	s_delay_alu instid0(SALU_CYCLE_1) | instskip(NEXT) | instid1(SALU_CYCLE_1)
	s_and_saveexec_b32 s62, s8
	s_xor_b32 s8, exec_lo, s62
	s_cbranch_execz .LBB48_17
; %bb.16:                               ;   in Loop: Header=BB48_11 Depth=3
	global_load_b64 v[52:53], v[52:53], off offset:128
	s_wait_loadcnt 0x0
	ds_store_b64 v58, v[52:53] offset:128
.LBB48_17:                              ;   in Loop: Header=BB48_11 Depth=3
	s_wait_xcnt 0x0
	s_and_not1_saveexec_b32 s8, s8
	s_cbranch_execz .LBB48_23
; %bb.18:                               ;   in Loop: Header=BB48_11 Depth=3
	s_xor_b32 s9, s9, -1
	s_delay_alu instid0(SALU_CYCLE_1) | instskip(NEXT) | instid1(SALU_CYCLE_1)
	s_and_saveexec_b32 s62, s9
	s_xor_b32 s9, exec_lo, s62
; %bb.19:                               ;   in Loop: Header=BB48_11 Depth=3
	ds_store_b64 v58, v[8:9] offset:128
; %bb.20:                               ;   in Loop: Header=BB48_11 Depth=3
	s_and_not1_saveexec_b32 s9, s9
; %bb.21:                               ;   in Loop: Header=BB48_11 Depth=3
	ds_store_b64 v58, v[10:11] offset:128
; %bb.22:                               ;   in Loop: Header=BB48_11 Depth=3
	s_or_b32 exec_lo, exec_lo, s9
.LBB48_23:                              ;   in Loop: Header=BB48_11 Depth=3
	s_delay_alu instid0(SALU_CYCLE_1)
	s_or_b32 exec_lo, exec_lo, s8
	v_cmp_eq_u64_e64 s8, s[52:53], v[44:45]
	v_cmp_lt_i64_e64 s9, v[50:51], v[38:39]
	v_add_nc_u64_e32 v[50:51], v[34:35], v[42:43]
                                        ; implicit-def: $vgpr52_vgpr53
	s_and_b32 s8, s56, s8
	s_or_b32 s9, vcc_lo, s9
	s_delay_alu instid0(SALU_CYCLE_1) | instskip(NEXT) | instid1(SALU_CYCLE_1)
	s_or_b32 s9, s9, s8
	s_nor_b32 s6, s6, s9
	s_delay_alu instid0(SALU_CYCLE_1) | instskip(NEXT) | instid1(SALU_CYCLE_1)
	s_and_saveexec_b32 s9, s6
	s_xor_b32 s6, exec_lo, s9
	s_cbranch_execz .LBB48_25
; %bb.24:                               ;   in Loop: Header=BB48_11 Depth=3
	global_load_b64 v[52:53], v[50:51], off
.LBB48_25:                              ;   in Loop: Header=BB48_11 Depth=3
	s_wait_xcnt 0x0
	s_and_not1_saveexec_b32 s6, s6
	s_cbranch_execz .LBB48_27
; %bb.26:                               ;   in Loop: Header=BB48_11 Depth=3
	v_cndmask_b32_e64 v7, 0, 0x3ff00000, s8
	s_wait_loadcnt 0x0
	s_delay_alu instid0(VALU_DEP_1)
	v_mov_b64_e32 v[52:53], v[6:7]
.LBB48_27:                              ;   in Loop: Header=BB48_11 Depth=3
	s_or_b32 exec_lo, exec_lo, s6
	s_or_b32 s5, vcc_lo, s5
	s_wait_loadcnt 0x0
	ds_store_b64 v58, v[52:53] offset:4096
	s_or_b32 s5, s7, s5
	s_delay_alu instid0(SALU_CYCLE_1) | instskip(NEXT) | instid1(SALU_CYCLE_1)
	s_nor_b32 s5, s5, s61
	s_and_saveexec_b32 s6, s5
	s_delay_alu instid0(SALU_CYCLE_1)
	s_xor_b32 s5, exec_lo, s6
	s_cbranch_execz .LBB48_29
; %bb.28:                               ;   in Loop: Header=BB48_11 Depth=3
	global_load_b64 v[50:51], v[50:51], off offset:128
	s_wait_loadcnt 0x0
	ds_store_b64 v58, v[50:51] offset:4224
.LBB48_29:                              ;   in Loop: Header=BB48_11 Depth=3
	s_wait_xcnt 0x0
	s_and_not1_saveexec_b32 s5, s5
	s_cbranch_execz .LBB48_35
; %bb.30:                               ;   in Loop: Header=BB48_11 Depth=3
	s_xor_b32 s6, s61, -1
	s_delay_alu instid0(SALU_CYCLE_1) | instskip(NEXT) | instid1(SALU_CYCLE_1)
	s_and_saveexec_b32 s7, s6
	s_xor_b32 s6, exec_lo, s7
; %bb.31:                               ;   in Loop: Header=BB48_11 Depth=3
	ds_store_b64 v58, v[8:9] offset:4224
; %bb.32:                               ;   in Loop: Header=BB48_11 Depth=3
	s_and_not1_saveexec_b32 s6, s6
; %bb.33:                               ;   in Loop: Header=BB48_11 Depth=3
	ds_store_b64 v58, v[10:11] offset:4224
; %bb.34:                               ;   in Loop: Header=BB48_11 Depth=3
	s_or_b32 exec_lo, exec_lo, s6
.LBB48_35:                              ;   in Loop: Header=BB48_11 Depth=3
	s_delay_alu instid0(SALU_CYCLE_1) | instskip(SKIP_3) | instid1(VALU_DEP_3)
	s_or_b32 exec_lo, exec_lo, s5
	v_add_nc_u64_e32 v[50:51], s[52:53], v[16:17]
	v_add_nc_u64_e32 v[52:53], v[48:49], v[28:29]
	v_mov_b64_e32 v[54:55], 0
	v_cmp_le_i64_e64 s5, s[42:43], v[50:51]
	s_nor_b32 s7, s5, s2
	s_delay_alu instid0(SALU_CYCLE_1)
	s_and_saveexec_b32 s6, s7
	s_cbranch_execz .LBB48_37
; %bb.36:                               ;   in Loop: Header=BB48_11 Depth=3
	global_load_b64 v[54:55], v[52:53], off offset:-128
.LBB48_37:                              ;   in Loop: Header=BB48_11 Depth=3
	s_wait_xcnt 0x0
	s_or_b32 exec_lo, exec_lo, s6
	s_nor_b32 s5, s5, s3
	s_wait_loadcnt 0x0
	ds_store_b64 v60, v[54:55]
	s_and_saveexec_b32 s6, s5
	s_delay_alu instid0(SALU_CYCLE_1)
	s_xor_b32 s5, exec_lo, s6
	s_cbranch_execz .LBB48_39
; %bb.38:                               ;   in Loop: Header=BB48_11 Depth=3
	global_load_b64 v[52:53], v[52:53], off
	s_wait_loadcnt 0x0
	ds_store_b64 v60, v[52:53] offset:128
.LBB48_39:                              ;   in Loop: Header=BB48_11 Depth=3
	s_wait_xcnt 0x0
	s_and_not1_saveexec_b32 s5, s5
; %bb.40:                               ;   in Loop: Header=BB48_11 Depth=3
	ds_store_b64 v60, v[8:9] offset:128
; %bb.41:                               ;   in Loop: Header=BB48_11 Depth=3
	s_or_b32 exec_lo, exec_lo, s5
	v_cmp_le_i64_e64 s5, s[48:49], v[50:51]
	v_add_nc_u64_e32 v[50:51], v[48:49], v[36:37]
	v_mov_b64_e32 v[52:53], 0
	s_nor_b32 s7, s5, s2
	s_delay_alu instid0(SALU_CYCLE_1)
	s_and_saveexec_b32 s6, s7
	s_cbranch_execz .LBB48_43
; %bb.42:                               ;   in Loop: Header=BB48_11 Depth=3
	global_load_b64 v[52:53], v[50:51], off offset:-128
.LBB48_43:                              ;   in Loop: Header=BB48_11 Depth=3
	s_wait_xcnt 0x0
	s_or_b32 exec_lo, exec_lo, s6
	s_nor_b32 s5, s5, s3
	s_wait_loadcnt 0x0
	ds_store_b64 v60, v[52:53] offset:4096
	s_and_saveexec_b32 s6, s5
	s_delay_alu instid0(SALU_CYCLE_1)
	s_xor_b32 s5, exec_lo, s6
	s_cbranch_execz .LBB48_45
; %bb.44:                               ;   in Loop: Header=BB48_11 Depth=3
	global_load_b64 v[50:51], v[50:51], off
	s_wait_loadcnt 0x0
	ds_store_b64 v60, v[50:51] offset:4224
.LBB48_45:                              ;   in Loop: Header=BB48_11 Depth=3
	s_wait_xcnt 0x0
	s_and_not1_saveexec_b32 s5, s5
	s_cbranch_execz .LBB48_10
; %bb.46:                               ;   in Loop: Header=BB48_11 Depth=3
	ds_store_b64 v60, v[8:9] offset:4224
	s_branch .LBB48_10
.LBB48_47:                              ;   in Loop: Header=BB48_8 Depth=2
	v_mov_b64_e32 v[30:31], 0
	v_mov_b64_e32 v[26:27], 0
	;; [unrolled: 1-line block ×4, first 2 shown]
.LBB48_48:                              ;   in Loop: Header=BB48_8 Depth=2
	v_mul_u64_e32 v[28:29], s[28:29], v[20:21]
	v_cmp_gt_i32_e32 vcc_lo, s10, v20
	s_and_b32 s5, s0, vcc_lo
	s_delay_alu instid0(VALU_DEP_2)
	v_lshl_add_u64 v[28:29], v[28:29], 3, s[50:51]
	s_and_saveexec_b32 s4, s5
	s_cbranch_execz .LBB48_50
; %bb.49:                               ;   in Loop: Header=BB48_8 Depth=2
	s_delay_alu instid0(VALU_DEP_1)
	v_lshl_add_u64 v[32:33], v[0:1], 3, v[28:29]
	global_load_b64 v[34:35], v[32:33], off
	s_wait_loadcnt 0x0
	v_fmac_f64_e32 v[34:35], v[12:13], v[30:31]
	global_store_b64 v[32:33], v[34:35], off
.LBB48_50:                              ;   in Loop: Header=BB48_8 Depth=2
	s_wait_xcnt 0x0
	s_or_b32 exec_lo, exec_lo, s4
	s_and_b32 s5, s1, vcc_lo
	s_delay_alu instid0(SALU_CYCLE_1)
	s_and_saveexec_b32 s4, s5
	s_cbranch_execz .LBB48_52
; %bb.51:                               ;   in Loop: Header=BB48_8 Depth=2
	v_lshl_add_u64 v[28:29], v[2:3], 3, v[28:29]
	global_load_b64 v[30:31], v[28:29], off
	s_wait_loadcnt 0x0
	v_fmac_f64_e32 v[30:31], v[12:13], v[26:27]
	global_store_b64 v[28:29], v[30:31], off
.LBB48_52:                              ;   in Loop: Header=BB48_8 Depth=2
	s_wait_xcnt 0x0
	s_or_b32 exec_lo, exec_lo, s4
	v_add_nc_u32_e32 v20, 16, v20
	s_delay_alu instid0(VALU_DEP_1) | instskip(SKIP_1) | instid1(VALU_DEP_2)
	v_ashrrev_i32_e32 v21, 31, v20
	v_cmp_gt_i32_e32 vcc_lo, s10, v20
	v_mul_u64_e32 v[26:27], s[28:29], v[20:21]
	s_and_b32 s5, s0, vcc_lo
	s_delay_alu instid0(VALU_DEP_1)
	v_lshl_add_u64 v[20:21], v[26:27], 3, s[50:51]
	s_and_saveexec_b32 s4, s5
	s_cbranch_execz .LBB48_54
; %bb.53:                               ;   in Loop: Header=BB48_8 Depth=2
	s_delay_alu instid0(VALU_DEP_1)
	v_lshl_add_u64 v[26:27], v[0:1], 3, v[20:21]
	global_load_b64 v[28:29], v[26:27], off
	s_wait_loadcnt 0x0
	v_fmac_f64_e32 v[28:29], v[12:13], v[24:25]
	global_store_b64 v[26:27], v[28:29], off
.LBB48_54:                              ;   in Loop: Header=BB48_8 Depth=2
	s_wait_xcnt 0x0
	s_or_b32 exec_lo, exec_lo, s4
	s_and_b32 s5, s1, vcc_lo
	s_delay_alu instid0(SALU_CYCLE_1)
	s_and_saveexec_b32 s4, s5
	s_cbranch_execz .LBB48_7
; %bb.55:                               ;   in Loop: Header=BB48_8 Depth=2
	v_lshl_add_u64 v[20:21], v[2:3], 3, v[20:21]
	global_load_b64 v[24:25], v[20:21], off
	s_wait_loadcnt 0x0
	v_fmac_f64_e32 v[24:25], v[12:13], v[22:23]
	global_store_b64 v[20:21], v[24:25], off
	s_branch .LBB48_7
.LBB48_56:
	s_sendmsg sendmsg(MSG_DEALLOC_VGPRS)
	s_endpgm
	.section	.rodata,"a",@progbits
	.p2align	6, 0x0
	.amdhsa_kernel _ZL30rocblas_trmm_outofplace_kernelIdLi32ELi2ELb0ELb0ELb0ELb0EPKdS0_dEv17rocblas_diagonal_iiT6_lPT7_lllS5_lllPT8_llli
		.amdhsa_group_segment_fixed_size 16384
		.amdhsa_private_segment_fixed_size 0
		.amdhsa_kernarg_size 392
		.amdhsa_user_sgpr_count 2
		.amdhsa_user_sgpr_dispatch_ptr 0
		.amdhsa_user_sgpr_queue_ptr 0
		.amdhsa_user_sgpr_kernarg_segment_ptr 1
		.amdhsa_user_sgpr_dispatch_id 0
		.amdhsa_user_sgpr_kernarg_preload_length 0
		.amdhsa_user_sgpr_kernarg_preload_offset 0
		.amdhsa_user_sgpr_private_segment_size 0
		.amdhsa_wavefront_size32 1
		.amdhsa_uses_dynamic_stack 0
		.amdhsa_enable_private_segment 0
		.amdhsa_system_sgpr_workgroup_id_x 1
		.amdhsa_system_sgpr_workgroup_id_y 1
		.amdhsa_system_sgpr_workgroup_id_z 1
		.amdhsa_system_sgpr_workgroup_info 0
		.amdhsa_system_vgpr_workitem_id 1
		.amdhsa_next_free_vgpr 82
		.amdhsa_next_free_sgpr 63
		.amdhsa_named_barrier_count 0
		.amdhsa_reserve_vcc 1
		.amdhsa_float_round_mode_32 0
		.amdhsa_float_round_mode_16_64 0
		.amdhsa_float_denorm_mode_32 3
		.amdhsa_float_denorm_mode_16_64 3
		.amdhsa_fp16_overflow 0
		.amdhsa_memory_ordered 1
		.amdhsa_forward_progress 1
		.amdhsa_inst_pref_size 26
		.amdhsa_round_robin_scheduling 0
		.amdhsa_exception_fp_ieee_invalid_op 0
		.amdhsa_exception_fp_denorm_src 0
		.amdhsa_exception_fp_ieee_div_zero 0
		.amdhsa_exception_fp_ieee_overflow 0
		.amdhsa_exception_fp_ieee_underflow 0
		.amdhsa_exception_fp_ieee_inexact 0
		.amdhsa_exception_int_div_zero 0
	.end_amdhsa_kernel
	.section	.text._ZL30rocblas_trmm_outofplace_kernelIdLi32ELi2ELb0ELb0ELb0ELb0EPKdS0_dEv17rocblas_diagonal_iiT6_lPT7_lllS5_lllPT8_llli,"axG",@progbits,_ZL30rocblas_trmm_outofplace_kernelIdLi32ELi2ELb0ELb0ELb0ELb0EPKdS0_dEv17rocblas_diagonal_iiT6_lPT7_lllS5_lllPT8_llli,comdat
.Lfunc_end48:
	.size	_ZL30rocblas_trmm_outofplace_kernelIdLi32ELi2ELb0ELb0ELb0ELb0EPKdS0_dEv17rocblas_diagonal_iiT6_lPT7_lllS5_lllPT8_llli, .Lfunc_end48-_ZL30rocblas_trmm_outofplace_kernelIdLi32ELi2ELb0ELb0ELb0ELb0EPKdS0_dEv17rocblas_diagonal_iiT6_lPT7_lllS5_lllPT8_llli
                                        ; -- End function
	.set _ZL30rocblas_trmm_outofplace_kernelIdLi32ELi2ELb0ELb0ELb0ELb0EPKdS0_dEv17rocblas_diagonal_iiT6_lPT7_lllS5_lllPT8_llli.num_vgpr, 82
	.set _ZL30rocblas_trmm_outofplace_kernelIdLi32ELi2ELb0ELb0ELb0ELb0EPKdS0_dEv17rocblas_diagonal_iiT6_lPT7_lllS5_lllPT8_llli.num_agpr, 0
	.set _ZL30rocblas_trmm_outofplace_kernelIdLi32ELi2ELb0ELb0ELb0ELb0EPKdS0_dEv17rocblas_diagonal_iiT6_lPT7_lllS5_lllPT8_llli.numbered_sgpr, 63
	.set _ZL30rocblas_trmm_outofplace_kernelIdLi32ELi2ELb0ELb0ELb0ELb0EPKdS0_dEv17rocblas_diagonal_iiT6_lPT7_lllS5_lllPT8_llli.num_named_barrier, 0
	.set _ZL30rocblas_trmm_outofplace_kernelIdLi32ELi2ELb0ELb0ELb0ELb0EPKdS0_dEv17rocblas_diagonal_iiT6_lPT7_lllS5_lllPT8_llli.private_seg_size, 0
	.set _ZL30rocblas_trmm_outofplace_kernelIdLi32ELi2ELb0ELb0ELb0ELb0EPKdS0_dEv17rocblas_diagonal_iiT6_lPT7_lllS5_lllPT8_llli.uses_vcc, 1
	.set _ZL30rocblas_trmm_outofplace_kernelIdLi32ELi2ELb0ELb0ELb0ELb0EPKdS0_dEv17rocblas_diagonal_iiT6_lPT7_lllS5_lllPT8_llli.uses_flat_scratch, 0
	.set _ZL30rocblas_trmm_outofplace_kernelIdLi32ELi2ELb0ELb0ELb0ELb0EPKdS0_dEv17rocblas_diagonal_iiT6_lPT7_lllS5_lllPT8_llli.has_dyn_sized_stack, 0
	.set _ZL30rocblas_trmm_outofplace_kernelIdLi32ELi2ELb0ELb0ELb0ELb0EPKdS0_dEv17rocblas_diagonal_iiT6_lPT7_lllS5_lllPT8_llli.has_recursion, 0
	.set _ZL30rocblas_trmm_outofplace_kernelIdLi32ELi2ELb0ELb0ELb0ELb0EPKdS0_dEv17rocblas_diagonal_iiT6_lPT7_lllS5_lllPT8_llli.has_indirect_call, 0
	.section	.AMDGPU.csdata,"",@progbits
; Kernel info:
; codeLenInByte = 3248
; TotalNumSgprs: 65
; NumVgprs: 82
; ScratchSize: 0
; MemoryBound: 0
; FloatMode: 240
; IeeeMode: 1
; LDSByteSize: 16384 bytes/workgroup (compile time only)
; SGPRBlocks: 0
; VGPRBlocks: 5
; NumSGPRsForWavesPerEU: 65
; NumVGPRsForWavesPerEU: 82
; NamedBarCnt: 0
; Occupancy: 10
; WaveLimiterHint : 0
; COMPUTE_PGM_RSRC2:SCRATCH_EN: 0
; COMPUTE_PGM_RSRC2:USER_SGPR: 2
; COMPUTE_PGM_RSRC2:TRAP_HANDLER: 0
; COMPUTE_PGM_RSRC2:TGID_X_EN: 1
; COMPUTE_PGM_RSRC2:TGID_Y_EN: 1
; COMPUTE_PGM_RSRC2:TGID_Z_EN: 1
; COMPUTE_PGM_RSRC2:TIDIG_COMP_CNT: 1
	.section	.text._ZL30rocblas_trmm_outofplace_kernelIdLi32ELi2ELb0ELb0ELb0ELb0EdKddEv17rocblas_diagonal_iiT6_lPT7_lllS4_lllPT8_llli,"axG",@progbits,_ZL30rocblas_trmm_outofplace_kernelIdLi32ELi2ELb0ELb0ELb0ELb0EdKddEv17rocblas_diagonal_iiT6_lPT7_lllS4_lllPT8_llli,comdat
	.globl	_ZL30rocblas_trmm_outofplace_kernelIdLi32ELi2ELb0ELb0ELb0ELb0EdKddEv17rocblas_diagonal_iiT6_lPT7_lllS4_lllPT8_llli ; -- Begin function _ZL30rocblas_trmm_outofplace_kernelIdLi32ELi2ELb0ELb0ELb0ELb0EdKddEv17rocblas_diagonal_iiT6_lPT7_lllS4_lllPT8_llli
	.p2align	8
	.type	_ZL30rocblas_trmm_outofplace_kernelIdLi32ELi2ELb0ELb0ELb0ELb0EdKddEv17rocblas_diagonal_iiT6_lPT7_lllS4_lllPT8_llli,@function
_ZL30rocblas_trmm_outofplace_kernelIdLi32ELi2ELb0ELb0ELb0ELb0EdKddEv17rocblas_diagonal_iiT6_lPT7_lllS4_lllPT8_llli: ; @_ZL30rocblas_trmm_outofplace_kernelIdLi32ELi2ELb0ELb0ELb0ELb0EdKddEv17rocblas_diagonal_iiT6_lPT7_lllS4_lllPT8_llli
; %bb.0:
	s_load_b32 s33, s[0:1], 0x80
	s_bfe_u32 s2, ttmp6, 0x40014
	s_lshr_b32 s3, ttmp7, 16
	s_add_co_i32 s2, s2, 1
	s_bfe_u32 s5, ttmp6, 0x40008
	s_mul_i32 s4, s3, s2
	s_getreg_b32 s2, hwreg(HW_REG_IB_STS2, 6, 4)
	s_add_co_i32 s5, s5, s4
	s_cmp_eq_u32 s2, 0
	s_cselect_b32 s34, s3, s5
	s_wait_kmcnt 0x0
	s_cmp_ge_u32 s34, s33
	s_cbranch_scc1 .LBB49_55
; %bb.1:
	s_load_b64 s[40:41], s[0:1], 0x10
	s_wait_kmcnt 0x0
	v_cmp_eq_f64_e64 s3, s[40:41], 0
	s_and_b32 vcc_lo, exec_lo, s3
	s_cbranch_vccnz .LBB49_55
; %bb.2:
	s_clause 0x1
	s_load_b96 s[36:38], s[0:1], 0x0
	s_load_b512 s[8:23], s[0:1], 0x20
	s_bfe_u32 s4, ttmp6, 0x4000c
	v_bfe_u32 v54, v0, 10, 10
	s_add_co_i32 s4, s4, 1
	s_and_b32 s3, ttmp6, 15
	s_bfe_u32 s6, ttmp6, 0x40010
	v_and_b32_e32 v6, 0x3ff, v0
	s_add_nc_u64 s[42:43], s[0:1], 0x88
	s_load_b256 s[24:31], s[0:1], 0x60
	s_wait_xcnt 0x0
	s_mul_i32 s0, ttmp9, s4
	s_and_b32 s5, ttmp7, 0xffff
	s_add_co_i32 s6, s6, 1
	s_add_co_i32 s3, s3, s0
	s_bfe_u32 s7, ttmp6, 0x40004
	s_mul_i32 s1, s5, s6
	v_lshlrev_b32_e32 v55, 8, v54
	v_lshlrev_b32_e32 v0, 3, v6
	s_add_co_i32 s7, s7, s1
	v_mov_b64_e32 v[8:9], 0
	s_wait_kmcnt 0x0
	s_add_co_i32 s0, s38, -1
	v_mov_b64_e32 v[10:11], 1.0
	s_ashr_i32 s4, s0, 31
	v_or_b32_e32 v56, 0x2000, v0
	s_lshr_b32 s1, s4, 27
	s_mov_b32 s44, s38
	s_add_co_i32 s0, s0, s1
	s_mov_b32 s35, 0
	s_ashr_i32 s39, s0, 5
	s_cmp_eq_u32 s2, 0
	v_add_nc_u32_e32 v58, v56, v55
	s_cselect_b32 s0, ttmp9, s3
	v_add_nc_u32_e32 v57, v55, v0
	v_lshl_add_u32 v0, s0, 5, v6
	s_cselect_b32 s52, s5, s7
	s_mov_b32 s0, s37
	s_cmp_le_i32 s52, s39
	v_add_nc_u32_e32 v61, 0x800, v56
	v_ashrrev_i32_e32 v1, 31, v0
	s_cselect_b32 s53, -1, 0
	s_cmp_eq_u32 s36, 0x84
	v_add_nc_u32_e32 v2, 16, v0
	s_cselect_b32 s54, -1, 0
	s_ashr_i32 s1, s37, 31
	s_lshl_b64 s[2:3], s[26:27], 3
	v_sub_nc_u64_e32 v[4:5], s[0:1], v[0:1]
	s_lshl_b64 s[4:5], s[18:19], 3
	s_add_nc_u64 s[24:25], s[24:25], s[2:3]
	s_lshl_b32 s6, s52, 5
	s_add_nc_u64 s[4:5], s[16:17], s[4:5]
	v_cmp_gt_i32_e64 s0, s37, v0
	v_cmp_gt_i32_e64 s1, s37, v2
	v_cmp_gt_i64_e64 s2, 1, v[4:5]
	v_cmp_gt_i64_e64 s3, 17, v[4:5]
	v_ashrrev_i32_e32 v3, 31, v2
	v_add_nc_u32_e32 v59, s6, v6
	v_add_nc_u32_e32 v60, s6, v54
	v_lshl_add_u64 v[4:5], v[0:1], 3, s[4:5]
	v_mov_b32_e32 v6, 0
	v_add_nc_u32_e32 v62, 0x1000, v56
	v_add_nc_u32_e32 v63, 0x1800, v56
	s_ashr_i32 s45, s38, 31
	s_lshl_b64 s[4:5], s[10:11], 3
	s_lshl_b64 s[46:47], s[20:21], 8
	s_add_nc_u64 s[26:27], s[44:45], -16
	s_lshl_b64 s[16:17], s[20:21], 3
	s_lshl_b64 s[18:19], s[22:23], 3
	s_add_nc_u64 s[10:11], s[8:9], s[4:5]
	s_lshl_b64 s[14:15], s[14:15], 3
	s_lshl_b64 s[22:23], s[12:13], 3
	s_branch .LBB49_4
.LBB49_3:                               ;   in Loop: Header=BB49_4 Depth=1
	s_add_co_i32 s34, s34, 0x10000
	s_delay_alu instid0(SALU_CYCLE_1)
	s_cmp_ge_u32 s34, s33
	s_cbranch_scc1 .LBB49_55
.LBB49_4:                               ; =>This Loop Header: Depth=1
                                        ;     Child Loop BB49_7 Depth 2
                                        ;       Child Loop BB49_10 Depth 3
	s_and_not1_b32 vcc_lo, exec_lo, s53
	s_cbranch_vccnz .LBB49_3
; %bb.5:                                ;   in Loop: Header=BB49_4 Depth=1
	s_load_b32 s55, s[42:43], 0x4
	v_mad_nc_u64_u32 v[12:13], s18, s34, v[4:5]
	s_mul_u64 s[6:7], s[30:31], s[34:35]
	v_dual_mov_b32 v14, v60 :: v_dual_mov_b32 v16, v59
	s_mul_u64 s[4:5], s[14:15], s[34:35]
	s_lshl_b64 s[6:7], s[6:7], 3
	s_add_nc_u64 s[36:37], s[10:11], s[4:5]
	s_add_nc_u64 s[48:49], s[24:25], s[6:7]
	s_mov_b32 s57, s52
	s_delay_alu instid0(VALU_DEP_2)
	v_mad_u32 v13, s19, s34, v13
	s_wait_kmcnt 0x0
	s_lshl_b32 s56, s55, 5
	s_branch .LBB49_7
.LBB49_6:                               ;   in Loop: Header=BB49_7 Depth=2
	s_wait_xcnt 0x0
	s_or_b32 exec_lo, exec_lo, s4
	v_dual_add_nc_u32 v16, s56, v16 :: v_dual_add_nc_u32 v14, s56, v14
	s_add_co_i32 s57, s55, s57
	s_delay_alu instid0(SALU_CYCLE_1)
	s_cmp_gt_i32 s57, s39
	s_cbranch_scc1 .LBB49_3
.LBB49_7:                               ;   Parent Loop BB49_4 Depth=1
                                        ; =>  This Loop Header: Depth=2
                                        ;       Child Loop BB49_10 Depth 3
	s_lshl_b32 s4, s57, 5
	v_ashrrev_i32_e32 v15, 31, v14
	v_dual_add_nc_u32 v18, s4, v54 :: v_dual_ashrrev_i32 v17, 31, v16
	s_sub_co_i32 s58, s38, s4
	s_delay_alu instid0(SALU_CYCLE_1) | instskip(NEXT) | instid1(VALU_DEP_1)
	s_cmp_lt_i32 s58, 1
	v_ashrrev_i32_e32 v19, 31, v18
	s_cbranch_scc1 .LBB49_46
; %bb.8:                                ;   in Loop: Header=BB49_7 Depth=2
	v_lshl_add_u64 v[20:21], v[14:15], 3, 0x80
	v_mad_nc_u64_u32 v[26:27], s16, v14, 0x80
	v_mad_nc_u64_u32 v[30:31], s22, v14, s[36:37]
	v_sub_nc_u64_e32 v[38:39], v[14:15], v[16:17]
	v_add_nc_u64_e32 v[36:37], 16, v[18:19]
	v_mad_nc_u64_u32 v[32:33], s12, v20, s[36:37]
	v_mad_nc_u64_u32 v[34:35], s20, v20, 0x80
	v_lshlrev_b64_e32 v[40:41], 3, v[16:17]
	v_mov_b64_e32 v[24:25], 0
	v_mov_b64_e32 v[28:29], 0
	v_add_nc_u64_e32 v[42:43], 16, v[38:39]
	v_add_nc_u64_e32 v[44:45], -16, v[38:39]
	v_mad_u32 v7, s17, v14, v27
	v_mad_u32 v22, s23, v14, v31
	v_mov_b64_e32 v[46:47], v[12:13]
	v_cmp_le_i32_e64 s4, s38, v18
	v_mad_u32 v23, s13, v20, v33
	v_mad_u32 v20, s21, v20, v35
	s_mov_b64 s[50:51], 0
	v_cmp_le_i64_e32 vcc_lo, s[44:45], v[36:37]
	v_mad_u32 v27, s16, v15, v7
	v_mad_u32 v31, s22, v15, v22
	;; [unrolled: 1-line block ×4, first 2 shown]
	v_mov_b64_e32 v[20:21], 0
	v_mov_b64_e32 v[22:23], 0
	s_branch .LBB49_10
.LBB49_9:                               ;   in Loop: Header=BB49_10 Depth=3
	s_or_b32 exec_lo, exec_lo, s5
	s_wait_dscnt 0x0
	s_barrier_signal -1
	s_barrier_wait -1
	ds_load_b128 v[48:51], v55
	ds_load_2addr_b64 v[64:67], v56 offset1:16
	ds_load_b128 v[68:71], v55 offset:4096
	ds_load_b128 v[72:75], v55 offset:16
	;; [unrolled: 1-line block ×3, first 2 shown]
	v_add_nc_u64_e32 v[46:47], s[46:47], v[46:47]
	v_add_nc_u64_e32 v[32:33], 0x100, v[32:33]
	;; [unrolled: 1-line block ×3, first 2 shown]
	s_add_nc_u64 s[50:51], s[50:51], 32
	s_delay_alu instid0(SALU_CYCLE_1)
	s_cmp_ge_i32 s50, s58
	s_wait_dscnt 0x3
	v_fmac_f64_e32 v[28:29], v[64:65], v[48:49]
	v_fmac_f64_e32 v[24:25], v[66:67], v[48:49]
	s_wait_dscnt 0x2
	v_fmac_f64_e32 v[22:23], v[64:65], v[68:69]
	v_fmac_f64_e32 v[20:21], v[66:67], v[68:69]
	ds_load_2addr_b64 v[64:67], v56 offset0:32 offset1:48
	s_wait_dscnt 0x0
	v_fmac_f64_e32 v[28:29], v[64:65], v[50:51]
	v_fmac_f64_e32 v[24:25], v[66:67], v[50:51]
	v_fmac_f64_e32 v[22:23], v[64:65], v[70:71]
	v_fmac_f64_e32 v[20:21], v[66:67], v[70:71]
	ds_load_2addr_b64 v[48:51], v56 offset0:64 offset1:80
	s_wait_dscnt 0x0
	v_fmac_f64_e32 v[28:29], v[48:49], v[72:73]
	v_fmac_f64_e32 v[24:25], v[50:51], v[72:73]
	v_fmac_f64_e32 v[22:23], v[48:49], v[76:77]
	v_fmac_f64_e32 v[20:21], v[50:51], v[76:77]
	ds_load_2addr_b64 v[48:51], v56 offset0:96 offset1:112
	s_wait_dscnt 0x0
	v_fmac_f64_e32 v[28:29], v[48:49], v[74:75]
	v_fmac_f64_e32 v[24:25], v[50:51], v[74:75]
	v_fmac_f64_e32 v[22:23], v[48:49], v[78:79]
	v_fmac_f64_e32 v[20:21], v[50:51], v[78:79]
	ds_load_b128 v[48:51], v55 offset:32
	ds_load_2addr_b64 v[64:67], v56 offset0:128 offset1:144
	ds_load_b128 v[68:71], v55 offset:4128
	ds_load_b128 v[72:75], v55 offset:48
	ds_load_b128 v[76:79], v55 offset:4144
	s_wait_dscnt 0x3
	v_fmac_f64_e32 v[28:29], v[64:65], v[48:49]
	v_fmac_f64_e32 v[24:25], v[66:67], v[48:49]
	s_wait_dscnt 0x2
	v_fmac_f64_e32 v[22:23], v[64:65], v[68:69]
	v_fmac_f64_e32 v[20:21], v[66:67], v[68:69]
	ds_load_2addr_b64 v[64:67], v56 offset0:160 offset1:176
	s_wait_dscnt 0x0
	v_fmac_f64_e32 v[28:29], v[64:65], v[50:51]
	v_fmac_f64_e32 v[24:25], v[66:67], v[50:51]
	v_fmac_f64_e32 v[22:23], v[64:65], v[70:71]
	v_fmac_f64_e32 v[20:21], v[66:67], v[70:71]
	ds_load_2addr_b64 v[48:51], v56 offset0:192 offset1:208
	s_wait_dscnt 0x0
	v_fmac_f64_e32 v[28:29], v[48:49], v[72:73]
	v_fmac_f64_e32 v[24:25], v[50:51], v[72:73]
	v_fmac_f64_e32 v[22:23], v[48:49], v[76:77]
	v_fmac_f64_e32 v[20:21], v[50:51], v[76:77]
	ds_load_2addr_b64 v[48:51], v56 offset0:224 offset1:240
	s_wait_dscnt 0x0
	v_fmac_f64_e32 v[28:29], v[48:49], v[74:75]
	v_fmac_f64_e32 v[24:25], v[50:51], v[74:75]
	v_fmac_f64_e32 v[22:23], v[48:49], v[78:79]
	v_fmac_f64_e32 v[20:21], v[50:51], v[78:79]
	ds_load_b128 v[48:51], v55 offset:64
	ds_load_2addr_b64 v[64:67], v61 offset1:16
	ds_load_b128 v[68:71], v55 offset:4160
	ds_load_b128 v[72:75], v55 offset:80
	ds_load_b128 v[76:79], v55 offset:4176
	s_wait_dscnt 0x3
	v_fmac_f64_e32 v[28:29], v[64:65], v[48:49]
	v_fmac_f64_e32 v[24:25], v[66:67], v[48:49]
	s_wait_dscnt 0x2
	v_fmac_f64_e32 v[22:23], v[64:65], v[68:69]
	v_fmac_f64_e32 v[20:21], v[66:67], v[68:69]
	ds_load_2addr_b64 v[64:67], v61 offset0:32 offset1:48
	s_wait_dscnt 0x0
	v_fmac_f64_e32 v[28:29], v[64:65], v[50:51]
	v_fmac_f64_e32 v[24:25], v[66:67], v[50:51]
	v_fmac_f64_e32 v[22:23], v[64:65], v[70:71]
	v_fmac_f64_e32 v[20:21], v[66:67], v[70:71]
	ds_load_2addr_b64 v[48:51], v61 offset0:64 offset1:80
	s_wait_dscnt 0x0
	v_fmac_f64_e32 v[28:29], v[48:49], v[72:73]
	v_fmac_f64_e32 v[24:25], v[50:51], v[72:73]
	v_fmac_f64_e32 v[22:23], v[48:49], v[76:77]
	v_fmac_f64_e32 v[20:21], v[50:51], v[76:77]
	ds_load_2addr_b64 v[48:51], v61 offset0:96 offset1:112
	s_wait_dscnt 0x0
	v_fmac_f64_e32 v[28:29], v[48:49], v[74:75]
	v_fmac_f64_e32 v[24:25], v[50:51], v[74:75]
	v_fmac_f64_e32 v[22:23], v[48:49], v[78:79]
	v_fmac_f64_e32 v[20:21], v[50:51], v[78:79]
	ds_load_b128 v[48:51], v55 offset:96
	ds_load_2addr_b64 v[64:67], v61 offset0:128 offset1:144
	ds_load_b128 v[68:71], v55 offset:4192
	ds_load_b128 v[72:75], v55 offset:112
	ds_load_b128 v[76:79], v55 offset:4208
	s_wait_dscnt 0x3
	v_fmac_f64_e32 v[28:29], v[64:65], v[48:49]
	v_fmac_f64_e32 v[24:25], v[66:67], v[48:49]
	s_wait_dscnt 0x2
	v_fmac_f64_e32 v[22:23], v[64:65], v[68:69]
	v_fmac_f64_e32 v[20:21], v[66:67], v[68:69]
	ds_load_2addr_b64 v[64:67], v61 offset0:160 offset1:176
	s_wait_dscnt 0x0
	v_fmac_f64_e32 v[28:29], v[64:65], v[50:51]
	v_fmac_f64_e32 v[24:25], v[66:67], v[50:51]
	v_fmac_f64_e32 v[22:23], v[64:65], v[70:71]
	v_fmac_f64_e32 v[20:21], v[66:67], v[70:71]
	ds_load_2addr_b64 v[48:51], v61 offset0:192 offset1:208
	s_wait_dscnt 0x0
	v_fmac_f64_e32 v[28:29], v[48:49], v[72:73]
	v_fmac_f64_e32 v[24:25], v[50:51], v[72:73]
	v_fmac_f64_e32 v[22:23], v[48:49], v[76:77]
	v_fmac_f64_e32 v[20:21], v[50:51], v[76:77]
	ds_load_2addr_b64 v[48:51], v61 offset0:224 offset1:240
	s_wait_dscnt 0x0
	v_fmac_f64_e32 v[28:29], v[48:49], v[74:75]
	v_fmac_f64_e32 v[24:25], v[50:51], v[74:75]
	v_fmac_f64_e32 v[22:23], v[48:49], v[78:79]
	v_fmac_f64_e32 v[20:21], v[50:51], v[78:79]
	ds_load_b128 v[48:51], v55 offset:128
	ds_load_2addr_b64 v[64:67], v62 offset1:16
	ds_load_b128 v[68:71], v55 offset:4224
	ds_load_b128 v[72:75], v55 offset:144
	ds_load_b128 v[76:79], v55 offset:4240
	s_wait_dscnt 0x3
	v_fmac_f64_e32 v[28:29], v[64:65], v[48:49]
	v_fmac_f64_e32 v[24:25], v[66:67], v[48:49]
	s_wait_dscnt 0x2
	v_fmac_f64_e32 v[22:23], v[64:65], v[68:69]
	v_fmac_f64_e32 v[20:21], v[66:67], v[68:69]
	ds_load_2addr_b64 v[64:67], v62 offset0:32 offset1:48
	s_wait_dscnt 0x0
	v_fmac_f64_e32 v[28:29], v[64:65], v[50:51]
	v_fmac_f64_e32 v[24:25], v[66:67], v[50:51]
	v_fmac_f64_e32 v[22:23], v[64:65], v[70:71]
	v_fmac_f64_e32 v[20:21], v[66:67], v[70:71]
	ds_load_2addr_b64 v[48:51], v62 offset0:64 offset1:80
	s_wait_dscnt 0x0
	v_fmac_f64_e32 v[28:29], v[48:49], v[72:73]
	v_fmac_f64_e32 v[24:25], v[50:51], v[72:73]
	v_fmac_f64_e32 v[22:23], v[48:49], v[76:77]
	v_fmac_f64_e32 v[20:21], v[50:51], v[76:77]
	ds_load_2addr_b64 v[48:51], v62 offset0:96 offset1:112
	s_wait_dscnt 0x0
	v_fmac_f64_e32 v[28:29], v[48:49], v[74:75]
	v_fmac_f64_e32 v[24:25], v[50:51], v[74:75]
	v_fmac_f64_e32 v[22:23], v[48:49], v[78:79]
	v_fmac_f64_e32 v[20:21], v[50:51], v[78:79]
	ds_load_b128 v[48:51], v55 offset:160
	ds_load_2addr_b64 v[64:67], v62 offset0:128 offset1:144
	ds_load_b128 v[68:71], v55 offset:4256
	ds_load_b128 v[72:75], v55 offset:176
	ds_load_b128 v[76:79], v55 offset:4272
	s_wait_dscnt 0x3
	v_fmac_f64_e32 v[28:29], v[64:65], v[48:49]
	v_fmac_f64_e32 v[24:25], v[66:67], v[48:49]
	s_wait_dscnt 0x2
	v_fmac_f64_e32 v[22:23], v[64:65], v[68:69]
	v_fmac_f64_e32 v[20:21], v[66:67], v[68:69]
	ds_load_2addr_b64 v[64:67], v62 offset0:160 offset1:176
	s_wait_dscnt 0x0
	v_fmac_f64_e32 v[28:29], v[64:65], v[50:51]
	v_fmac_f64_e32 v[24:25], v[66:67], v[50:51]
	v_fmac_f64_e32 v[22:23], v[64:65], v[70:71]
	v_fmac_f64_e32 v[20:21], v[66:67], v[70:71]
	ds_load_2addr_b64 v[48:51], v62 offset0:192 offset1:208
	s_wait_dscnt 0x0
	v_fmac_f64_e32 v[28:29], v[48:49], v[72:73]
	v_fmac_f64_e32 v[24:25], v[50:51], v[72:73]
	v_fmac_f64_e32 v[22:23], v[48:49], v[76:77]
	v_fmac_f64_e32 v[20:21], v[50:51], v[76:77]
	ds_load_2addr_b64 v[48:51], v62 offset0:224 offset1:240
	s_wait_dscnt 0x0
	v_fmac_f64_e32 v[28:29], v[48:49], v[74:75]
	v_fmac_f64_e32 v[24:25], v[50:51], v[74:75]
	v_fmac_f64_e32 v[22:23], v[48:49], v[78:79]
	v_fmac_f64_e32 v[20:21], v[50:51], v[78:79]
	ds_load_b128 v[48:51], v55 offset:192
	ds_load_2addr_b64 v[64:67], v63 offset1:16
	ds_load_b128 v[68:71], v55 offset:4288
	ds_load_b128 v[72:75], v55 offset:208
	ds_load_b128 v[76:79], v55 offset:4304
	s_wait_dscnt 0x3
	v_fmac_f64_e32 v[28:29], v[64:65], v[48:49]
	v_fmac_f64_e32 v[24:25], v[66:67], v[48:49]
	s_wait_dscnt 0x2
	v_fmac_f64_e32 v[22:23], v[64:65], v[68:69]
	v_fmac_f64_e32 v[20:21], v[66:67], v[68:69]
	ds_load_2addr_b64 v[64:67], v63 offset0:32 offset1:48
	s_wait_dscnt 0x0
	v_fmac_f64_e32 v[28:29], v[64:65], v[50:51]
	v_fmac_f64_e32 v[24:25], v[66:67], v[50:51]
	v_fmac_f64_e32 v[22:23], v[64:65], v[70:71]
	v_fmac_f64_e32 v[20:21], v[66:67], v[70:71]
	ds_load_2addr_b64 v[48:51], v63 offset0:64 offset1:80
	s_wait_dscnt 0x0
	v_fmac_f64_e32 v[28:29], v[48:49], v[72:73]
	v_fmac_f64_e32 v[24:25], v[50:51], v[72:73]
	;; [unrolled: 6-line block ×3, first 2 shown]
	v_fmac_f64_e32 v[22:23], v[48:49], v[78:79]
	v_fmac_f64_e32 v[20:21], v[50:51], v[78:79]
	ds_load_b128 v[48:51], v55 offset:224
	ds_load_2addr_b64 v[64:67], v63 offset0:128 offset1:144
	ds_load_b128 v[68:71], v55 offset:4320
	ds_load_b128 v[72:75], v55 offset:240
	;; [unrolled: 1-line block ×3, first 2 shown]
	s_wait_dscnt 0x3
	v_fmac_f64_e32 v[28:29], v[64:65], v[48:49]
	v_fmac_f64_e32 v[24:25], v[66:67], v[48:49]
	s_wait_dscnt 0x2
	v_fmac_f64_e32 v[22:23], v[64:65], v[68:69]
	v_fmac_f64_e32 v[20:21], v[66:67], v[68:69]
	ds_load_2addr_b64 v[64:67], v63 offset0:160 offset1:176
	s_wait_dscnt 0x0
	v_fmac_f64_e32 v[28:29], v[64:65], v[50:51]
	v_fmac_f64_e32 v[24:25], v[66:67], v[50:51]
	;; [unrolled: 1-line block ×4, first 2 shown]
	ds_load_2addr_b64 v[48:51], v63 offset0:192 offset1:208
	s_wait_dscnt 0x0
	v_fmac_f64_e32 v[28:29], v[48:49], v[72:73]
	v_fmac_f64_e32 v[24:25], v[50:51], v[72:73]
	;; [unrolled: 1-line block ×4, first 2 shown]
	ds_load_2addr_b64 v[48:51], v63 offset0:224 offset1:240
	s_wait_dscnt 0x0
	s_barrier_signal -1
	s_barrier_wait -1
	v_fmac_f64_e32 v[28:29], v[48:49], v[74:75]
	v_fmac_f64_e32 v[24:25], v[50:51], v[74:75]
	;; [unrolled: 1-line block ×4, first 2 shown]
	s_cbranch_scc1 .LBB49_47
.LBB49_10:                              ;   Parent Loop BB49_4 Depth=1
                                        ;     Parent Loop BB49_7 Depth=2
                                        ; =>    This Inner Loop Header: Depth=3
	v_add_nc_u64_e32 v[48:49], s[50:51], v[16:17]
	v_cmp_eq_u64_e64 s7, s[50:51], v[38:39]
	v_add_nc_u64_e32 v[50:51], v[30:31], v[40:41]
                                        ; implicit-def: $vgpr52_vgpr53
	s_delay_alu instid0(VALU_DEP_3) | instskip(SKIP_3) | instid1(SALU_CYCLE_1)
	v_cmp_lt_i64_e64 s5, v[48:49], v[18:19]
	v_cmp_le_i64_e64 s6, s[44:45], v[48:49]
	s_and_b32 s59, s54, s7
	s_or_b32 s8, s4, s5
	s_or_b32 s7, s6, s8
	s_delay_alu instid0(SALU_CYCLE_1) | instskip(NEXT) | instid1(SALU_CYCLE_1)
	s_nor_b32 s7, s7, s59
	s_and_saveexec_b32 s8, s7
	s_delay_alu instid0(SALU_CYCLE_1)
	s_xor_b32 s7, exec_lo, s8
	s_cbranch_execz .LBB49_12
; %bb.11:                               ;   in Loop: Header=BB49_10 Depth=3
	global_load_b64 v[52:53], v[50:51], off
.LBB49_12:                              ;   in Loop: Header=BB49_10 Depth=3
	s_wait_xcnt 0x0
	s_and_not1_saveexec_b32 s7, s7
	s_cbranch_execz .LBB49_14
; %bb.13:                               ;   in Loop: Header=BB49_10 Depth=3
	v_cndmask_b32_e64 v7, 0, 0x3ff00000, s59
	s_wait_loadcnt 0x0
	s_delay_alu instid0(VALU_DEP_1)
	v_mov_b64_e32 v[52:53], v[6:7]
.LBB49_14:                              ;   in Loop: Header=BB49_10 Depth=3
	s_or_b32 exec_lo, exec_lo, s7
	v_add_nc_u64_e32 v[64:65], 16, v[48:49]
	v_cmp_eq_u64_e64 s9, s[50:51], v[44:45]
	s_wait_loadcnt 0x0
	ds_store_b64 v57, v[52:53]
	v_cmp_lt_i64_e64 s8, v[64:65], v[18:19]
	v_cmp_le_i64_e64 s7, s[44:45], v[64:65]
	s_and_b32 s9, s54, s9
	s_or_b32 s8, s4, s8
	s_delay_alu instid0(SALU_CYCLE_1) | instskip(NEXT) | instid1(SALU_CYCLE_1)
	s_or_b32 s8, s7, s8
	s_nor_b32 s8, s8, s9
	s_delay_alu instid0(SALU_CYCLE_1) | instskip(NEXT) | instid1(SALU_CYCLE_1)
	s_and_saveexec_b32 s60, s8
	s_xor_b32 s8, exec_lo, s60
	s_cbranch_execz .LBB49_16
; %bb.15:                               ;   in Loop: Header=BB49_10 Depth=3
	global_load_b64 v[50:51], v[50:51], off offset:128
	s_wait_loadcnt 0x0
	ds_store_b64 v57, v[50:51] offset:128
.LBB49_16:                              ;   in Loop: Header=BB49_10 Depth=3
	s_wait_xcnt 0x0
	s_and_not1_saveexec_b32 s8, s8
	s_cbranch_execz .LBB49_22
; %bb.17:                               ;   in Loop: Header=BB49_10 Depth=3
	s_xor_b32 s9, s9, -1
	s_delay_alu instid0(SALU_CYCLE_1) | instskip(NEXT) | instid1(SALU_CYCLE_1)
	s_and_saveexec_b32 s60, s9
	s_xor_b32 s9, exec_lo, s60
; %bb.18:                               ;   in Loop: Header=BB49_10 Depth=3
	ds_store_b64 v57, v[8:9] offset:128
; %bb.19:                               ;   in Loop: Header=BB49_10 Depth=3
	s_and_not1_saveexec_b32 s9, s9
; %bb.20:                               ;   in Loop: Header=BB49_10 Depth=3
	ds_store_b64 v57, v[10:11] offset:128
; %bb.21:                               ;   in Loop: Header=BB49_10 Depth=3
	s_or_b32 exec_lo, exec_lo, s9
.LBB49_22:                              ;   in Loop: Header=BB49_10 Depth=3
	s_delay_alu instid0(SALU_CYCLE_1)
	s_or_b32 exec_lo, exec_lo, s8
	v_cmp_eq_u64_e64 s8, s[50:51], v[42:43]
	v_cmp_lt_i64_e64 s9, v[48:49], v[36:37]
	v_add_nc_u64_e32 v[48:49], v[32:33], v[40:41]
                                        ; implicit-def: $vgpr50_vgpr51
	s_and_b32 s8, s54, s8
	s_or_b32 s9, vcc_lo, s9
	s_delay_alu instid0(SALU_CYCLE_1) | instskip(NEXT) | instid1(SALU_CYCLE_1)
	s_or_b32 s9, s9, s8
	s_nor_b32 s6, s6, s9
	s_delay_alu instid0(SALU_CYCLE_1) | instskip(NEXT) | instid1(SALU_CYCLE_1)
	s_and_saveexec_b32 s9, s6
	s_xor_b32 s6, exec_lo, s9
	s_cbranch_execz .LBB49_24
; %bb.23:                               ;   in Loop: Header=BB49_10 Depth=3
	global_load_b64 v[50:51], v[48:49], off
.LBB49_24:                              ;   in Loop: Header=BB49_10 Depth=3
	s_wait_xcnt 0x0
	s_and_not1_saveexec_b32 s6, s6
	s_cbranch_execz .LBB49_26
; %bb.25:                               ;   in Loop: Header=BB49_10 Depth=3
	v_cndmask_b32_e64 v7, 0, 0x3ff00000, s8
	s_wait_loadcnt 0x0
	s_delay_alu instid0(VALU_DEP_1)
	v_mov_b64_e32 v[50:51], v[6:7]
.LBB49_26:                              ;   in Loop: Header=BB49_10 Depth=3
	s_or_b32 exec_lo, exec_lo, s6
	s_or_b32 s5, vcc_lo, s5
	s_wait_loadcnt 0x0
	ds_store_b64 v57, v[50:51] offset:4096
	s_or_b32 s5, s7, s5
	s_delay_alu instid0(SALU_CYCLE_1) | instskip(NEXT) | instid1(SALU_CYCLE_1)
	s_nor_b32 s5, s5, s59
	s_and_saveexec_b32 s6, s5
	s_delay_alu instid0(SALU_CYCLE_1)
	s_xor_b32 s5, exec_lo, s6
	s_cbranch_execz .LBB49_28
; %bb.27:                               ;   in Loop: Header=BB49_10 Depth=3
	global_load_b64 v[48:49], v[48:49], off offset:128
	s_wait_loadcnt 0x0
	ds_store_b64 v57, v[48:49] offset:4224
.LBB49_28:                              ;   in Loop: Header=BB49_10 Depth=3
	s_wait_xcnt 0x0
	s_and_not1_saveexec_b32 s5, s5
	s_cbranch_execz .LBB49_34
; %bb.29:                               ;   in Loop: Header=BB49_10 Depth=3
	s_xor_b32 s6, s59, -1
	s_delay_alu instid0(SALU_CYCLE_1) | instskip(NEXT) | instid1(SALU_CYCLE_1)
	s_and_saveexec_b32 s7, s6
	s_xor_b32 s6, exec_lo, s7
; %bb.30:                               ;   in Loop: Header=BB49_10 Depth=3
	ds_store_b64 v57, v[8:9] offset:4224
; %bb.31:                               ;   in Loop: Header=BB49_10 Depth=3
	s_and_not1_saveexec_b32 s6, s6
; %bb.32:                               ;   in Loop: Header=BB49_10 Depth=3
	ds_store_b64 v57, v[10:11] offset:4224
; %bb.33:                               ;   in Loop: Header=BB49_10 Depth=3
	s_or_b32 exec_lo, exec_lo, s6
.LBB49_34:                              ;   in Loop: Header=BB49_10 Depth=3
	s_delay_alu instid0(SALU_CYCLE_1) | instskip(SKIP_3) | instid1(VALU_DEP_3)
	s_or_b32 exec_lo, exec_lo, s5
	v_add_nc_u64_e32 v[48:49], s[50:51], v[14:15]
	v_add_nc_u64_e32 v[50:51], v[46:47], v[26:27]
	v_mov_b64_e32 v[52:53], 0
	v_cmp_le_i64_e64 s5, s[44:45], v[48:49]
	s_nor_b32 s7, s5, s2
	s_delay_alu instid0(SALU_CYCLE_1)
	s_and_saveexec_b32 s6, s7
	s_cbranch_execz .LBB49_36
; %bb.35:                               ;   in Loop: Header=BB49_10 Depth=3
	global_load_b64 v[52:53], v[50:51], off offset:-128
.LBB49_36:                              ;   in Loop: Header=BB49_10 Depth=3
	s_wait_xcnt 0x0
	s_or_b32 exec_lo, exec_lo, s6
	s_nor_b32 s5, s5, s3
	s_wait_loadcnt 0x0
	ds_store_b64 v58, v[52:53]
	s_and_saveexec_b32 s6, s5
	s_delay_alu instid0(SALU_CYCLE_1)
	s_xor_b32 s5, exec_lo, s6
	s_cbranch_execz .LBB49_38
; %bb.37:                               ;   in Loop: Header=BB49_10 Depth=3
	global_load_b64 v[50:51], v[50:51], off
	s_wait_loadcnt 0x0
	ds_store_b64 v58, v[50:51] offset:128
.LBB49_38:                              ;   in Loop: Header=BB49_10 Depth=3
	s_wait_xcnt 0x0
	s_and_not1_saveexec_b32 s5, s5
; %bb.39:                               ;   in Loop: Header=BB49_10 Depth=3
	ds_store_b64 v58, v[8:9] offset:128
; %bb.40:                               ;   in Loop: Header=BB49_10 Depth=3
	s_or_b32 exec_lo, exec_lo, s5
	v_cmp_le_i64_e64 s5, s[26:27], v[48:49]
	v_add_nc_u64_e32 v[48:49], v[46:47], v[34:35]
	v_mov_b64_e32 v[50:51], 0
	s_nor_b32 s7, s5, s2
	s_delay_alu instid0(SALU_CYCLE_1)
	s_and_saveexec_b32 s6, s7
	s_cbranch_execz .LBB49_42
; %bb.41:                               ;   in Loop: Header=BB49_10 Depth=3
	global_load_b64 v[50:51], v[48:49], off offset:-128
.LBB49_42:                              ;   in Loop: Header=BB49_10 Depth=3
	s_wait_xcnt 0x0
	s_or_b32 exec_lo, exec_lo, s6
	s_nor_b32 s5, s5, s3
	s_wait_loadcnt 0x0
	ds_store_b64 v58, v[50:51] offset:4096
	s_and_saveexec_b32 s6, s5
	s_delay_alu instid0(SALU_CYCLE_1)
	s_xor_b32 s5, exec_lo, s6
	s_cbranch_execz .LBB49_44
; %bb.43:                               ;   in Loop: Header=BB49_10 Depth=3
	global_load_b64 v[48:49], v[48:49], off
	s_wait_loadcnt 0x0
	ds_store_b64 v58, v[48:49] offset:4224
.LBB49_44:                              ;   in Loop: Header=BB49_10 Depth=3
	s_wait_xcnt 0x0
	s_and_not1_saveexec_b32 s5, s5
	s_cbranch_execz .LBB49_9
; %bb.45:                               ;   in Loop: Header=BB49_10 Depth=3
	ds_store_b64 v58, v[8:9] offset:4224
	s_branch .LBB49_9
.LBB49_46:                              ;   in Loop: Header=BB49_7 Depth=2
	v_mov_b64_e32 v[28:29], 0
	v_mov_b64_e32 v[24:25], 0
	;; [unrolled: 1-line block ×4, first 2 shown]
.LBB49_47:                              ;   in Loop: Header=BB49_7 Depth=2
	v_mul_u64_e32 v[26:27], s[28:29], v[18:19]
	v_cmp_gt_i32_e32 vcc_lo, s38, v18
	s_and_b32 s5, s0, vcc_lo
	s_delay_alu instid0(VALU_DEP_2)
	v_lshl_add_u64 v[26:27], v[26:27], 3, s[48:49]
	s_and_saveexec_b32 s4, s5
	s_cbranch_execz .LBB49_49
; %bb.48:                               ;   in Loop: Header=BB49_7 Depth=2
	s_delay_alu instid0(VALU_DEP_1)
	v_lshl_add_u64 v[30:31], v[0:1], 3, v[26:27]
	global_load_b64 v[32:33], v[30:31], off
	s_wait_loadcnt 0x0
	v_fmac_f64_e32 v[32:33], s[40:41], v[28:29]
	global_store_b64 v[30:31], v[32:33], off
.LBB49_49:                              ;   in Loop: Header=BB49_7 Depth=2
	s_wait_xcnt 0x0
	s_or_b32 exec_lo, exec_lo, s4
	s_and_b32 s5, s1, vcc_lo
	s_delay_alu instid0(SALU_CYCLE_1)
	s_and_saveexec_b32 s4, s5
	s_cbranch_execz .LBB49_51
; %bb.50:                               ;   in Loop: Header=BB49_7 Depth=2
	v_lshl_add_u64 v[26:27], v[2:3], 3, v[26:27]
	global_load_b64 v[28:29], v[26:27], off
	s_wait_loadcnt 0x0
	v_fmac_f64_e32 v[28:29], s[40:41], v[24:25]
	global_store_b64 v[26:27], v[28:29], off
.LBB49_51:                              ;   in Loop: Header=BB49_7 Depth=2
	s_wait_xcnt 0x0
	s_or_b32 exec_lo, exec_lo, s4
	v_add_nc_u32_e32 v18, 16, v18
	s_delay_alu instid0(VALU_DEP_1) | instskip(SKIP_1) | instid1(VALU_DEP_2)
	v_ashrrev_i32_e32 v19, 31, v18
	v_cmp_gt_i32_e32 vcc_lo, s38, v18
	v_mul_u64_e32 v[24:25], s[28:29], v[18:19]
	s_and_b32 s5, s0, vcc_lo
	s_delay_alu instid0(VALU_DEP_1)
	v_lshl_add_u64 v[18:19], v[24:25], 3, s[48:49]
	s_and_saveexec_b32 s4, s5
	s_cbranch_execz .LBB49_53
; %bb.52:                               ;   in Loop: Header=BB49_7 Depth=2
	s_delay_alu instid0(VALU_DEP_1)
	v_lshl_add_u64 v[24:25], v[0:1], 3, v[18:19]
	global_load_b64 v[26:27], v[24:25], off
	s_wait_loadcnt 0x0
	v_fmac_f64_e32 v[26:27], s[40:41], v[22:23]
	global_store_b64 v[24:25], v[26:27], off
.LBB49_53:                              ;   in Loop: Header=BB49_7 Depth=2
	s_wait_xcnt 0x0
	s_or_b32 exec_lo, exec_lo, s4
	s_and_b32 s5, s1, vcc_lo
	s_delay_alu instid0(SALU_CYCLE_1)
	s_and_saveexec_b32 s4, s5
	s_cbranch_execz .LBB49_6
; %bb.54:                               ;   in Loop: Header=BB49_7 Depth=2
	v_lshl_add_u64 v[18:19], v[2:3], 3, v[18:19]
	global_load_b64 v[22:23], v[18:19], off
	s_wait_loadcnt 0x0
	v_fmac_f64_e32 v[22:23], s[40:41], v[20:21]
	global_store_b64 v[18:19], v[22:23], off
	s_branch .LBB49_6
.LBB49_55:
	s_sendmsg sendmsg(MSG_DEALLOC_VGPRS)
	s_endpgm
	.section	.rodata,"a",@progbits
	.p2align	6, 0x0
	.amdhsa_kernel _ZL30rocblas_trmm_outofplace_kernelIdLi32ELi2ELb0ELb0ELb0ELb0EdKddEv17rocblas_diagonal_iiT6_lPT7_lllS4_lllPT8_llli
		.amdhsa_group_segment_fixed_size 16384
		.amdhsa_private_segment_fixed_size 0
		.amdhsa_kernarg_size 392
		.amdhsa_user_sgpr_count 2
		.amdhsa_user_sgpr_dispatch_ptr 0
		.amdhsa_user_sgpr_queue_ptr 0
		.amdhsa_user_sgpr_kernarg_segment_ptr 1
		.amdhsa_user_sgpr_dispatch_id 0
		.amdhsa_user_sgpr_kernarg_preload_length 0
		.amdhsa_user_sgpr_kernarg_preload_offset 0
		.amdhsa_user_sgpr_private_segment_size 0
		.amdhsa_wavefront_size32 1
		.amdhsa_uses_dynamic_stack 0
		.amdhsa_enable_private_segment 0
		.amdhsa_system_sgpr_workgroup_id_x 1
		.amdhsa_system_sgpr_workgroup_id_y 1
		.amdhsa_system_sgpr_workgroup_id_z 1
		.amdhsa_system_sgpr_workgroup_info 0
		.amdhsa_system_vgpr_workitem_id 1
		.amdhsa_next_free_vgpr 80
		.amdhsa_next_free_sgpr 61
		.amdhsa_named_barrier_count 0
		.amdhsa_reserve_vcc 1
		.amdhsa_float_round_mode_32 0
		.amdhsa_float_round_mode_16_64 0
		.amdhsa_float_denorm_mode_32 3
		.amdhsa_float_denorm_mode_16_64 3
		.amdhsa_fp16_overflow 0
		.amdhsa_memory_ordered 1
		.amdhsa_forward_progress 1
		.amdhsa_inst_pref_size 25
		.amdhsa_round_robin_scheduling 0
		.amdhsa_exception_fp_ieee_invalid_op 0
		.amdhsa_exception_fp_denorm_src 0
		.amdhsa_exception_fp_ieee_div_zero 0
		.amdhsa_exception_fp_ieee_overflow 0
		.amdhsa_exception_fp_ieee_underflow 0
		.amdhsa_exception_fp_ieee_inexact 0
		.amdhsa_exception_int_div_zero 0
	.end_amdhsa_kernel
	.section	.text._ZL30rocblas_trmm_outofplace_kernelIdLi32ELi2ELb0ELb0ELb0ELb0EdKddEv17rocblas_diagonal_iiT6_lPT7_lllS4_lllPT8_llli,"axG",@progbits,_ZL30rocblas_trmm_outofplace_kernelIdLi32ELi2ELb0ELb0ELb0ELb0EdKddEv17rocblas_diagonal_iiT6_lPT7_lllS4_lllPT8_llli,comdat
.Lfunc_end49:
	.size	_ZL30rocblas_trmm_outofplace_kernelIdLi32ELi2ELb0ELb0ELb0ELb0EdKddEv17rocblas_diagonal_iiT6_lPT7_lllS4_lllPT8_llli, .Lfunc_end49-_ZL30rocblas_trmm_outofplace_kernelIdLi32ELi2ELb0ELb0ELb0ELb0EdKddEv17rocblas_diagonal_iiT6_lPT7_lllS4_lllPT8_llli
                                        ; -- End function
	.set _ZL30rocblas_trmm_outofplace_kernelIdLi32ELi2ELb0ELb0ELb0ELb0EdKddEv17rocblas_diagonal_iiT6_lPT7_lllS4_lllPT8_llli.num_vgpr, 80
	.set _ZL30rocblas_trmm_outofplace_kernelIdLi32ELi2ELb0ELb0ELb0ELb0EdKddEv17rocblas_diagonal_iiT6_lPT7_lllS4_lllPT8_llli.num_agpr, 0
	.set _ZL30rocblas_trmm_outofplace_kernelIdLi32ELi2ELb0ELb0ELb0ELb0EdKddEv17rocblas_diagonal_iiT6_lPT7_lllS4_lllPT8_llli.numbered_sgpr, 61
	.set _ZL30rocblas_trmm_outofplace_kernelIdLi32ELi2ELb0ELb0ELb0ELb0EdKddEv17rocblas_diagonal_iiT6_lPT7_lllS4_lllPT8_llli.num_named_barrier, 0
	.set _ZL30rocblas_trmm_outofplace_kernelIdLi32ELi2ELb0ELb0ELb0ELb0EdKddEv17rocblas_diagonal_iiT6_lPT7_lllS4_lllPT8_llli.private_seg_size, 0
	.set _ZL30rocblas_trmm_outofplace_kernelIdLi32ELi2ELb0ELb0ELb0ELb0EdKddEv17rocblas_diagonal_iiT6_lPT7_lllS4_lllPT8_llli.uses_vcc, 1
	.set _ZL30rocblas_trmm_outofplace_kernelIdLi32ELi2ELb0ELb0ELb0ELb0EdKddEv17rocblas_diagonal_iiT6_lPT7_lllS4_lllPT8_llli.uses_flat_scratch, 0
	.set _ZL30rocblas_trmm_outofplace_kernelIdLi32ELi2ELb0ELb0ELb0ELb0EdKddEv17rocblas_diagonal_iiT6_lPT7_lllS4_lllPT8_llli.has_dyn_sized_stack, 0
	.set _ZL30rocblas_trmm_outofplace_kernelIdLi32ELi2ELb0ELb0ELb0ELb0EdKddEv17rocblas_diagonal_iiT6_lPT7_lllS4_lllPT8_llli.has_recursion, 0
	.set _ZL30rocblas_trmm_outofplace_kernelIdLi32ELi2ELb0ELb0ELb0ELb0EdKddEv17rocblas_diagonal_iiT6_lPT7_lllS4_lllPT8_llli.has_indirect_call, 0
	.section	.AMDGPU.csdata,"",@progbits
; Kernel info:
; codeLenInByte = 3184
; TotalNumSgprs: 63
; NumVgprs: 80
; ScratchSize: 0
; MemoryBound: 0
; FloatMode: 240
; IeeeMode: 1
; LDSByteSize: 16384 bytes/workgroup (compile time only)
; SGPRBlocks: 0
; VGPRBlocks: 4
; NumSGPRsForWavesPerEU: 63
; NumVGPRsForWavesPerEU: 80
; NamedBarCnt: 0
; Occupancy: 12
; WaveLimiterHint : 0
; COMPUTE_PGM_RSRC2:SCRATCH_EN: 0
; COMPUTE_PGM_RSRC2:USER_SGPR: 2
; COMPUTE_PGM_RSRC2:TRAP_HANDLER: 0
; COMPUTE_PGM_RSRC2:TGID_X_EN: 1
; COMPUTE_PGM_RSRC2:TGID_Y_EN: 1
; COMPUTE_PGM_RSRC2:TGID_Z_EN: 1
; COMPUTE_PGM_RSRC2:TIDIG_COMP_CNT: 1
	.section	.text._ZL30rocblas_trmm_outofplace_kernelIdLi32ELi2ELb0ELb1ELb0ELb0EPKdS0_dEv17rocblas_diagonal_iiT6_lPT7_lllS5_lllPT8_llli,"axG",@progbits,_ZL30rocblas_trmm_outofplace_kernelIdLi32ELi2ELb0ELb1ELb0ELb0EPKdS0_dEv17rocblas_diagonal_iiT6_lPT7_lllS5_lllPT8_llli,comdat
	.globl	_ZL30rocblas_trmm_outofplace_kernelIdLi32ELi2ELb0ELb1ELb0ELb0EPKdS0_dEv17rocblas_diagonal_iiT6_lPT7_lllS5_lllPT8_llli ; -- Begin function _ZL30rocblas_trmm_outofplace_kernelIdLi32ELi2ELb0ELb1ELb0ELb0EPKdS0_dEv17rocblas_diagonal_iiT6_lPT7_lllS5_lllPT8_llli
	.p2align	8
	.type	_ZL30rocblas_trmm_outofplace_kernelIdLi32ELi2ELb0ELb1ELb0ELb0EPKdS0_dEv17rocblas_diagonal_iiT6_lPT7_lllS5_lllPT8_llli,@function
_ZL30rocblas_trmm_outofplace_kernelIdLi32ELi2ELb0ELb1ELb0ELb0EPKdS0_dEv17rocblas_diagonal_iiT6_lPT7_lllS5_lllPT8_llli: ; @_ZL30rocblas_trmm_outofplace_kernelIdLi32ELi2ELb0ELb1ELb0ELb0EPKdS0_dEv17rocblas_diagonal_iiT6_lPT7_lllS5_lllPT8_llli
; %bb.0:
	s_load_b32 s33, s[0:1], 0x80
	s_bfe_u32 s2, ttmp6, 0x40014
	s_lshr_b32 s3, ttmp7, 16
	s_add_co_i32 s2, s2, 1
	s_bfe_u32 s5, ttmp6, 0x40008
	s_mul_i32 s4, s3, s2
	s_getreg_b32 s2, hwreg(HW_REG_IB_STS2, 6, 4)
	s_add_co_i32 s5, s5, s4
	s_cmp_eq_u32 s2, 0
	s_mov_b32 s35, 0
	s_cselect_b32 s34, s3, s5
	s_wait_kmcnt 0x0
	s_cmp_ge_u32 s34, s33
	s_cbranch_scc1 .LBB50_55
; %bb.1:
	s_clause 0x3
	s_load_b96 s[36:38], s[0:1], 0x0
	s_load_b512 s[12:27], s[0:1], 0x10
	s_load_b128 s[28:31], s[0:1], 0x70
	s_load_b256 s[4:11], s[0:1], 0x50
	s_bfe_u32 s39, ttmp6, 0x4000c
	s_and_b32 s3, ttmp6, 15
	s_add_co_i32 s39, s39, 1
	s_bfe_u32 s41, ttmp6, 0x40010
	s_mul_i32 s39, ttmp9, s39
	s_and_b32 s40, ttmp7, 0xffff
	s_add_co_i32 s41, s41, 1
	s_add_co_i32 s3, s3, s39
	s_bfe_u32 s42, ttmp6, 0x40004
	s_mul_i32 s41, s40, s41
	v_and_b32_e32 v2, 0x3ff, v0
	v_bfe_u32 v0, v0, 10, 10
	v_mov_b32_e32 v4, 0
	s_add_co_i32 s42, s42, s41
	v_mov_b64_e32 v[18:19], 0
	s_delay_alu instid0(VALU_DEP_3)
	v_dual_lshlrev_b32 v8, 3, v2 :: v_dual_lshlrev_b32 v58, 8, v0
	s_wait_kmcnt 0x0
	s_add_co_i32 s43, s38, -1
	v_lshlrev_b32_e32 v10, 3, v0
	s_ashr_i32 s44, s43, 31
	s_lshl_b64 s[10:11], s[10:11], 3
	s_lshr_b32 s39, s44, 27
	v_dual_mov_b32 v3, v4 :: v_dual_mov_b32 v1, v4
	s_add_co_i32 s43, s43, s39
	v_or_b32_e32 v59, 0x2000, v8
	s_ashr_i32 s39, s43, 5
	s_cmp_eq_u32 s2, 0
	v_mul_u64_e32 v[14:15], s[4:5], v[0:1]
	s_cselect_b32 s2, ttmp9, s3
	s_cselect_b32 s50, s40, s42
	v_lshl_add_u32 v6, s2, 5, v2
	v_mov_b32_e32 v11, v4
	s_cmp_le_i32 s50, s39
	s_mov_b32 s2, s37
	s_cselect_b32 s51, -1, 0
	v_ashrrev_i32_e32 v7, 31, v6
	v_add_nc_u64_e32 v[10:11], 0x80, v[10:11]
	s_cmp_eq_u32 s36, 0x84
	s_add_nc_u64 s[44:45], s[0:1], 0x88
	s_cselect_b32 s52, -1, 0
	s_ashr_i32 s3, s37, 31
	s_lshl_b64 s[42:43], s[4:5], 8
	v_sub_nc_u64_e32 v[12:13], s[2:3], v[6:7]
	v_mul_u64_e32 v[10:11], s[4:5], v[10:11]
	s_lshl_b64 s[2:3], s[26:27], 3
	v_mov_b64_e32 v[20:21], 1.0
	s_add_nc_u64 s[4:5], s[24:25], s[2:3]
	v_dual_add_nc_u32 v60, v58, v8 :: v_dual_add_nc_u32 v61, v59, v58
	v_lshl_add_u64 v[16:17], v[6:7], 3, s[4:5]
	v_cmp_gt_i64_e64 s0, 1, v[12:13]
	v_cmp_gt_i64_e64 s1, 17, v[12:13]
	v_dual_mov_b32 v9, v4 :: v_dual_add_nc_u32 v12, 16, v6
	s_delay_alu instid0(VALU_DEP_4) | instskip(SKIP_2) | instid1(VALU_DEP_4)
	v_add_nc_u64_e32 v[16:17], 0x80, v[16:17]
	v_cmp_gt_i32_e64 s2, s37, v6
	v_lshl_add_u32 v62, s50, 5, v0
	v_cmp_gt_i32_e64 s3, s37, v12
	v_ashrrev_i32_e32 v13, 31, v12
	v_lshlrev_b64_e32 v[14:15], 3, v[14:15]
	v_add_nc_u32_e32 v63, 0x800, v59
	v_add_nc_u32_e32 v64, 0x1000, v59
	;; [unrolled: 1-line block ×3, first 2 shown]
	s_ashr_i32 s41, s38, 31
	s_mov_b32 s40, s38
	s_lshl_b64 s[4:5], s[18:19], 3
	s_add_nc_u64 s[10:11], s[8:9], s[10:11]
	s_add_nc_u64 s[26:27], s[40:41], -16
	s_lshl_b64 s[24:25], s[6:7], 3
	s_add_nc_u64 s[16:17], s[16:17], s[4:5]
	s_lshl_b64 s[18:19], s[22:23], 3
	s_lshl_b64 s[22:23], s[20:21], 3
	s_branch .LBB50_4
.LBB50_2:                               ;   in Loop: Header=BB50_4 Depth=1
	s_add_co_i32 s34, s34, 0x10000
	s_delay_alu instid0(SALU_CYCLE_1)
	s_cmp_ge_u32 s34, s33
	s_cselect_b32 s4, -1, 0
.LBB50_3:                               ;   in Loop: Header=BB50_4 Depth=1
	s_delay_alu instid0(SALU_CYCLE_1)
	s_and_b32 vcc_lo, exec_lo, s4
	s_cbranch_vccnz .LBB50_55
.LBB50_4:                               ; =>This Loop Header: Depth=1
                                        ;     Child Loop BB50_8 Depth 2
                                        ;       Child Loop BB50_11 Depth 3
	s_mul_u64 s[4:5], s[14:15], s[34:35]
	s_delay_alu instid0(SALU_CYCLE_1) | instskip(NEXT) | instid1(SALU_CYCLE_1)
	s_lshl_b64 s[4:5], s[4:5], 3
	s_add_nc_u64 s[4:5], s[12:13], s[4:5]
	global_load_b64 v[22:23], v4, s[4:5]
	s_wait_xcnt 0x0
	s_mov_b32 s4, -1
	s_wait_loadcnt 0x0
	v_cmp_eq_f64_e32 vcc_lo, 0, v[22:23]
	s_cbranch_vccnz .LBB50_3
; %bb.5:                                ;   in Loop: Header=BB50_4 Depth=1
	s_and_not1_b32 vcc_lo, exec_lo, s51
	s_cbranch_vccnz .LBB50_2
; %bb.6:                                ;   in Loop: Header=BB50_4 Depth=1
	s_load_b32 s53, s[44:45], 0x4
	v_mad_nc_u64_u32 v[24:25], s24, s34, v[16:17]
	s_mul_u64 s[6:7], s[30:31], s[34:35]
	v_mov_b32_e32 v26, v62
	s_mul_u64 s[4:5], s[18:19], s[34:35]
	s_lshl_b64 s[6:7], s[6:7], 3
	s_add_nc_u64 s[36:37], s[16:17], s[4:5]
	s_add_nc_u64 s[46:47], s[10:11], s[6:7]
	s_mov_b32 s55, s50
	s_delay_alu instid0(VALU_DEP_2)
	v_mad_u32 v25, s25, s34, v25
	s_wait_kmcnt 0x0
	s_lshl_b32 s54, s53, 5
	s_branch .LBB50_8
.LBB50_7:                               ;   in Loop: Header=BB50_8 Depth=2
	s_wait_xcnt 0x0
	s_or_b32 exec_lo, exec_lo, s4
	v_add_nc_u32_e32 v26, s54, v26
	s_add_co_i32 s55, s53, s55
	s_delay_alu instid0(SALU_CYCLE_1)
	s_cmp_gt_i32 s55, s39
	s_cbranch_scc1 .LBB50_2
.LBB50_8:                               ;   Parent Loop BB50_4 Depth=1
                                        ; =>  This Loop Header: Depth=2
                                        ;       Child Loop BB50_11 Depth 3
	s_lshl_b32 s56, s55, 5
	v_mov_b64_e32 v[36:37], 0
	v_add_nc_u32_e32 v28, s56, v0
	v_mov_b64_e32 v[34:35], 0
	v_mov_b64_e32 v[32:33], 0
	;; [unrolled: 1-line block ×3, first 2 shown]
	s_cmp_lt_i32 s55, 0
	v_ashrrev_i32_e32 v29, 31, v28
	s_cbranch_scc1 .LBB50_47
; %bb.9:                                ;   in Loop: Header=BB50_8 Depth=2
	v_ashrrev_i32_e32 v27, 31, v26
	v_mad_nc_u64_u32 v[38:39], s22, v26, s[36:37]
	v_sub_nc_u64_e32 v[32:33], 0, v[2:3]
	v_add_nc_u64_e32 v[42:43], 16, v[28:29]
	v_mov_b64_e32 v[34:35], 0
	v_lshl_add_u64 v[30:31], v[26:27], 3, 0x80
	v_mov_b64_e32 v[36:37], 0
	v_mov_b64_e32 v[50:51], v[24:25]
	v_cmp_le_i32_e64 s4, s38, v28
	v_add_nc_u64_e32 v[44:45], v[32:33], v[26:27]
	v_mad_nc_u64_u32 v[40:41], s20, v30, s[36:37]
	v_mov_b64_e32 v[32:33], 0
	v_mad_u32 v5, s23, v26, v39
	s_mov_b64 s[48:49], 0
	v_cmp_le_i64_e32 vcc_lo, s[40:41], v[42:43]
	v_add_nc_u64_e32 v[46:47], 16, v[44:45]
	v_add_nc_u64_e32 v[48:49], -16, v[44:45]
	v_mad_u32 v30, s21, v30, v41
	v_mad_u32 v39, s22, v27, v5
	s_delay_alu instid0(VALU_DEP_2)
	v_mad_u32 v41, s20, v31, v30
	v_mov_b64_e32 v[30:31], 0
	s_branch .LBB50_11
.LBB50_10:                              ;   in Loop: Header=BB50_11 Depth=3
	s_or_b32 exec_lo, exec_lo, s5
	s_wait_dscnt 0x0
	s_barrier_signal -1
	s_barrier_wait -1
	ds_load_b128 v[52:55], v58
	ds_load_2addr_b64 v[66:69], v59 offset1:16
	ds_load_b128 v[70:73], v58 offset:4096
	ds_load_b128 v[74:77], v58 offset:16
	ds_load_b128 v[78:81], v58 offset:4112
	v_add_nc_u64_e32 v[50:51], s[42:43], v[50:51]
	v_add_nc_u64_e32 v[40:41], 0x100, v[40:41]
	;; [unrolled: 1-line block ×3, first 2 shown]
	s_add_nc_u64 s[48:49], s[48:49], 32
	s_delay_alu instid0(SALU_CYCLE_1) | instskip(NEXT) | instid1(SALU_CYCLE_1)
	s_sub_co_i32 s5, s48, 32
	s_cmp_ge_i32 s5, s56
	s_wait_dscnt 0x3
	v_fmac_f64_e32 v[36:37], v[66:67], v[52:53]
	v_fmac_f64_e32 v[34:35], v[68:69], v[52:53]
	s_wait_dscnt 0x2
	v_fmac_f64_e32 v[32:33], v[66:67], v[70:71]
	v_fmac_f64_e32 v[30:31], v[68:69], v[70:71]
	ds_load_2addr_b64 v[66:69], v59 offset0:32 offset1:48
	s_wait_dscnt 0x0
	v_fmac_f64_e32 v[36:37], v[66:67], v[54:55]
	v_fmac_f64_e32 v[34:35], v[68:69], v[54:55]
	v_fmac_f64_e32 v[32:33], v[66:67], v[72:73]
	v_fmac_f64_e32 v[30:31], v[68:69], v[72:73]
	ds_load_2addr_b64 v[52:55], v59 offset0:64 offset1:80
	s_wait_dscnt 0x0
	v_fmac_f64_e32 v[36:37], v[52:53], v[74:75]
	v_fmac_f64_e32 v[34:35], v[54:55], v[74:75]
	v_fmac_f64_e32 v[32:33], v[52:53], v[78:79]
	v_fmac_f64_e32 v[30:31], v[54:55], v[78:79]
	ds_load_2addr_b64 v[52:55], v59 offset0:96 offset1:112
	s_wait_dscnt 0x0
	v_fmac_f64_e32 v[36:37], v[52:53], v[76:77]
	v_fmac_f64_e32 v[34:35], v[54:55], v[76:77]
	v_fmac_f64_e32 v[32:33], v[52:53], v[80:81]
	v_fmac_f64_e32 v[30:31], v[54:55], v[80:81]
	ds_load_b128 v[52:55], v58 offset:32
	ds_load_2addr_b64 v[66:69], v59 offset0:128 offset1:144
	ds_load_b128 v[70:73], v58 offset:4128
	ds_load_b128 v[74:77], v58 offset:48
	ds_load_b128 v[78:81], v58 offset:4144
	s_wait_dscnt 0x3
	v_fmac_f64_e32 v[36:37], v[66:67], v[52:53]
	v_fmac_f64_e32 v[34:35], v[68:69], v[52:53]
	s_wait_dscnt 0x2
	v_fmac_f64_e32 v[32:33], v[66:67], v[70:71]
	v_fmac_f64_e32 v[30:31], v[68:69], v[70:71]
	ds_load_2addr_b64 v[66:69], v59 offset0:160 offset1:176
	s_wait_dscnt 0x0
	v_fmac_f64_e32 v[36:37], v[66:67], v[54:55]
	v_fmac_f64_e32 v[34:35], v[68:69], v[54:55]
	v_fmac_f64_e32 v[32:33], v[66:67], v[72:73]
	v_fmac_f64_e32 v[30:31], v[68:69], v[72:73]
	ds_load_2addr_b64 v[52:55], v59 offset0:192 offset1:208
	s_wait_dscnt 0x0
	v_fmac_f64_e32 v[36:37], v[52:53], v[74:75]
	v_fmac_f64_e32 v[34:35], v[54:55], v[74:75]
	v_fmac_f64_e32 v[32:33], v[52:53], v[78:79]
	v_fmac_f64_e32 v[30:31], v[54:55], v[78:79]
	ds_load_2addr_b64 v[52:55], v59 offset0:224 offset1:240
	s_wait_dscnt 0x0
	v_fmac_f64_e32 v[36:37], v[52:53], v[76:77]
	v_fmac_f64_e32 v[34:35], v[54:55], v[76:77]
	v_fmac_f64_e32 v[32:33], v[52:53], v[80:81]
	v_fmac_f64_e32 v[30:31], v[54:55], v[80:81]
	ds_load_b128 v[52:55], v58 offset:64
	ds_load_2addr_b64 v[66:69], v63 offset1:16
	ds_load_b128 v[70:73], v58 offset:4160
	ds_load_b128 v[74:77], v58 offset:80
	ds_load_b128 v[78:81], v58 offset:4176
	s_wait_dscnt 0x3
	v_fmac_f64_e32 v[36:37], v[66:67], v[52:53]
	v_fmac_f64_e32 v[34:35], v[68:69], v[52:53]
	s_wait_dscnt 0x2
	v_fmac_f64_e32 v[32:33], v[66:67], v[70:71]
	v_fmac_f64_e32 v[30:31], v[68:69], v[70:71]
	ds_load_2addr_b64 v[66:69], v63 offset0:32 offset1:48
	s_wait_dscnt 0x0
	v_fmac_f64_e32 v[36:37], v[66:67], v[54:55]
	v_fmac_f64_e32 v[34:35], v[68:69], v[54:55]
	v_fmac_f64_e32 v[32:33], v[66:67], v[72:73]
	v_fmac_f64_e32 v[30:31], v[68:69], v[72:73]
	ds_load_2addr_b64 v[52:55], v63 offset0:64 offset1:80
	s_wait_dscnt 0x0
	v_fmac_f64_e32 v[36:37], v[52:53], v[74:75]
	v_fmac_f64_e32 v[34:35], v[54:55], v[74:75]
	v_fmac_f64_e32 v[32:33], v[52:53], v[78:79]
	v_fmac_f64_e32 v[30:31], v[54:55], v[78:79]
	ds_load_2addr_b64 v[52:55], v63 offset0:96 offset1:112
	s_wait_dscnt 0x0
	v_fmac_f64_e32 v[36:37], v[52:53], v[76:77]
	v_fmac_f64_e32 v[34:35], v[54:55], v[76:77]
	v_fmac_f64_e32 v[32:33], v[52:53], v[80:81]
	v_fmac_f64_e32 v[30:31], v[54:55], v[80:81]
	ds_load_b128 v[52:55], v58 offset:96
	ds_load_2addr_b64 v[66:69], v63 offset0:128 offset1:144
	ds_load_b128 v[70:73], v58 offset:4192
	ds_load_b128 v[74:77], v58 offset:112
	ds_load_b128 v[78:81], v58 offset:4208
	s_wait_dscnt 0x3
	v_fmac_f64_e32 v[36:37], v[66:67], v[52:53]
	v_fmac_f64_e32 v[34:35], v[68:69], v[52:53]
	s_wait_dscnt 0x2
	v_fmac_f64_e32 v[32:33], v[66:67], v[70:71]
	v_fmac_f64_e32 v[30:31], v[68:69], v[70:71]
	ds_load_2addr_b64 v[66:69], v63 offset0:160 offset1:176
	s_wait_dscnt 0x0
	v_fmac_f64_e32 v[36:37], v[66:67], v[54:55]
	v_fmac_f64_e32 v[34:35], v[68:69], v[54:55]
	v_fmac_f64_e32 v[32:33], v[66:67], v[72:73]
	v_fmac_f64_e32 v[30:31], v[68:69], v[72:73]
	ds_load_2addr_b64 v[52:55], v63 offset0:192 offset1:208
	s_wait_dscnt 0x0
	v_fmac_f64_e32 v[36:37], v[52:53], v[74:75]
	v_fmac_f64_e32 v[34:35], v[54:55], v[74:75]
	v_fmac_f64_e32 v[32:33], v[52:53], v[78:79]
	v_fmac_f64_e32 v[30:31], v[54:55], v[78:79]
	ds_load_2addr_b64 v[52:55], v63 offset0:224 offset1:240
	s_wait_dscnt 0x0
	v_fmac_f64_e32 v[36:37], v[52:53], v[76:77]
	v_fmac_f64_e32 v[34:35], v[54:55], v[76:77]
	v_fmac_f64_e32 v[32:33], v[52:53], v[80:81]
	v_fmac_f64_e32 v[30:31], v[54:55], v[80:81]
	ds_load_b128 v[52:55], v58 offset:128
	ds_load_2addr_b64 v[66:69], v64 offset1:16
	ds_load_b128 v[70:73], v58 offset:4224
	ds_load_b128 v[74:77], v58 offset:144
	ds_load_b128 v[78:81], v58 offset:4240
	;; [unrolled: 58-line block ×3, first 2 shown]
	s_wait_dscnt 0x3
	v_fmac_f64_e32 v[36:37], v[66:67], v[52:53]
	v_fmac_f64_e32 v[34:35], v[68:69], v[52:53]
	s_wait_dscnt 0x2
	v_fmac_f64_e32 v[32:33], v[66:67], v[70:71]
	v_fmac_f64_e32 v[30:31], v[68:69], v[70:71]
	ds_load_2addr_b64 v[66:69], v65 offset0:32 offset1:48
	s_wait_dscnt 0x0
	v_fmac_f64_e32 v[36:37], v[66:67], v[54:55]
	v_fmac_f64_e32 v[34:35], v[68:69], v[54:55]
	v_fmac_f64_e32 v[32:33], v[66:67], v[72:73]
	v_fmac_f64_e32 v[30:31], v[68:69], v[72:73]
	ds_load_2addr_b64 v[52:55], v65 offset0:64 offset1:80
	s_wait_dscnt 0x0
	v_fmac_f64_e32 v[36:37], v[52:53], v[74:75]
	v_fmac_f64_e32 v[34:35], v[54:55], v[74:75]
	;; [unrolled: 6-line block ×3, first 2 shown]
	v_fmac_f64_e32 v[32:33], v[52:53], v[80:81]
	v_fmac_f64_e32 v[30:31], v[54:55], v[80:81]
	ds_load_b128 v[52:55], v58 offset:224
	ds_load_2addr_b64 v[66:69], v65 offset0:128 offset1:144
	ds_load_b128 v[70:73], v58 offset:4320
	ds_load_b128 v[74:77], v58 offset:240
	;; [unrolled: 1-line block ×3, first 2 shown]
	s_wait_dscnt 0x3
	v_fmac_f64_e32 v[36:37], v[66:67], v[52:53]
	v_fmac_f64_e32 v[34:35], v[68:69], v[52:53]
	s_wait_dscnt 0x2
	v_fmac_f64_e32 v[32:33], v[66:67], v[70:71]
	v_fmac_f64_e32 v[30:31], v[68:69], v[70:71]
	ds_load_2addr_b64 v[66:69], v65 offset0:160 offset1:176
	s_wait_dscnt 0x0
	v_fmac_f64_e32 v[36:37], v[66:67], v[54:55]
	v_fmac_f64_e32 v[34:35], v[68:69], v[54:55]
	;; [unrolled: 1-line block ×4, first 2 shown]
	ds_load_2addr_b64 v[52:55], v65 offset0:192 offset1:208
	s_wait_dscnt 0x0
	v_fmac_f64_e32 v[36:37], v[52:53], v[74:75]
	v_fmac_f64_e32 v[34:35], v[54:55], v[74:75]
	;; [unrolled: 1-line block ×4, first 2 shown]
	ds_load_2addr_b64 v[52:55], v65 offset0:224 offset1:240
	s_wait_dscnt 0x0
	s_barrier_signal -1
	s_barrier_wait -1
	v_fmac_f64_e32 v[36:37], v[52:53], v[76:77]
	v_fmac_f64_e32 v[34:35], v[54:55], v[76:77]
	;; [unrolled: 1-line block ×4, first 2 shown]
	s_cbranch_scc1 .LBB50_47
.LBB50_11:                              ;   Parent Loop BB50_4 Depth=1
                                        ;     Parent Loop BB50_8 Depth=2
                                        ; =>    This Inner Loop Header: Depth=3
	v_add_nc_u64_e32 v[52:53], s[48:49], v[2:3]
	v_cmp_eq_u64_e64 s7, s[48:49], v[44:45]
	v_add_nc_u64_e32 v[54:55], v[38:39], v[8:9]
                                        ; implicit-def: $vgpr56_vgpr57
	s_delay_alu instid0(VALU_DEP_3) | instskip(SKIP_3) | instid1(SALU_CYCLE_1)
	v_cmp_gt_i64_e64 s5, v[52:53], v[28:29]
	v_cmp_le_i64_e64 s6, s[40:41], v[52:53]
	s_and_b32 s57, s52, s7
	s_or_b32 s7, s4, s5
	s_or_b32 s7, s7, s57
	s_delay_alu instid0(SALU_CYCLE_1) | instskip(NEXT) | instid1(SALU_CYCLE_1)
	s_nor_b32 s7, s6, s7
	s_and_saveexec_b32 s8, s7
	s_delay_alu instid0(SALU_CYCLE_1)
	s_xor_b32 s7, exec_lo, s8
	s_cbranch_execz .LBB50_13
; %bb.12:                               ;   in Loop: Header=BB50_11 Depth=3
	global_load_b64 v[56:57], v[54:55], off
.LBB50_13:                              ;   in Loop: Header=BB50_11 Depth=3
	s_wait_xcnt 0x0
	s_and_not1_saveexec_b32 s7, s7
	s_cbranch_execz .LBB50_15
; %bb.14:                               ;   in Loop: Header=BB50_11 Depth=3
	v_cndmask_b32_e64 v5, 0, 0x3ff00000, s57
	s_wait_loadcnt 0x0
	s_delay_alu instid0(VALU_DEP_1)
	v_mov_b64_e32 v[56:57], v[4:5]
.LBB50_15:                              ;   in Loop: Header=BB50_11 Depth=3
	s_or_b32 exec_lo, exec_lo, s7
	v_add_nc_u64_e32 v[66:67], 16, v[52:53]
	v_cmp_eq_u64_e64 s8, s[48:49], v[48:49]
	s_wait_loadcnt 0x0
	ds_store_b64 v60, v[56:57]
	v_cmp_gt_i64_e64 s9, v[66:67], v[28:29]
	v_cmp_le_i64_e64 s7, s[40:41], v[66:67]
	s_and_b32 s58, s52, s8
	s_or_b32 s8, s4, s9
	s_delay_alu instid0(SALU_CYCLE_1) | instskip(NEXT) | instid1(SALU_CYCLE_1)
	s_or_b32 s8, s8, s58
	s_nor_b32 s8, s7, s8
	s_delay_alu instid0(SALU_CYCLE_1) | instskip(NEXT) | instid1(SALU_CYCLE_1)
	s_and_saveexec_b32 s9, s8
	s_xor_b32 s8, exec_lo, s9
	s_cbranch_execz .LBB50_17
; %bb.16:                               ;   in Loop: Header=BB50_11 Depth=3
	global_load_b64 v[54:55], v[54:55], off offset:128
	s_wait_loadcnt 0x0
	ds_store_b64 v60, v[54:55] offset:128
.LBB50_17:                              ;   in Loop: Header=BB50_11 Depth=3
	s_wait_xcnt 0x0
	s_and_not1_saveexec_b32 s8, s8
	s_cbranch_execz .LBB50_23
; %bb.18:                               ;   in Loop: Header=BB50_11 Depth=3
	s_xor_b32 s9, s58, -1
	s_delay_alu instid0(SALU_CYCLE_1) | instskip(NEXT) | instid1(SALU_CYCLE_1)
	s_and_saveexec_b32 s58, s9
	s_xor_b32 s9, exec_lo, s58
; %bb.19:                               ;   in Loop: Header=BB50_11 Depth=3
	ds_store_b64 v60, v[18:19] offset:128
; %bb.20:                               ;   in Loop: Header=BB50_11 Depth=3
	s_and_not1_saveexec_b32 s9, s9
; %bb.21:                               ;   in Loop: Header=BB50_11 Depth=3
	ds_store_b64 v60, v[20:21] offset:128
; %bb.22:                               ;   in Loop: Header=BB50_11 Depth=3
	s_or_b32 exec_lo, exec_lo, s9
.LBB50_23:                              ;   in Loop: Header=BB50_11 Depth=3
	s_delay_alu instid0(SALU_CYCLE_1)
	s_or_b32 exec_lo, exec_lo, s8
	v_cmp_eq_u64_e64 s8, s[48:49], v[46:47]
	v_cmp_gt_i64_e64 s9, v[52:53], v[42:43]
	v_add_nc_u64_e32 v[52:53], v[40:41], v[8:9]
                                        ; implicit-def: $vgpr54_vgpr55
	s_and_b32 s8, s52, s8
	s_or_b32 s9, vcc_lo, s9
	s_delay_alu instid0(SALU_CYCLE_1) | instskip(NEXT) | instid1(SALU_CYCLE_1)
	s_or_b32 s9, s9, s8
	s_nor_b32 s6, s6, s9
	s_delay_alu instid0(SALU_CYCLE_1) | instskip(NEXT) | instid1(SALU_CYCLE_1)
	s_and_saveexec_b32 s9, s6
	s_xor_b32 s6, exec_lo, s9
	s_cbranch_execz .LBB50_25
; %bb.24:                               ;   in Loop: Header=BB50_11 Depth=3
	global_load_b64 v[54:55], v[52:53], off
.LBB50_25:                              ;   in Loop: Header=BB50_11 Depth=3
	s_wait_xcnt 0x0
	s_and_not1_saveexec_b32 s6, s6
	s_cbranch_execz .LBB50_27
; %bb.26:                               ;   in Loop: Header=BB50_11 Depth=3
	v_cndmask_b32_e64 v5, 0, 0x3ff00000, s8
	s_wait_loadcnt 0x0
	s_delay_alu instid0(VALU_DEP_1)
	v_mov_b64_e32 v[54:55], v[4:5]
.LBB50_27:                              ;   in Loop: Header=BB50_11 Depth=3
	s_or_b32 exec_lo, exec_lo, s6
	s_or_b32 s5, vcc_lo, s5
	s_wait_loadcnt 0x0
	ds_store_b64 v60, v[54:55] offset:4096
	s_or_b32 s5, s5, s57
	s_delay_alu instid0(SALU_CYCLE_1) | instskip(NEXT) | instid1(SALU_CYCLE_1)
	s_nor_b32 s5, s7, s5
	s_and_saveexec_b32 s6, s5
	s_delay_alu instid0(SALU_CYCLE_1)
	s_xor_b32 s5, exec_lo, s6
	s_cbranch_execz .LBB50_29
; %bb.28:                               ;   in Loop: Header=BB50_11 Depth=3
	global_load_b64 v[52:53], v[52:53], off offset:128
	s_wait_loadcnt 0x0
	ds_store_b64 v60, v[52:53] offset:4224
.LBB50_29:                              ;   in Loop: Header=BB50_11 Depth=3
	s_wait_xcnt 0x0
	s_and_not1_saveexec_b32 s5, s5
	s_cbranch_execz .LBB50_35
; %bb.30:                               ;   in Loop: Header=BB50_11 Depth=3
	s_xor_b32 s6, s57, -1
	s_delay_alu instid0(SALU_CYCLE_1) | instskip(NEXT) | instid1(SALU_CYCLE_1)
	s_and_saveexec_b32 s7, s6
	s_xor_b32 s6, exec_lo, s7
; %bb.31:                               ;   in Loop: Header=BB50_11 Depth=3
	ds_store_b64 v60, v[18:19] offset:4224
; %bb.32:                               ;   in Loop: Header=BB50_11 Depth=3
	s_and_not1_saveexec_b32 s6, s6
; %bb.33:                               ;   in Loop: Header=BB50_11 Depth=3
	ds_store_b64 v60, v[20:21] offset:4224
; %bb.34:                               ;   in Loop: Header=BB50_11 Depth=3
	s_or_b32 exec_lo, exec_lo, s6
.LBB50_35:                              ;   in Loop: Header=BB50_11 Depth=3
	s_delay_alu instid0(SALU_CYCLE_1) | instskip(SKIP_3) | instid1(VALU_DEP_3)
	s_or_b32 exec_lo, exec_lo, s5
	v_add_nc_u64_e32 v[52:53], s[48:49], v[0:1]
	v_add_nc_u64_e32 v[54:55], v[50:51], v[14:15]
	v_mov_b64_e32 v[56:57], 0
	v_cmp_le_i64_e64 s5, s[40:41], v[52:53]
	s_nor_b32 s7, s5, s0
	s_delay_alu instid0(SALU_CYCLE_1)
	s_and_saveexec_b32 s6, s7
	s_cbranch_execz .LBB50_37
; %bb.36:                               ;   in Loop: Header=BB50_11 Depth=3
	global_load_b64 v[56:57], v[54:55], off offset:-128
.LBB50_37:                              ;   in Loop: Header=BB50_11 Depth=3
	s_wait_xcnt 0x0
	s_or_b32 exec_lo, exec_lo, s6
	s_nor_b32 s5, s5, s1
	s_wait_loadcnt 0x0
	ds_store_b64 v61, v[56:57]
	s_and_saveexec_b32 s6, s5
	s_delay_alu instid0(SALU_CYCLE_1)
	s_xor_b32 s5, exec_lo, s6
	s_cbranch_execz .LBB50_39
; %bb.38:                               ;   in Loop: Header=BB50_11 Depth=3
	global_load_b64 v[54:55], v[54:55], off
	s_wait_loadcnt 0x0
	ds_store_b64 v61, v[54:55] offset:128
.LBB50_39:                              ;   in Loop: Header=BB50_11 Depth=3
	s_wait_xcnt 0x0
	s_and_not1_saveexec_b32 s5, s5
; %bb.40:                               ;   in Loop: Header=BB50_11 Depth=3
	ds_store_b64 v61, v[18:19] offset:128
; %bb.41:                               ;   in Loop: Header=BB50_11 Depth=3
	s_or_b32 exec_lo, exec_lo, s5
	v_cmp_le_i64_e64 s5, s[26:27], v[52:53]
	v_add_nc_u64_e32 v[52:53], v[50:51], v[10:11]
	v_mov_b64_e32 v[54:55], 0
	s_nor_b32 s7, s5, s0
	s_delay_alu instid0(SALU_CYCLE_1)
	s_and_saveexec_b32 s6, s7
	s_cbranch_execz .LBB50_43
; %bb.42:                               ;   in Loop: Header=BB50_11 Depth=3
	global_load_b64 v[54:55], v[52:53], off offset:-128
.LBB50_43:                              ;   in Loop: Header=BB50_11 Depth=3
	s_wait_xcnt 0x0
	s_or_b32 exec_lo, exec_lo, s6
	s_nor_b32 s5, s5, s1
	s_wait_loadcnt 0x0
	ds_store_b64 v61, v[54:55] offset:4096
	s_and_saveexec_b32 s6, s5
	s_delay_alu instid0(SALU_CYCLE_1)
	s_xor_b32 s5, exec_lo, s6
	s_cbranch_execz .LBB50_45
; %bb.44:                               ;   in Loop: Header=BB50_11 Depth=3
	global_load_b64 v[52:53], v[52:53], off
	s_wait_loadcnt 0x0
	ds_store_b64 v61, v[52:53] offset:4224
.LBB50_45:                              ;   in Loop: Header=BB50_11 Depth=3
	s_wait_xcnt 0x0
	s_and_not1_saveexec_b32 s5, s5
	s_cbranch_execz .LBB50_10
; %bb.46:                               ;   in Loop: Header=BB50_11 Depth=3
	ds_store_b64 v61, v[18:19] offset:4224
	s_branch .LBB50_10
.LBB50_47:                              ;   in Loop: Header=BB50_8 Depth=2
	s_delay_alu instid0(VALU_DEP_1) | instskip(SKIP_2) | instid1(VALU_DEP_2)
	v_mul_u64_e32 v[38:39], s[28:29], v[28:29]
	v_cmp_gt_i32_e32 vcc_lo, s38, v28
	s_and_b32 s5, s2, vcc_lo
	v_lshl_add_u64 v[38:39], v[38:39], 3, s[46:47]
	s_and_saveexec_b32 s4, s5
	s_cbranch_execz .LBB50_49
; %bb.48:                               ;   in Loop: Header=BB50_8 Depth=2
	s_delay_alu instid0(VALU_DEP_1)
	v_lshl_add_u64 v[40:41], v[6:7], 3, v[38:39]
	global_load_b64 v[42:43], v[40:41], off
	s_wait_loadcnt 0x0
	v_fmac_f64_e32 v[42:43], v[22:23], v[36:37]
	global_store_b64 v[40:41], v[42:43], off
.LBB50_49:                              ;   in Loop: Header=BB50_8 Depth=2
	s_wait_xcnt 0x0
	s_or_b32 exec_lo, exec_lo, s4
	s_and_b32 s5, s3, vcc_lo
	s_delay_alu instid0(SALU_CYCLE_1)
	s_and_saveexec_b32 s4, s5
	s_cbranch_execz .LBB50_51
; %bb.50:                               ;   in Loop: Header=BB50_8 Depth=2
	v_lshl_add_u64 v[36:37], v[12:13], 3, v[38:39]
	global_load_b64 v[38:39], v[36:37], off
	s_wait_loadcnt 0x0
	v_fmac_f64_e32 v[38:39], v[22:23], v[34:35]
	global_store_b64 v[36:37], v[38:39], off
.LBB50_51:                              ;   in Loop: Header=BB50_8 Depth=2
	s_wait_xcnt 0x0
	s_or_b32 exec_lo, exec_lo, s4
	v_add_nc_u32_e32 v28, 16, v28
	s_delay_alu instid0(VALU_DEP_1) | instskip(SKIP_1) | instid1(VALU_DEP_2)
	v_ashrrev_i32_e32 v29, 31, v28
	v_cmp_gt_i32_e32 vcc_lo, s38, v28
	v_mul_u64_e32 v[34:35], s[28:29], v[28:29]
	s_and_b32 s5, s2, vcc_lo
	s_delay_alu instid0(VALU_DEP_1)
	v_lshl_add_u64 v[28:29], v[34:35], 3, s[46:47]
	s_and_saveexec_b32 s4, s5
	s_cbranch_execz .LBB50_53
; %bb.52:                               ;   in Loop: Header=BB50_8 Depth=2
	s_delay_alu instid0(VALU_DEP_1)
	v_lshl_add_u64 v[34:35], v[6:7], 3, v[28:29]
	global_load_b64 v[36:37], v[34:35], off
	s_wait_loadcnt 0x0
	v_fmac_f64_e32 v[36:37], v[22:23], v[32:33]
	global_store_b64 v[34:35], v[36:37], off
.LBB50_53:                              ;   in Loop: Header=BB50_8 Depth=2
	s_wait_xcnt 0x0
	s_or_b32 exec_lo, exec_lo, s4
	s_and_b32 s5, s3, vcc_lo
	s_delay_alu instid0(SALU_CYCLE_1)
	s_and_saveexec_b32 s4, s5
	s_cbranch_execz .LBB50_7
; %bb.54:                               ;   in Loop: Header=BB50_8 Depth=2
	v_lshl_add_u64 v[28:29], v[12:13], 3, v[28:29]
	global_load_b64 v[32:33], v[28:29], off
	s_wait_loadcnt 0x0
	v_fmac_f64_e32 v[32:33], v[22:23], v[30:31]
	global_store_b64 v[28:29], v[32:33], off
	s_branch .LBB50_7
.LBB50_55:
	s_sendmsg sendmsg(MSG_DEALLOC_VGPRS)
	s_endpgm
	.section	.rodata,"a",@progbits
	.p2align	6, 0x0
	.amdhsa_kernel _ZL30rocblas_trmm_outofplace_kernelIdLi32ELi2ELb0ELb1ELb0ELb0EPKdS0_dEv17rocblas_diagonal_iiT6_lPT7_lllS5_lllPT8_llli
		.amdhsa_group_segment_fixed_size 16384
		.amdhsa_private_segment_fixed_size 0
		.amdhsa_kernarg_size 392
		.amdhsa_user_sgpr_count 2
		.amdhsa_user_sgpr_dispatch_ptr 0
		.amdhsa_user_sgpr_queue_ptr 0
		.amdhsa_user_sgpr_kernarg_segment_ptr 1
		.amdhsa_user_sgpr_dispatch_id 0
		.amdhsa_user_sgpr_kernarg_preload_length 0
		.amdhsa_user_sgpr_kernarg_preload_offset 0
		.amdhsa_user_sgpr_private_segment_size 0
		.amdhsa_wavefront_size32 1
		.amdhsa_uses_dynamic_stack 0
		.amdhsa_enable_private_segment 0
		.amdhsa_system_sgpr_workgroup_id_x 1
		.amdhsa_system_sgpr_workgroup_id_y 1
		.amdhsa_system_sgpr_workgroup_id_z 1
		.amdhsa_system_sgpr_workgroup_info 0
		.amdhsa_system_vgpr_workitem_id 1
		.amdhsa_next_free_vgpr 82
		.amdhsa_next_free_sgpr 59
		.amdhsa_named_barrier_count 0
		.amdhsa_reserve_vcc 1
		.amdhsa_float_round_mode_32 0
		.amdhsa_float_round_mode_16_64 0
		.amdhsa_float_denorm_mode_32 3
		.amdhsa_float_denorm_mode_16_64 3
		.amdhsa_fp16_overflow 0
		.amdhsa_memory_ordered 1
		.amdhsa_forward_progress 1
		.amdhsa_inst_pref_size 25
		.amdhsa_round_robin_scheduling 0
		.amdhsa_exception_fp_ieee_invalid_op 0
		.amdhsa_exception_fp_denorm_src 0
		.amdhsa_exception_fp_ieee_div_zero 0
		.amdhsa_exception_fp_ieee_overflow 0
		.amdhsa_exception_fp_ieee_underflow 0
		.amdhsa_exception_fp_ieee_inexact 0
		.amdhsa_exception_int_div_zero 0
	.end_amdhsa_kernel
	.section	.text._ZL30rocblas_trmm_outofplace_kernelIdLi32ELi2ELb0ELb1ELb0ELb0EPKdS0_dEv17rocblas_diagonal_iiT6_lPT7_lllS5_lllPT8_llli,"axG",@progbits,_ZL30rocblas_trmm_outofplace_kernelIdLi32ELi2ELb0ELb1ELb0ELb0EPKdS0_dEv17rocblas_diagonal_iiT6_lPT7_lllS5_lllPT8_llli,comdat
.Lfunc_end50:
	.size	_ZL30rocblas_trmm_outofplace_kernelIdLi32ELi2ELb0ELb1ELb0ELb0EPKdS0_dEv17rocblas_diagonal_iiT6_lPT7_lllS5_lllPT8_llli, .Lfunc_end50-_ZL30rocblas_trmm_outofplace_kernelIdLi32ELi2ELb0ELb1ELb0ELb0EPKdS0_dEv17rocblas_diagonal_iiT6_lPT7_lllS5_lllPT8_llli
                                        ; -- End function
	.set _ZL30rocblas_trmm_outofplace_kernelIdLi32ELi2ELb0ELb1ELb0ELb0EPKdS0_dEv17rocblas_diagonal_iiT6_lPT7_lllS5_lllPT8_llli.num_vgpr, 82
	.set _ZL30rocblas_trmm_outofplace_kernelIdLi32ELi2ELb0ELb1ELb0ELb0EPKdS0_dEv17rocblas_diagonal_iiT6_lPT7_lllS5_lllPT8_llli.num_agpr, 0
	.set _ZL30rocblas_trmm_outofplace_kernelIdLi32ELi2ELb0ELb1ELb0ELb0EPKdS0_dEv17rocblas_diagonal_iiT6_lPT7_lllS5_lllPT8_llli.numbered_sgpr, 59
	.set _ZL30rocblas_trmm_outofplace_kernelIdLi32ELi2ELb0ELb1ELb0ELb0EPKdS0_dEv17rocblas_diagonal_iiT6_lPT7_lllS5_lllPT8_llli.num_named_barrier, 0
	.set _ZL30rocblas_trmm_outofplace_kernelIdLi32ELi2ELb0ELb1ELb0ELb0EPKdS0_dEv17rocblas_diagonal_iiT6_lPT7_lllS5_lllPT8_llli.private_seg_size, 0
	.set _ZL30rocblas_trmm_outofplace_kernelIdLi32ELi2ELb0ELb1ELb0ELb0EPKdS0_dEv17rocblas_diagonal_iiT6_lPT7_lllS5_lllPT8_llli.uses_vcc, 1
	.set _ZL30rocblas_trmm_outofplace_kernelIdLi32ELi2ELb0ELb1ELb0ELb0EPKdS0_dEv17rocblas_diagonal_iiT6_lPT7_lllS5_lllPT8_llli.uses_flat_scratch, 0
	.set _ZL30rocblas_trmm_outofplace_kernelIdLi32ELi2ELb0ELb1ELb0ELb0EPKdS0_dEv17rocblas_diagonal_iiT6_lPT7_lllS5_lllPT8_llli.has_dyn_sized_stack, 0
	.set _ZL30rocblas_trmm_outofplace_kernelIdLi32ELi2ELb0ELb1ELb0ELb0EPKdS0_dEv17rocblas_diagonal_iiT6_lPT7_lllS5_lllPT8_llli.has_recursion, 0
	.set _ZL30rocblas_trmm_outofplace_kernelIdLi32ELi2ELb0ELb1ELb0ELb0EPKdS0_dEv17rocblas_diagonal_iiT6_lPT7_lllS5_lllPT8_llli.has_indirect_call, 0
	.section	.AMDGPU.csdata,"",@progbits
; Kernel info:
; codeLenInByte = 3200
; TotalNumSgprs: 61
; NumVgprs: 82
; ScratchSize: 0
; MemoryBound: 0
; FloatMode: 240
; IeeeMode: 1
; LDSByteSize: 16384 bytes/workgroup (compile time only)
; SGPRBlocks: 0
; VGPRBlocks: 5
; NumSGPRsForWavesPerEU: 61
; NumVGPRsForWavesPerEU: 82
; NamedBarCnt: 0
; Occupancy: 10
; WaveLimiterHint : 0
; COMPUTE_PGM_RSRC2:SCRATCH_EN: 0
; COMPUTE_PGM_RSRC2:USER_SGPR: 2
; COMPUTE_PGM_RSRC2:TRAP_HANDLER: 0
; COMPUTE_PGM_RSRC2:TGID_X_EN: 1
; COMPUTE_PGM_RSRC2:TGID_Y_EN: 1
; COMPUTE_PGM_RSRC2:TGID_Z_EN: 1
; COMPUTE_PGM_RSRC2:TIDIG_COMP_CNT: 1
	.section	.text._ZL30rocblas_trmm_outofplace_kernelIdLi32ELi2ELb0ELb1ELb0ELb0EdKddEv17rocblas_diagonal_iiT6_lPT7_lllS4_lllPT8_llli,"axG",@progbits,_ZL30rocblas_trmm_outofplace_kernelIdLi32ELi2ELb0ELb1ELb0ELb0EdKddEv17rocblas_diagonal_iiT6_lPT7_lllS4_lllPT8_llli,comdat
	.globl	_ZL30rocblas_trmm_outofplace_kernelIdLi32ELi2ELb0ELb1ELb0ELb0EdKddEv17rocblas_diagonal_iiT6_lPT7_lllS4_lllPT8_llli ; -- Begin function _ZL30rocblas_trmm_outofplace_kernelIdLi32ELi2ELb0ELb1ELb0ELb0EdKddEv17rocblas_diagonal_iiT6_lPT7_lllS4_lllPT8_llli
	.p2align	8
	.type	_ZL30rocblas_trmm_outofplace_kernelIdLi32ELi2ELb0ELb1ELb0ELb0EdKddEv17rocblas_diagonal_iiT6_lPT7_lllS4_lllPT8_llli,@function
_ZL30rocblas_trmm_outofplace_kernelIdLi32ELi2ELb0ELb1ELb0ELb0EdKddEv17rocblas_diagonal_iiT6_lPT7_lllS4_lllPT8_llli: ; @_ZL30rocblas_trmm_outofplace_kernelIdLi32ELi2ELb0ELb1ELb0ELb0EdKddEv17rocblas_diagonal_iiT6_lPT7_lllS4_lllPT8_llli
; %bb.0:
	s_load_b32 s33, s[0:1], 0x80
	s_bfe_u32 s2, ttmp6, 0x40014
	s_lshr_b32 s3, ttmp7, 16
	s_add_co_i32 s2, s2, 1
	s_bfe_u32 s5, ttmp6, 0x40008
	s_mul_i32 s4, s3, s2
	s_getreg_b32 s2, hwreg(HW_REG_IB_STS2, 6, 4)
	s_add_co_i32 s5, s5, s4
	s_cmp_eq_u32 s2, 0
	s_cselect_b32 s34, s3, s5
	s_wait_kmcnt 0x0
	s_cmp_ge_u32 s34, s33
	s_cbranch_scc1 .LBB51_54
; %bb.1:
	s_load_b64 s[40:41], s[0:1], 0x10
	s_wait_kmcnt 0x0
	v_cmp_eq_f64_e64 s3, s[40:41], 0
	s_and_b32 vcc_lo, exec_lo, s3
	s_cbranch_vccnz .LBB51_54
; %bb.2:
	s_clause 0x1
	s_load_b96 s[36:38], s[0:1], 0x0
	s_load_b512 s[8:23], s[0:1], 0x20
	v_and_b32_e32 v2, 0x3ff, v0
	v_mov_b32_e32 v4, 0
	v_bfe_u32 v0, v0, 10, 10
	s_bfe_u32 s4, ttmp6, 0x4000c
	s_bfe_u32 s6, ttmp6, 0x40010
	s_delay_alu instid0(VALU_DEP_2) | instskip(NEXT) | instid1(VALU_DEP_2)
	v_dual_mov_b32 v3, v4 :: v_dual_lshlrev_b32 v6, 3, v2
	v_dual_mov_b32 v1, v4 :: v_dual_lshlrev_b32 v10, 3, v0
	v_mov_b32_e32 v11, v4
	s_and_b32 s5, ttmp7, 0xffff
	s_add_co_i32 s4, s4, 1
	s_add_co_i32 s6, s6, 1
	s_and_b32 s3, ttmp6, 15
	v_add_nc_u64_e32 v[10:11], 0x80, v[10:11]
	s_bfe_u32 s7, ttmp6, 0x40004
	s_mul_i32 s4, ttmp9, s4
	s_mul_i32 s6, s5, s6
	s_wait_kmcnt 0x0
	s_add_co_i32 s39, s38, -1
	v_mul_u64_e32 v[16:17], s[20:21], v[0:1]
	s_ashr_i32 s42, s39, 31
	s_add_co_i32 s3, s3, s4
	s_lshr_b32 s42, s42, 27
	s_add_co_i32 s7, s7, s6
	s_add_co_i32 s39, s39, s42
	v_mul_u64_e32 v[10:11], s[20:21], v[10:11]
	s_ashr_i32 s39, s39, 5
	s_cmp_eq_u32 s2, 0
	s_load_b256 s[24:31], s[0:1], 0x60
	s_cselect_b32 s2, ttmp9, s3
	s_cselect_b32 s48, s5, s7
	v_lshl_add_u32 v8, s2, 5, v2
	s_cmp_le_i32 s48, s39
	v_dual_mov_b32 v7, v4 :: v_dual_lshlrev_b32 v58, 8, v0
	s_cselect_b32 s49, -1, 0
	s_delay_alu instid0(VALU_DEP_2)
	v_ashrrev_i32_e32 v9, 31, v8
	s_cmp_eq_u32 s36, 0x84
	s_mov_b32 s2, s37
	s_cselect_b32 s50, -1, 0
	s_ashr_i32 s3, s37, 31
	v_add_nc_u32_e32 v60, v58, v6
	v_sub_nc_u64_e32 v[12:13], s[2:3], v[8:9]
	s_lshl_b64 s[4:5], s[18:19], 3
	v_or_b32_e32 v59, 0x2000, v6
	s_add_nc_u64 s[4:5], s[16:17], s[4:5]
	v_sub_nc_u64_e32 v[14:15], 0, v[2:3]
	v_lshl_add_u64 v[18:19], v[8:9], 3, s[4:5]
	s_wait_kmcnt 0x0
	s_lshl_b64 s[2:3], s[26:27], 3
	v_add_nc_u32_e32 v61, v59, v58
	s_add_nc_u64 s[26:27], s[0:1], 0x88
	v_cmp_gt_i64_e64 s0, 1, v[12:13]
	v_cmp_gt_i64_e64 s1, 17, v[12:13]
	v_add_nc_u32_e32 v12, 16, v8
	v_lshlrev_b64_e32 v[16:17], 3, v[16:17]
	v_add_nc_u64_e32 v[18:19], 0x80, v[18:19]
	v_mov_b64_e32 v[20:21], 0
	v_mov_b64_e32 v[22:23], 1.0
	s_add_nc_u64 s[24:25], s[24:25], s[2:3]
	v_cmp_gt_i32_e64 s2, s37, v8
	v_cmp_gt_i32_e64 s3, s37, v12
	v_ashrrev_i32_e32 v13, 31, v12
	v_lshl_add_u32 v62, s48, 5, v0
	v_add_nc_u32_e32 v63, 0x800, v59
	v_add_nc_u32_e32 v64, 0x1000, v59
	;; [unrolled: 1-line block ×3, first 2 shown]
	s_ashr_i32 s43, s38, 31
	s_mov_b32 s42, s38
	s_lshl_b64 s[4:5], s[10:11], 3
	s_mov_b32 s35, 0
	s_lshl_b64 s[20:21], s[20:21], 8
	s_add_nc_u64 s[44:45], s[42:43], -16
	s_lshl_b64 s[16:17], s[22:23], 3
	s_add_nc_u64 s[10:11], s[8:9], s[4:5]
	s_lshl_b64 s[14:15], s[14:15], 3
	s_lshl_b64 s[18:19], s[12:13], 3
	s_branch .LBB51_4
.LBB51_3:                               ;   in Loop: Header=BB51_4 Depth=1
	s_add_co_i32 s34, s34, 0x10000
	s_delay_alu instid0(SALU_CYCLE_1)
	s_cmp_ge_u32 s34, s33
	s_cbranch_scc1 .LBB51_54
.LBB51_4:                               ; =>This Loop Header: Depth=1
                                        ;     Child Loop BB51_7 Depth 2
                                        ;       Child Loop BB51_10 Depth 3
	s_and_not1_b32 vcc_lo, exec_lo, s49
	s_cbranch_vccnz .LBB51_3
; %bb.5:                                ;   in Loop: Header=BB51_4 Depth=1
	s_load_b32 s51, s[26:27], 0x4
	v_mad_nc_u64_u32 v[24:25], s16, s34, v[18:19]
	s_mul_u64 s[6:7], s[30:31], s[34:35]
	v_mov_b32_e32 v26, v62
	s_mul_u64 s[4:5], s[14:15], s[34:35]
	s_lshl_b64 s[6:7], s[6:7], 3
	s_add_nc_u64 s[22:23], s[10:11], s[4:5]
	s_add_nc_u64 s[36:37], s[24:25], s[6:7]
	s_mov_b32 s53, s48
	s_delay_alu instid0(VALU_DEP_2)
	v_mad_u32 v25, s17, s34, v25
	s_wait_kmcnt 0x0
	s_lshl_b32 s52, s51, 5
	s_branch .LBB51_7
.LBB51_6:                               ;   in Loop: Header=BB51_7 Depth=2
	s_wait_xcnt 0x0
	s_or_b32 exec_lo, exec_lo, s4
	v_add_nc_u32_e32 v26, s52, v26
	s_add_co_i32 s53, s51, s53
	s_delay_alu instid0(SALU_CYCLE_1)
	s_cmp_gt_i32 s53, s39
	s_cbranch_scc1 .LBB51_3
.LBB51_7:                               ;   Parent Loop BB51_4 Depth=1
                                        ; =>  This Loop Header: Depth=2
                                        ;       Child Loop BB51_10 Depth 3
	s_lshl_b32 s54, s53, 5
	v_mov_b64_e32 v[36:37], 0
	v_add_nc_u32_e32 v28, s54, v0
	v_mov_b64_e32 v[34:35], 0
	v_mov_b64_e32 v[32:33], 0
	;; [unrolled: 1-line block ×3, first 2 shown]
	s_cmp_lt_i32 s53, 0
	v_ashrrev_i32_e32 v29, 31, v28
	s_cbranch_scc1 .LBB51_46
; %bb.8:                                ;   in Loop: Header=BB51_7 Depth=2
	v_ashrrev_i32_e32 v27, 31, v26
	v_mad_nc_u64_u32 v[38:39], s18, v26, s[22:23]
	s_delay_alu instid0(VALU_DEP_3)
	v_add_nc_u64_e32 v[42:43], 16, v[28:29]
	v_mov_b64_e32 v[32:33], 0
	v_mov_b64_e32 v[34:35], 0
	v_lshl_add_u64 v[30:31], v[26:27], 3, 0x80
	v_add_nc_u64_e32 v[44:45], v[14:15], v[26:27]
	v_mov_b64_e32 v[36:37], 0
	v_mov_b64_e32 v[50:51], v[24:25]
	v_cmp_le_i32_e64 s4, s38, v28
	v_mad_nc_u64_u32 v[40:41], s12, v30, s[22:23]
	s_mov_b64 s[46:47], 0
	v_mad_u32 v5, s19, v26, v39
	v_add_nc_u64_e32 v[46:47], 16, v[44:45]
	v_add_nc_u64_e32 v[48:49], -16, v[44:45]
	v_cmp_le_i64_e32 vcc_lo, s[42:43], v[42:43]
	v_mad_u32 v30, s13, v30, v41
	v_mad_u32 v39, s18, v27, v5
	s_delay_alu instid0(VALU_DEP_2)
	v_mad_u32 v41, s12, v31, v30
	v_mov_b64_e32 v[30:31], 0
	s_branch .LBB51_10
.LBB51_9:                               ;   in Loop: Header=BB51_10 Depth=3
	s_or_b32 exec_lo, exec_lo, s5
	s_wait_dscnt 0x0
	s_barrier_signal -1
	s_barrier_wait -1
	ds_load_b128 v[52:55], v58
	ds_load_2addr_b64 v[66:69], v59 offset1:16
	ds_load_b128 v[70:73], v58 offset:4096
	ds_load_b128 v[74:77], v58 offset:16
	ds_load_b128 v[78:81], v58 offset:4112
	v_add_nc_u64_e32 v[50:51], s[20:21], v[50:51]
	v_add_nc_u64_e32 v[40:41], 0x100, v[40:41]
	;; [unrolled: 1-line block ×3, first 2 shown]
	s_add_nc_u64 s[46:47], s[46:47], 32
	s_delay_alu instid0(SALU_CYCLE_1) | instskip(NEXT) | instid1(SALU_CYCLE_1)
	s_sub_co_i32 s5, s46, 32
	s_cmp_ge_i32 s5, s54
	s_wait_dscnt 0x3
	v_fmac_f64_e32 v[36:37], v[66:67], v[52:53]
	v_fmac_f64_e32 v[34:35], v[68:69], v[52:53]
	s_wait_dscnt 0x2
	v_fmac_f64_e32 v[32:33], v[66:67], v[70:71]
	v_fmac_f64_e32 v[30:31], v[68:69], v[70:71]
	ds_load_2addr_b64 v[66:69], v59 offset0:32 offset1:48
	s_wait_dscnt 0x0
	v_fmac_f64_e32 v[36:37], v[66:67], v[54:55]
	v_fmac_f64_e32 v[34:35], v[68:69], v[54:55]
	v_fmac_f64_e32 v[32:33], v[66:67], v[72:73]
	v_fmac_f64_e32 v[30:31], v[68:69], v[72:73]
	ds_load_2addr_b64 v[52:55], v59 offset0:64 offset1:80
	s_wait_dscnt 0x0
	v_fmac_f64_e32 v[36:37], v[52:53], v[74:75]
	v_fmac_f64_e32 v[34:35], v[54:55], v[74:75]
	v_fmac_f64_e32 v[32:33], v[52:53], v[78:79]
	v_fmac_f64_e32 v[30:31], v[54:55], v[78:79]
	ds_load_2addr_b64 v[52:55], v59 offset0:96 offset1:112
	s_wait_dscnt 0x0
	v_fmac_f64_e32 v[36:37], v[52:53], v[76:77]
	v_fmac_f64_e32 v[34:35], v[54:55], v[76:77]
	v_fmac_f64_e32 v[32:33], v[52:53], v[80:81]
	v_fmac_f64_e32 v[30:31], v[54:55], v[80:81]
	ds_load_b128 v[52:55], v58 offset:32
	ds_load_2addr_b64 v[66:69], v59 offset0:128 offset1:144
	ds_load_b128 v[70:73], v58 offset:4128
	ds_load_b128 v[74:77], v58 offset:48
	ds_load_b128 v[78:81], v58 offset:4144
	s_wait_dscnt 0x3
	v_fmac_f64_e32 v[36:37], v[66:67], v[52:53]
	v_fmac_f64_e32 v[34:35], v[68:69], v[52:53]
	s_wait_dscnt 0x2
	v_fmac_f64_e32 v[32:33], v[66:67], v[70:71]
	v_fmac_f64_e32 v[30:31], v[68:69], v[70:71]
	ds_load_2addr_b64 v[66:69], v59 offset0:160 offset1:176
	s_wait_dscnt 0x0
	v_fmac_f64_e32 v[36:37], v[66:67], v[54:55]
	v_fmac_f64_e32 v[34:35], v[68:69], v[54:55]
	v_fmac_f64_e32 v[32:33], v[66:67], v[72:73]
	v_fmac_f64_e32 v[30:31], v[68:69], v[72:73]
	ds_load_2addr_b64 v[52:55], v59 offset0:192 offset1:208
	s_wait_dscnt 0x0
	v_fmac_f64_e32 v[36:37], v[52:53], v[74:75]
	v_fmac_f64_e32 v[34:35], v[54:55], v[74:75]
	v_fmac_f64_e32 v[32:33], v[52:53], v[78:79]
	v_fmac_f64_e32 v[30:31], v[54:55], v[78:79]
	ds_load_2addr_b64 v[52:55], v59 offset0:224 offset1:240
	s_wait_dscnt 0x0
	v_fmac_f64_e32 v[36:37], v[52:53], v[76:77]
	v_fmac_f64_e32 v[34:35], v[54:55], v[76:77]
	v_fmac_f64_e32 v[32:33], v[52:53], v[80:81]
	v_fmac_f64_e32 v[30:31], v[54:55], v[80:81]
	ds_load_b128 v[52:55], v58 offset:64
	ds_load_2addr_b64 v[66:69], v63 offset1:16
	ds_load_b128 v[70:73], v58 offset:4160
	ds_load_b128 v[74:77], v58 offset:80
	ds_load_b128 v[78:81], v58 offset:4176
	s_wait_dscnt 0x3
	v_fmac_f64_e32 v[36:37], v[66:67], v[52:53]
	v_fmac_f64_e32 v[34:35], v[68:69], v[52:53]
	s_wait_dscnt 0x2
	v_fmac_f64_e32 v[32:33], v[66:67], v[70:71]
	v_fmac_f64_e32 v[30:31], v[68:69], v[70:71]
	ds_load_2addr_b64 v[66:69], v63 offset0:32 offset1:48
	s_wait_dscnt 0x0
	v_fmac_f64_e32 v[36:37], v[66:67], v[54:55]
	v_fmac_f64_e32 v[34:35], v[68:69], v[54:55]
	v_fmac_f64_e32 v[32:33], v[66:67], v[72:73]
	v_fmac_f64_e32 v[30:31], v[68:69], v[72:73]
	ds_load_2addr_b64 v[52:55], v63 offset0:64 offset1:80
	s_wait_dscnt 0x0
	v_fmac_f64_e32 v[36:37], v[52:53], v[74:75]
	v_fmac_f64_e32 v[34:35], v[54:55], v[74:75]
	v_fmac_f64_e32 v[32:33], v[52:53], v[78:79]
	v_fmac_f64_e32 v[30:31], v[54:55], v[78:79]
	ds_load_2addr_b64 v[52:55], v63 offset0:96 offset1:112
	s_wait_dscnt 0x0
	v_fmac_f64_e32 v[36:37], v[52:53], v[76:77]
	v_fmac_f64_e32 v[34:35], v[54:55], v[76:77]
	v_fmac_f64_e32 v[32:33], v[52:53], v[80:81]
	v_fmac_f64_e32 v[30:31], v[54:55], v[80:81]
	ds_load_b128 v[52:55], v58 offset:96
	ds_load_2addr_b64 v[66:69], v63 offset0:128 offset1:144
	ds_load_b128 v[70:73], v58 offset:4192
	ds_load_b128 v[74:77], v58 offset:112
	ds_load_b128 v[78:81], v58 offset:4208
	s_wait_dscnt 0x3
	v_fmac_f64_e32 v[36:37], v[66:67], v[52:53]
	v_fmac_f64_e32 v[34:35], v[68:69], v[52:53]
	s_wait_dscnt 0x2
	v_fmac_f64_e32 v[32:33], v[66:67], v[70:71]
	v_fmac_f64_e32 v[30:31], v[68:69], v[70:71]
	ds_load_2addr_b64 v[66:69], v63 offset0:160 offset1:176
	s_wait_dscnt 0x0
	v_fmac_f64_e32 v[36:37], v[66:67], v[54:55]
	v_fmac_f64_e32 v[34:35], v[68:69], v[54:55]
	v_fmac_f64_e32 v[32:33], v[66:67], v[72:73]
	v_fmac_f64_e32 v[30:31], v[68:69], v[72:73]
	ds_load_2addr_b64 v[52:55], v63 offset0:192 offset1:208
	s_wait_dscnt 0x0
	v_fmac_f64_e32 v[36:37], v[52:53], v[74:75]
	v_fmac_f64_e32 v[34:35], v[54:55], v[74:75]
	v_fmac_f64_e32 v[32:33], v[52:53], v[78:79]
	v_fmac_f64_e32 v[30:31], v[54:55], v[78:79]
	ds_load_2addr_b64 v[52:55], v63 offset0:224 offset1:240
	s_wait_dscnt 0x0
	v_fmac_f64_e32 v[36:37], v[52:53], v[76:77]
	v_fmac_f64_e32 v[34:35], v[54:55], v[76:77]
	v_fmac_f64_e32 v[32:33], v[52:53], v[80:81]
	v_fmac_f64_e32 v[30:31], v[54:55], v[80:81]
	ds_load_b128 v[52:55], v58 offset:128
	ds_load_2addr_b64 v[66:69], v64 offset1:16
	ds_load_b128 v[70:73], v58 offset:4224
	ds_load_b128 v[74:77], v58 offset:144
	ds_load_b128 v[78:81], v58 offset:4240
	;; [unrolled: 58-line block ×3, first 2 shown]
	s_wait_dscnt 0x3
	v_fmac_f64_e32 v[36:37], v[66:67], v[52:53]
	v_fmac_f64_e32 v[34:35], v[68:69], v[52:53]
	s_wait_dscnt 0x2
	v_fmac_f64_e32 v[32:33], v[66:67], v[70:71]
	v_fmac_f64_e32 v[30:31], v[68:69], v[70:71]
	ds_load_2addr_b64 v[66:69], v65 offset0:32 offset1:48
	s_wait_dscnt 0x0
	v_fmac_f64_e32 v[36:37], v[66:67], v[54:55]
	v_fmac_f64_e32 v[34:35], v[68:69], v[54:55]
	v_fmac_f64_e32 v[32:33], v[66:67], v[72:73]
	v_fmac_f64_e32 v[30:31], v[68:69], v[72:73]
	ds_load_2addr_b64 v[52:55], v65 offset0:64 offset1:80
	s_wait_dscnt 0x0
	v_fmac_f64_e32 v[36:37], v[52:53], v[74:75]
	v_fmac_f64_e32 v[34:35], v[54:55], v[74:75]
	v_fmac_f64_e32 v[32:33], v[52:53], v[78:79]
	v_fmac_f64_e32 v[30:31], v[54:55], v[78:79]
	ds_load_2addr_b64 v[52:55], v65 offset0:96 offset1:112
	s_wait_dscnt 0x0
	v_fmac_f64_e32 v[36:37], v[52:53], v[76:77]
	v_fmac_f64_e32 v[34:35], v[54:55], v[76:77]
	v_fmac_f64_e32 v[32:33], v[52:53], v[80:81]
	v_fmac_f64_e32 v[30:31], v[54:55], v[80:81]
	ds_load_b128 v[52:55], v58 offset:224
	ds_load_2addr_b64 v[66:69], v65 offset0:128 offset1:144
	ds_load_b128 v[70:73], v58 offset:4320
	ds_load_b128 v[74:77], v58 offset:240
	;; [unrolled: 1-line block ×3, first 2 shown]
	s_wait_dscnt 0x3
	v_fmac_f64_e32 v[36:37], v[66:67], v[52:53]
	v_fmac_f64_e32 v[34:35], v[68:69], v[52:53]
	s_wait_dscnt 0x2
	v_fmac_f64_e32 v[32:33], v[66:67], v[70:71]
	v_fmac_f64_e32 v[30:31], v[68:69], v[70:71]
	ds_load_2addr_b64 v[66:69], v65 offset0:160 offset1:176
	s_wait_dscnt 0x0
	v_fmac_f64_e32 v[36:37], v[66:67], v[54:55]
	v_fmac_f64_e32 v[34:35], v[68:69], v[54:55]
	;; [unrolled: 1-line block ×4, first 2 shown]
	ds_load_2addr_b64 v[52:55], v65 offset0:192 offset1:208
	s_wait_dscnt 0x0
	v_fmac_f64_e32 v[36:37], v[52:53], v[74:75]
	v_fmac_f64_e32 v[34:35], v[54:55], v[74:75]
	;; [unrolled: 1-line block ×4, first 2 shown]
	ds_load_2addr_b64 v[52:55], v65 offset0:224 offset1:240
	s_wait_dscnt 0x0
	s_barrier_signal -1
	s_barrier_wait -1
	v_fmac_f64_e32 v[36:37], v[52:53], v[76:77]
	v_fmac_f64_e32 v[34:35], v[54:55], v[76:77]
	;; [unrolled: 1-line block ×4, first 2 shown]
	s_cbranch_scc1 .LBB51_46
.LBB51_10:                              ;   Parent Loop BB51_4 Depth=1
                                        ;     Parent Loop BB51_7 Depth=2
                                        ; =>    This Inner Loop Header: Depth=3
	v_add_nc_u64_e32 v[52:53], s[46:47], v[2:3]
	v_cmp_eq_u64_e64 s7, s[46:47], v[44:45]
	v_add_nc_u64_e32 v[54:55], v[38:39], v[6:7]
                                        ; implicit-def: $vgpr56_vgpr57
	s_delay_alu instid0(VALU_DEP_3) | instskip(SKIP_3) | instid1(SALU_CYCLE_1)
	v_cmp_gt_i64_e64 s5, v[52:53], v[28:29]
	v_cmp_le_i64_e64 s6, s[42:43], v[52:53]
	s_and_b32 s55, s50, s7
	s_or_b32 s7, s4, s5
	s_or_b32 s7, s7, s55
	s_delay_alu instid0(SALU_CYCLE_1) | instskip(NEXT) | instid1(SALU_CYCLE_1)
	s_nor_b32 s7, s6, s7
	s_and_saveexec_b32 s8, s7
	s_delay_alu instid0(SALU_CYCLE_1)
	s_xor_b32 s7, exec_lo, s8
	s_cbranch_execz .LBB51_12
; %bb.11:                               ;   in Loop: Header=BB51_10 Depth=3
	global_load_b64 v[56:57], v[54:55], off
.LBB51_12:                              ;   in Loop: Header=BB51_10 Depth=3
	s_wait_xcnt 0x0
	s_and_not1_saveexec_b32 s7, s7
	s_cbranch_execz .LBB51_14
; %bb.13:                               ;   in Loop: Header=BB51_10 Depth=3
	v_cndmask_b32_e64 v5, 0, 0x3ff00000, s55
	s_wait_loadcnt 0x0
	s_delay_alu instid0(VALU_DEP_1)
	v_mov_b64_e32 v[56:57], v[4:5]
.LBB51_14:                              ;   in Loop: Header=BB51_10 Depth=3
	s_or_b32 exec_lo, exec_lo, s7
	v_add_nc_u64_e32 v[66:67], 16, v[52:53]
	v_cmp_eq_u64_e64 s8, s[46:47], v[48:49]
	s_wait_loadcnt 0x0
	ds_store_b64 v60, v[56:57]
	v_cmp_gt_i64_e64 s9, v[66:67], v[28:29]
	v_cmp_le_i64_e64 s7, s[42:43], v[66:67]
	s_and_b32 s56, s50, s8
	s_or_b32 s8, s4, s9
	s_delay_alu instid0(SALU_CYCLE_1) | instskip(NEXT) | instid1(SALU_CYCLE_1)
	s_or_b32 s8, s8, s56
	s_nor_b32 s8, s7, s8
	s_delay_alu instid0(SALU_CYCLE_1) | instskip(NEXT) | instid1(SALU_CYCLE_1)
	s_and_saveexec_b32 s9, s8
	s_xor_b32 s8, exec_lo, s9
	s_cbranch_execz .LBB51_16
; %bb.15:                               ;   in Loop: Header=BB51_10 Depth=3
	global_load_b64 v[54:55], v[54:55], off offset:128
	s_wait_loadcnt 0x0
	ds_store_b64 v60, v[54:55] offset:128
.LBB51_16:                              ;   in Loop: Header=BB51_10 Depth=3
	s_wait_xcnt 0x0
	s_and_not1_saveexec_b32 s8, s8
	s_cbranch_execz .LBB51_22
; %bb.17:                               ;   in Loop: Header=BB51_10 Depth=3
	s_xor_b32 s9, s56, -1
	s_delay_alu instid0(SALU_CYCLE_1) | instskip(NEXT) | instid1(SALU_CYCLE_1)
	s_and_saveexec_b32 s56, s9
	s_xor_b32 s9, exec_lo, s56
; %bb.18:                               ;   in Loop: Header=BB51_10 Depth=3
	ds_store_b64 v60, v[20:21] offset:128
; %bb.19:                               ;   in Loop: Header=BB51_10 Depth=3
	s_and_not1_saveexec_b32 s9, s9
; %bb.20:                               ;   in Loop: Header=BB51_10 Depth=3
	ds_store_b64 v60, v[22:23] offset:128
; %bb.21:                               ;   in Loop: Header=BB51_10 Depth=3
	s_or_b32 exec_lo, exec_lo, s9
.LBB51_22:                              ;   in Loop: Header=BB51_10 Depth=3
	s_delay_alu instid0(SALU_CYCLE_1)
	s_or_b32 exec_lo, exec_lo, s8
	v_cmp_eq_u64_e64 s8, s[46:47], v[46:47]
	v_cmp_gt_i64_e64 s9, v[52:53], v[42:43]
	v_add_nc_u64_e32 v[52:53], v[40:41], v[6:7]
                                        ; implicit-def: $vgpr54_vgpr55
	s_and_b32 s8, s50, s8
	s_or_b32 s9, vcc_lo, s9
	s_delay_alu instid0(SALU_CYCLE_1) | instskip(NEXT) | instid1(SALU_CYCLE_1)
	s_or_b32 s9, s9, s8
	s_nor_b32 s6, s6, s9
	s_delay_alu instid0(SALU_CYCLE_1) | instskip(NEXT) | instid1(SALU_CYCLE_1)
	s_and_saveexec_b32 s9, s6
	s_xor_b32 s6, exec_lo, s9
	s_cbranch_execz .LBB51_24
; %bb.23:                               ;   in Loop: Header=BB51_10 Depth=3
	global_load_b64 v[54:55], v[52:53], off
.LBB51_24:                              ;   in Loop: Header=BB51_10 Depth=3
	s_wait_xcnt 0x0
	s_and_not1_saveexec_b32 s6, s6
	s_cbranch_execz .LBB51_26
; %bb.25:                               ;   in Loop: Header=BB51_10 Depth=3
	v_cndmask_b32_e64 v5, 0, 0x3ff00000, s8
	s_wait_loadcnt 0x0
	s_delay_alu instid0(VALU_DEP_1)
	v_mov_b64_e32 v[54:55], v[4:5]
.LBB51_26:                              ;   in Loop: Header=BB51_10 Depth=3
	s_or_b32 exec_lo, exec_lo, s6
	s_or_b32 s5, vcc_lo, s5
	s_wait_loadcnt 0x0
	ds_store_b64 v60, v[54:55] offset:4096
	s_or_b32 s5, s5, s55
	s_delay_alu instid0(SALU_CYCLE_1) | instskip(NEXT) | instid1(SALU_CYCLE_1)
	s_nor_b32 s5, s7, s5
	s_and_saveexec_b32 s6, s5
	s_delay_alu instid0(SALU_CYCLE_1)
	s_xor_b32 s5, exec_lo, s6
	s_cbranch_execz .LBB51_28
; %bb.27:                               ;   in Loop: Header=BB51_10 Depth=3
	global_load_b64 v[52:53], v[52:53], off offset:128
	s_wait_loadcnt 0x0
	ds_store_b64 v60, v[52:53] offset:4224
.LBB51_28:                              ;   in Loop: Header=BB51_10 Depth=3
	s_wait_xcnt 0x0
	s_and_not1_saveexec_b32 s5, s5
	s_cbranch_execz .LBB51_34
; %bb.29:                               ;   in Loop: Header=BB51_10 Depth=3
	s_xor_b32 s6, s55, -1
	s_delay_alu instid0(SALU_CYCLE_1) | instskip(NEXT) | instid1(SALU_CYCLE_1)
	s_and_saveexec_b32 s7, s6
	s_xor_b32 s6, exec_lo, s7
; %bb.30:                               ;   in Loop: Header=BB51_10 Depth=3
	ds_store_b64 v60, v[20:21] offset:4224
; %bb.31:                               ;   in Loop: Header=BB51_10 Depth=3
	s_and_not1_saveexec_b32 s6, s6
; %bb.32:                               ;   in Loop: Header=BB51_10 Depth=3
	ds_store_b64 v60, v[22:23] offset:4224
; %bb.33:                               ;   in Loop: Header=BB51_10 Depth=3
	s_or_b32 exec_lo, exec_lo, s6
.LBB51_34:                              ;   in Loop: Header=BB51_10 Depth=3
	s_delay_alu instid0(SALU_CYCLE_1) | instskip(SKIP_3) | instid1(VALU_DEP_3)
	s_or_b32 exec_lo, exec_lo, s5
	v_add_nc_u64_e32 v[52:53], s[46:47], v[0:1]
	v_add_nc_u64_e32 v[54:55], v[50:51], v[16:17]
	v_mov_b64_e32 v[56:57], 0
	v_cmp_le_i64_e64 s5, s[42:43], v[52:53]
	s_nor_b32 s7, s5, s0
	s_delay_alu instid0(SALU_CYCLE_1)
	s_and_saveexec_b32 s6, s7
	s_cbranch_execz .LBB51_36
; %bb.35:                               ;   in Loop: Header=BB51_10 Depth=3
	global_load_b64 v[56:57], v[54:55], off offset:-128
.LBB51_36:                              ;   in Loop: Header=BB51_10 Depth=3
	s_wait_xcnt 0x0
	s_or_b32 exec_lo, exec_lo, s6
	s_nor_b32 s5, s5, s1
	s_wait_loadcnt 0x0
	ds_store_b64 v61, v[56:57]
	s_and_saveexec_b32 s6, s5
	s_delay_alu instid0(SALU_CYCLE_1)
	s_xor_b32 s5, exec_lo, s6
	s_cbranch_execz .LBB51_38
; %bb.37:                               ;   in Loop: Header=BB51_10 Depth=3
	global_load_b64 v[54:55], v[54:55], off
	s_wait_loadcnt 0x0
	ds_store_b64 v61, v[54:55] offset:128
.LBB51_38:                              ;   in Loop: Header=BB51_10 Depth=3
	s_wait_xcnt 0x0
	s_and_not1_saveexec_b32 s5, s5
; %bb.39:                               ;   in Loop: Header=BB51_10 Depth=3
	ds_store_b64 v61, v[20:21] offset:128
; %bb.40:                               ;   in Loop: Header=BB51_10 Depth=3
	s_or_b32 exec_lo, exec_lo, s5
	v_cmp_le_i64_e64 s5, s[44:45], v[52:53]
	v_add_nc_u64_e32 v[52:53], v[50:51], v[10:11]
	v_mov_b64_e32 v[54:55], 0
	s_nor_b32 s7, s5, s0
	s_delay_alu instid0(SALU_CYCLE_1)
	s_and_saveexec_b32 s6, s7
	s_cbranch_execz .LBB51_42
; %bb.41:                               ;   in Loop: Header=BB51_10 Depth=3
	global_load_b64 v[54:55], v[52:53], off offset:-128
.LBB51_42:                              ;   in Loop: Header=BB51_10 Depth=3
	s_wait_xcnt 0x0
	s_or_b32 exec_lo, exec_lo, s6
	s_nor_b32 s5, s5, s1
	s_wait_loadcnt 0x0
	ds_store_b64 v61, v[54:55] offset:4096
	s_and_saveexec_b32 s6, s5
	s_delay_alu instid0(SALU_CYCLE_1)
	s_xor_b32 s5, exec_lo, s6
	s_cbranch_execz .LBB51_44
; %bb.43:                               ;   in Loop: Header=BB51_10 Depth=3
	global_load_b64 v[52:53], v[52:53], off
	s_wait_loadcnt 0x0
	ds_store_b64 v61, v[52:53] offset:4224
.LBB51_44:                              ;   in Loop: Header=BB51_10 Depth=3
	s_wait_xcnt 0x0
	s_and_not1_saveexec_b32 s5, s5
	s_cbranch_execz .LBB51_9
; %bb.45:                               ;   in Loop: Header=BB51_10 Depth=3
	ds_store_b64 v61, v[20:21] offset:4224
	s_branch .LBB51_9
.LBB51_46:                              ;   in Loop: Header=BB51_7 Depth=2
	s_delay_alu instid0(VALU_DEP_1) | instskip(SKIP_2) | instid1(VALU_DEP_2)
	v_mul_u64_e32 v[38:39], s[28:29], v[28:29]
	v_cmp_gt_i32_e32 vcc_lo, s38, v28
	s_and_b32 s5, s2, vcc_lo
	v_lshl_add_u64 v[38:39], v[38:39], 3, s[36:37]
	s_and_saveexec_b32 s4, s5
	s_cbranch_execz .LBB51_48
; %bb.47:                               ;   in Loop: Header=BB51_7 Depth=2
	s_delay_alu instid0(VALU_DEP_1)
	v_lshl_add_u64 v[40:41], v[8:9], 3, v[38:39]
	global_load_b64 v[42:43], v[40:41], off
	s_wait_loadcnt 0x0
	v_fmac_f64_e32 v[42:43], s[40:41], v[36:37]
	global_store_b64 v[40:41], v[42:43], off
.LBB51_48:                              ;   in Loop: Header=BB51_7 Depth=2
	s_wait_xcnt 0x0
	s_or_b32 exec_lo, exec_lo, s4
	s_and_b32 s5, s3, vcc_lo
	s_delay_alu instid0(SALU_CYCLE_1)
	s_and_saveexec_b32 s4, s5
	s_cbranch_execz .LBB51_50
; %bb.49:                               ;   in Loop: Header=BB51_7 Depth=2
	v_lshl_add_u64 v[36:37], v[12:13], 3, v[38:39]
	global_load_b64 v[38:39], v[36:37], off
	s_wait_loadcnt 0x0
	v_fmac_f64_e32 v[38:39], s[40:41], v[34:35]
	global_store_b64 v[36:37], v[38:39], off
.LBB51_50:                              ;   in Loop: Header=BB51_7 Depth=2
	s_wait_xcnt 0x0
	s_or_b32 exec_lo, exec_lo, s4
	v_add_nc_u32_e32 v28, 16, v28
	s_delay_alu instid0(VALU_DEP_1) | instskip(SKIP_1) | instid1(VALU_DEP_2)
	v_ashrrev_i32_e32 v29, 31, v28
	v_cmp_gt_i32_e32 vcc_lo, s38, v28
	v_mul_u64_e32 v[34:35], s[28:29], v[28:29]
	s_and_b32 s5, s2, vcc_lo
	s_delay_alu instid0(VALU_DEP_1)
	v_lshl_add_u64 v[28:29], v[34:35], 3, s[36:37]
	s_and_saveexec_b32 s4, s5
	s_cbranch_execz .LBB51_52
; %bb.51:                               ;   in Loop: Header=BB51_7 Depth=2
	s_delay_alu instid0(VALU_DEP_1)
	v_lshl_add_u64 v[34:35], v[8:9], 3, v[28:29]
	global_load_b64 v[36:37], v[34:35], off
	s_wait_loadcnt 0x0
	v_fmac_f64_e32 v[36:37], s[40:41], v[32:33]
	global_store_b64 v[34:35], v[36:37], off
.LBB51_52:                              ;   in Loop: Header=BB51_7 Depth=2
	s_wait_xcnt 0x0
	s_or_b32 exec_lo, exec_lo, s4
	s_and_b32 s5, s3, vcc_lo
	s_delay_alu instid0(SALU_CYCLE_1)
	s_and_saveexec_b32 s4, s5
	s_cbranch_execz .LBB51_6
; %bb.53:                               ;   in Loop: Header=BB51_7 Depth=2
	v_lshl_add_u64 v[28:29], v[12:13], 3, v[28:29]
	global_load_b64 v[32:33], v[28:29], off
	s_wait_loadcnt 0x0
	v_fmac_f64_e32 v[32:33], s[40:41], v[30:31]
	global_store_b64 v[28:29], v[32:33], off
	s_branch .LBB51_6
.LBB51_54:
	s_sendmsg sendmsg(MSG_DEALLOC_VGPRS)
	s_endpgm
	.section	.rodata,"a",@progbits
	.p2align	6, 0x0
	.amdhsa_kernel _ZL30rocblas_trmm_outofplace_kernelIdLi32ELi2ELb0ELb1ELb0ELb0EdKddEv17rocblas_diagonal_iiT6_lPT7_lllS4_lllPT8_llli
		.amdhsa_group_segment_fixed_size 16384
		.amdhsa_private_segment_fixed_size 0
		.amdhsa_kernarg_size 392
		.amdhsa_user_sgpr_count 2
		.amdhsa_user_sgpr_dispatch_ptr 0
		.amdhsa_user_sgpr_queue_ptr 0
		.amdhsa_user_sgpr_kernarg_segment_ptr 1
		.amdhsa_user_sgpr_dispatch_id 0
		.amdhsa_user_sgpr_kernarg_preload_length 0
		.amdhsa_user_sgpr_kernarg_preload_offset 0
		.amdhsa_user_sgpr_private_segment_size 0
		.amdhsa_wavefront_size32 1
		.amdhsa_uses_dynamic_stack 0
		.amdhsa_enable_private_segment 0
		.amdhsa_system_sgpr_workgroup_id_x 1
		.amdhsa_system_sgpr_workgroup_id_y 1
		.amdhsa_system_sgpr_workgroup_id_z 1
		.amdhsa_system_sgpr_workgroup_info 0
		.amdhsa_system_vgpr_workitem_id 1
		.amdhsa_next_free_vgpr 82
		.amdhsa_next_free_sgpr 57
		.amdhsa_named_barrier_count 0
		.amdhsa_reserve_vcc 1
		.amdhsa_float_round_mode_32 0
		.amdhsa_float_round_mode_16_64 0
		.amdhsa_float_denorm_mode_32 3
		.amdhsa_float_denorm_mode_16_64 3
		.amdhsa_fp16_overflow 0
		.amdhsa_memory_ordered 1
		.amdhsa_forward_progress 1
		.amdhsa_inst_pref_size 25
		.amdhsa_round_robin_scheduling 0
		.amdhsa_exception_fp_ieee_invalid_op 0
		.amdhsa_exception_fp_denorm_src 0
		.amdhsa_exception_fp_ieee_div_zero 0
		.amdhsa_exception_fp_ieee_overflow 0
		.amdhsa_exception_fp_ieee_underflow 0
		.amdhsa_exception_fp_ieee_inexact 0
		.amdhsa_exception_int_div_zero 0
	.end_amdhsa_kernel
	.section	.text._ZL30rocblas_trmm_outofplace_kernelIdLi32ELi2ELb0ELb1ELb0ELb0EdKddEv17rocblas_diagonal_iiT6_lPT7_lllS4_lllPT8_llli,"axG",@progbits,_ZL30rocblas_trmm_outofplace_kernelIdLi32ELi2ELb0ELb1ELb0ELb0EdKddEv17rocblas_diagonal_iiT6_lPT7_lllS4_lllPT8_llli,comdat
.Lfunc_end51:
	.size	_ZL30rocblas_trmm_outofplace_kernelIdLi32ELi2ELb0ELb1ELb0ELb0EdKddEv17rocblas_diagonal_iiT6_lPT7_lllS4_lllPT8_llli, .Lfunc_end51-_ZL30rocblas_trmm_outofplace_kernelIdLi32ELi2ELb0ELb1ELb0ELb0EdKddEv17rocblas_diagonal_iiT6_lPT7_lllS4_lllPT8_llli
                                        ; -- End function
	.set _ZL30rocblas_trmm_outofplace_kernelIdLi32ELi2ELb0ELb1ELb0ELb0EdKddEv17rocblas_diagonal_iiT6_lPT7_lllS4_lllPT8_llli.num_vgpr, 82
	.set _ZL30rocblas_trmm_outofplace_kernelIdLi32ELi2ELb0ELb1ELb0ELb0EdKddEv17rocblas_diagonal_iiT6_lPT7_lllS4_lllPT8_llli.num_agpr, 0
	.set _ZL30rocblas_trmm_outofplace_kernelIdLi32ELi2ELb0ELb1ELb0ELb0EdKddEv17rocblas_diagonal_iiT6_lPT7_lllS4_lllPT8_llli.numbered_sgpr, 57
	.set _ZL30rocblas_trmm_outofplace_kernelIdLi32ELi2ELb0ELb1ELb0ELb0EdKddEv17rocblas_diagonal_iiT6_lPT7_lllS4_lllPT8_llli.num_named_barrier, 0
	.set _ZL30rocblas_trmm_outofplace_kernelIdLi32ELi2ELb0ELb1ELb0ELb0EdKddEv17rocblas_diagonal_iiT6_lPT7_lllS4_lllPT8_llli.private_seg_size, 0
	.set _ZL30rocblas_trmm_outofplace_kernelIdLi32ELi2ELb0ELb1ELb0ELb0EdKddEv17rocblas_diagonal_iiT6_lPT7_lllS4_lllPT8_llli.uses_vcc, 1
	.set _ZL30rocblas_trmm_outofplace_kernelIdLi32ELi2ELb0ELb1ELb0ELb0EdKddEv17rocblas_diagonal_iiT6_lPT7_lllS4_lllPT8_llli.uses_flat_scratch, 0
	.set _ZL30rocblas_trmm_outofplace_kernelIdLi32ELi2ELb0ELb1ELb0ELb0EdKddEv17rocblas_diagonal_iiT6_lPT7_lllS4_lllPT8_llli.has_dyn_sized_stack, 0
	.set _ZL30rocblas_trmm_outofplace_kernelIdLi32ELi2ELb0ELb1ELb0ELb0EdKddEv17rocblas_diagonal_iiT6_lPT7_lllS4_lllPT8_llli.has_recursion, 0
	.set _ZL30rocblas_trmm_outofplace_kernelIdLi32ELi2ELb0ELb1ELb0ELb0EdKddEv17rocblas_diagonal_iiT6_lPT7_lllS4_lllPT8_llli.has_indirect_call, 0
	.section	.AMDGPU.csdata,"",@progbits
; Kernel info:
; codeLenInByte = 3156
; TotalNumSgprs: 59
; NumVgprs: 82
; ScratchSize: 0
; MemoryBound: 0
; FloatMode: 240
; IeeeMode: 1
; LDSByteSize: 16384 bytes/workgroup (compile time only)
; SGPRBlocks: 0
; VGPRBlocks: 5
; NumSGPRsForWavesPerEU: 59
; NumVGPRsForWavesPerEU: 82
; NamedBarCnt: 0
; Occupancy: 10
; WaveLimiterHint : 0
; COMPUTE_PGM_RSRC2:SCRATCH_EN: 0
; COMPUTE_PGM_RSRC2:USER_SGPR: 2
; COMPUTE_PGM_RSRC2:TRAP_HANDLER: 0
; COMPUTE_PGM_RSRC2:TGID_X_EN: 1
; COMPUTE_PGM_RSRC2:TGID_Y_EN: 1
; COMPUTE_PGM_RSRC2:TGID_Z_EN: 1
; COMPUTE_PGM_RSRC2:TIDIG_COMP_CNT: 1
	.section	.text._ZL30rocblas_trmm_outofplace_kernelIdLi32ELi2ELb0ELb0ELb1ELb0EPKdS0_dEv17rocblas_diagonal_iiT6_lPT7_lllS5_lllPT8_llli,"axG",@progbits,_ZL30rocblas_trmm_outofplace_kernelIdLi32ELi2ELb0ELb0ELb1ELb0EPKdS0_dEv17rocblas_diagonal_iiT6_lPT7_lllS5_lllPT8_llli,comdat
	.globl	_ZL30rocblas_trmm_outofplace_kernelIdLi32ELi2ELb0ELb0ELb1ELb0EPKdS0_dEv17rocblas_diagonal_iiT6_lPT7_lllS5_lllPT8_llli ; -- Begin function _ZL30rocblas_trmm_outofplace_kernelIdLi32ELi2ELb0ELb0ELb1ELb0EPKdS0_dEv17rocblas_diagonal_iiT6_lPT7_lllS5_lllPT8_llli
	.p2align	8
	.type	_ZL30rocblas_trmm_outofplace_kernelIdLi32ELi2ELb0ELb0ELb1ELb0EPKdS0_dEv17rocblas_diagonal_iiT6_lPT7_lllS5_lllPT8_llli,@function
_ZL30rocblas_trmm_outofplace_kernelIdLi32ELi2ELb0ELb0ELb1ELb0EPKdS0_dEv17rocblas_diagonal_iiT6_lPT7_lllS5_lllPT8_llli: ; @_ZL30rocblas_trmm_outofplace_kernelIdLi32ELi2ELb0ELb0ELb1ELb0EPKdS0_dEv17rocblas_diagonal_iiT6_lPT7_lllS5_lllPT8_llli
; %bb.0:
	s_load_b32 s33, s[0:1], 0x80
	s_bfe_u32 s2, ttmp6, 0x40014
	s_lshr_b32 s3, ttmp7, 16
	s_add_co_i32 s2, s2, 1
	s_bfe_u32 s5, ttmp6, 0x40008
	s_mul_i32 s4, s3, s2
	s_getreg_b32 s2, hwreg(HW_REG_IB_STS2, 6, 4)
	s_add_co_i32 s5, s5, s4
	s_cmp_eq_u32 s2, 0
	s_mov_b32 s35, 0
	s_cselect_b32 s34, s3, s5
	s_wait_kmcnt 0x0
	s_cmp_ge_u32 s34, s33
	s_cbranch_scc1 .LBB52_55
; %bb.1:
	s_clause 0x3
	s_load_b96 s[36:38], s[0:1], 0x0
	s_load_b512 s[12:27], s[0:1], 0x10
	s_load_b128 s[28:31], s[0:1], 0x70
	s_load_b256 s[4:11], s[0:1], 0x50
	s_bfe_u32 s39, ttmp6, 0x4000c
	s_and_b32 s3, ttmp6, 15
	s_add_co_i32 s39, s39, 1
	s_bfe_u32 s41, ttmp6, 0x40010
	s_mul_i32 s39, ttmp9, s39
	s_and_b32 s40, ttmp7, 0xffff
	s_add_co_i32 s41, s41, 1
	s_add_co_i32 s3, s3, s39
	s_bfe_u32 s42, ttmp6, 0x40004
	s_mul_i32 s41, s40, s41
	v_and_b32_e32 v2, 0x3ff, v0
	s_add_co_i32 s42, s42, s41
	v_mov_b32_e32 v4, 0
	v_bfe_u32 v0, v0, 10, 10
	s_add_nc_u64 s[46:47], s[0:1], 0x88
	v_lshlrev_b32_e32 v5, 3, v2
	s_wait_kmcnt 0x0
	s_add_co_i32 s43, s38, -1
	v_dual_mov_b32 v3, v4 :: v_dual_mov_b32 v1, v4
	s_ashr_i32 s44, s43, 31
	s_lshl_b64 s[10:11], s[10:11], 3
	s_lshr_b32 s39, s44, 27
	v_dual_mov_b32 v9, v4 :: v_dual_lshlrev_b32 v70, 8, v0
	s_add_co_i32 s43, s43, s39
	v_mul_u64_e32 v[16:17], s[4:5], v[0:1]
	s_ashr_i32 s39, s43, 5
	s_cmp_eq_u32 s2, 0
	v_mul_u64_e32 v[20:21], s[20:21], v[2:3]
	s_cselect_b32 s2, ttmp9, s3
	s_cselect_b32 s48, s40, s42
	v_lshl_add_u32 v6, s2, 5, v2
	s_cmp_le_i32 s48, s39
	s_mov_b32 s2, s37
	v_lshlrev_b32_e32 v8, 3, v0
	s_cselect_b32 s49, -1, 0
	v_ashrrev_i32_e32 v7, 31, v6
	s_cmp_eq_u32 s36, 0x84
	v_or_b32_e32 v71, 0x2000, v5
	v_add_nc_u64_e32 v[8:9], 0x80, v[8:9]
	s_cselect_b32 s36, -1, 0
	s_ashr_i32 s3, s37, 31
	s_delay_alu instid0(VALU_DEP_2) | instskip(SKIP_2) | instid1(VALU_DEP_4)
	v_dual_add_nc_u32 v72, v70, v5 :: v_dual_add_nc_u32 v73, v71, v70
	v_add_nc_u32_e32 v5, 0x80, v5
	v_sub_nc_u64_e32 v[10:11], s[2:3], v[6:7]
	v_mul_u64_e32 v[8:9], s[4:5], v[8:9]
	s_lshl_b64 s[2:3], s[18:19], 3
	s_lshl_b64 s[44:45], s[4:5], 8
	s_add_nc_u64 s[4:5], s[16:17], s[2:3]
	s_add_nc_u64 s[10:11], s[8:9], s[10:11]
	v_mad_nc_u64_u32 v[12:13], s20, v5, s[4:5]
	s_lshl_b64 s[8:9], s[26:27], 3
	v_cmp_gt_i64_e64 s0, 1, v[10:11]
	s_add_nc_u64 s[8:9], s[24:25], s[8:9]
	v_cmp_gt_i64_e64 s1, 17, v[10:11]
	v_lshl_add_u64 v[18:19], v[6:7], 3, s[8:9]
	v_add_nc_u32_e32 v10, 16, v6
	v_sub_nc_u64_e32 v[14:15], 0, v[2:3]
	v_lshlrev_b64_e32 v[16:17], 3, v[16:17]
	v_mov_b64_e32 v[22:23], 0
	v_add_nc_u64_e32 v[18:19], 0x80, v[18:19]
	v_mad_u32 v13, s21, v5, v13
	v_mov_b64_e32 v[24:25], 1.0
	v_cmp_gt_i32_e64 s2, s37, v6
	v_cmp_gt_i32_e64 s3, s37, v10
	v_ashrrev_i32_e32 v11, 31, v10
	v_lshl_add_u32 v74, s48, 5, v0
	v_lshl_add_u64 v[20:21], v[20:21], 3, s[4:5]
	v_add_nc_u32_e32 v75, 0x800, v71
	v_add_nc_u32_e32 v76, 0x1000, v71
	;; [unrolled: 1-line block ×3, first 2 shown]
	s_ashr_i32 s41, s38, 31
	s_mov_b32 s40, s38
	s_lshl_b64 s[42:43], s[20:21], 8
	s_add_nc_u64 s[16:17], s[40:41], -16
	s_lshl_b64 s[18:19], s[6:7], 3
	s_lshl_b64 s[20:21], s[22:23], 3
	s_branch .LBB52_4
.LBB52_2:                               ;   in Loop: Header=BB52_4 Depth=1
	s_add_co_i32 s34, s34, 0x10000
	s_delay_alu instid0(SALU_CYCLE_1)
	s_cmp_ge_u32 s34, s33
	s_cselect_b32 s4, -1, 0
.LBB52_3:                               ;   in Loop: Header=BB52_4 Depth=1
	s_delay_alu instid0(SALU_CYCLE_1)
	s_and_b32 vcc_lo, exec_lo, s4
	s_cbranch_vccnz .LBB52_55
.LBB52_4:                               ; =>This Loop Header: Depth=1
                                        ;     Child Loop BB52_8 Depth 2
                                        ;       Child Loop BB52_11 Depth 3
	s_mul_u64 s[4:5], s[14:15], s[34:35]
	s_delay_alu instid0(SALU_CYCLE_1) | instskip(NEXT) | instid1(SALU_CYCLE_1)
	s_lshl_b64 s[4:5], s[4:5], 3
	s_add_nc_u64 s[4:5], s[12:13], s[4:5]
	global_load_b64 v[26:27], v4, s[4:5]
	s_wait_xcnt 0x0
	s_mov_b32 s4, -1
	s_wait_loadcnt 0x0
	v_cmp_eq_f64_e32 vcc_lo, 0, v[26:27]
	s_cbranch_vccnz .LBB52_3
; %bb.5:                                ;   in Loop: Header=BB52_4 Depth=1
	s_and_not1_b32 vcc_lo, exec_lo, s49
	s_cbranch_vccnz .LBB52_2
; %bb.6:                                ;   in Loop: Header=BB52_4 Depth=1
	s_load_b32 s26, s[46:47], 0x4
	v_mad_nc_u64_u32 v[28:29], s18, s34, v[18:19]
	v_mad_nc_u64_u32 v[30:31], s20, s34, v[12:13]
	;; [unrolled: 1-line block ×3, first 2 shown]
	s_mul_i32 s6, s21, s34
	s_mul_u64 s[4:5], s[30:31], s[34:35]
	v_mov_b32_e32 v34, v74
	s_lshl_b64 s[4:5], s[4:5], 3
	s_mov_b32 s37, s48
	s_add_nc_u64 s[22:23], s[10:11], s[4:5]
	s_delay_alu instid0(VALU_DEP_4) | instskip(NEXT) | instid1(VALU_DEP_3)
	v_mad_u32 v29, s19, s34, v29
	v_dual_add_nc_u32 v31, s6, v31 :: v_dual_add_nc_u32 v33, s6, v33
	s_wait_kmcnt 0x0
	s_lshl_b32 s27, s26, 5
	s_branch .LBB52_8
.LBB52_7:                               ;   in Loop: Header=BB52_8 Depth=2
	s_wait_xcnt 0x0
	s_or_b32 exec_lo, exec_lo, s4
	v_add_nc_u32_e32 v34, s27, v34
	s_add_co_i32 s37, s26, s37
	s_delay_alu instid0(SALU_CYCLE_1)
	s_cmp_gt_i32 s37, s39
	s_cbranch_scc1 .LBB52_2
.LBB52_8:                               ;   Parent Loop BB52_4 Depth=1
                                        ; =>  This Loop Header: Depth=2
                                        ;       Child Loop BB52_11 Depth 3
	s_lshl_b32 s50, s37, 5
	v_mov_b64_e32 v[44:45], 0
	v_add_nc_u32_e32 v38, s50, v0
	v_mov_b64_e32 v[42:43], 0
	v_mov_b64_e32 v[40:41], 0
	;; [unrolled: 1-line block ×3, first 2 shown]
	s_cmp_lt_i32 s37, 0
	v_ashrrev_i32_e32 v39, 31, v38
	s_cbranch_scc1 .LBB52_47
; %bb.9:                                ;   in Loop: Header=BB52_8 Depth=2
	v_ashrrev_i32_e32 v35, 31, v34
	s_delay_alu instid0(VALU_DEP_2)
	v_add_nc_u64_e32 v[46:47], 16, v[38:39]
	v_mov_b64_e32 v[36:37], 0
	v_mov_b64_e32 v[50:51], v[32:33]
	;; [unrolled: 1-line block ×3, first 2 shown]
	v_add_nc_u64_e32 v[48:49], v[14:15], v[34:35]
	v_mov_b64_e32 v[42:43], 0
	v_lshlrev_b64_e32 v[52:53], 3, v[34:35]
	v_cmp_le_i64_e64 s4, s[40:41], v[46:47]
	v_mov_b64_e32 v[44:45], 0
	v_mov_b64_e32 v[58:59], v[30:31]
	;; [unrolled: 1-line block ×3, first 2 shown]
	v_add_nc_u64_e32 v[54:55], 16, v[48:49]
	v_add_nc_u64_e32 v[56:57], -16, v[48:49]
	s_mov_b64 s[24:25], 0
	v_cmp_le_i32_e32 vcc_lo, s38, v38
	s_branch .LBB52_11
.LBB52_10:                              ;   in Loop: Header=BB52_11 Depth=3
	s_or_b32 exec_lo, exec_lo, s5
	s_wait_dscnt 0x0
	s_barrier_signal -1
	s_barrier_wait -1
	ds_load_b128 v[62:65], v70
	ds_load_2addr_b64 v[66:69], v71 offset1:16
	ds_load_b128 v[78:81], v70 offset:4096
	ds_load_b128 v[82:85], v70 offset:16
	ds_load_b128 v[86:89], v70 offset:4112
	v_add_nc_u64_e32 v[60:61], s[44:45], v[60:61]
	v_add_nc_u64_e32 v[58:59], s[42:43], v[58:59]
	;; [unrolled: 1-line block ×3, first 2 shown]
	s_add_nc_u64 s[24:25], s[24:25], 32
	s_delay_alu instid0(SALU_CYCLE_1) | instskip(NEXT) | instid1(SALU_CYCLE_1)
	s_sub_co_i32 s5, s24, 32
	s_cmp_ge_i32 s5, s50
	s_wait_dscnt 0x3
	v_fmac_f64_e32 v[44:45], v[66:67], v[62:63]
	v_fmac_f64_e32 v[42:43], v[68:69], v[62:63]
	s_wait_dscnt 0x2
	v_fmac_f64_e32 v[40:41], v[66:67], v[78:79]
	v_fmac_f64_e32 v[36:37], v[68:69], v[78:79]
	ds_load_2addr_b64 v[66:69], v71 offset0:32 offset1:48
	s_wait_dscnt 0x0
	v_fmac_f64_e32 v[44:45], v[66:67], v[64:65]
	v_fmac_f64_e32 v[42:43], v[68:69], v[64:65]
	v_fmac_f64_e32 v[40:41], v[66:67], v[80:81]
	v_fmac_f64_e32 v[36:37], v[68:69], v[80:81]
	ds_load_2addr_b64 v[62:65], v71 offset0:64 offset1:80
	s_wait_dscnt 0x0
	v_fmac_f64_e32 v[44:45], v[62:63], v[82:83]
	v_fmac_f64_e32 v[42:43], v[64:65], v[82:83]
	v_fmac_f64_e32 v[40:41], v[62:63], v[86:87]
	v_fmac_f64_e32 v[36:37], v[64:65], v[86:87]
	ds_load_2addr_b64 v[62:65], v71 offset0:96 offset1:112
	s_wait_dscnt 0x0
	v_fmac_f64_e32 v[44:45], v[62:63], v[84:85]
	v_fmac_f64_e32 v[42:43], v[64:65], v[84:85]
	v_fmac_f64_e32 v[40:41], v[62:63], v[88:89]
	v_fmac_f64_e32 v[36:37], v[64:65], v[88:89]
	ds_load_b128 v[62:65], v70 offset:32
	ds_load_2addr_b64 v[66:69], v71 offset0:128 offset1:144
	ds_load_b128 v[78:81], v70 offset:4128
	ds_load_b128 v[82:85], v70 offset:48
	ds_load_b128 v[86:89], v70 offset:4144
	s_wait_dscnt 0x3
	v_fmac_f64_e32 v[44:45], v[66:67], v[62:63]
	v_fmac_f64_e32 v[42:43], v[68:69], v[62:63]
	s_wait_dscnt 0x2
	v_fmac_f64_e32 v[40:41], v[66:67], v[78:79]
	v_fmac_f64_e32 v[36:37], v[68:69], v[78:79]
	ds_load_2addr_b64 v[66:69], v71 offset0:160 offset1:176
	s_wait_dscnt 0x0
	v_fmac_f64_e32 v[44:45], v[66:67], v[64:65]
	v_fmac_f64_e32 v[42:43], v[68:69], v[64:65]
	v_fmac_f64_e32 v[40:41], v[66:67], v[80:81]
	v_fmac_f64_e32 v[36:37], v[68:69], v[80:81]
	ds_load_2addr_b64 v[62:65], v71 offset0:192 offset1:208
	s_wait_dscnt 0x0
	v_fmac_f64_e32 v[44:45], v[62:63], v[82:83]
	v_fmac_f64_e32 v[42:43], v[64:65], v[82:83]
	v_fmac_f64_e32 v[40:41], v[62:63], v[86:87]
	v_fmac_f64_e32 v[36:37], v[64:65], v[86:87]
	ds_load_2addr_b64 v[62:65], v71 offset0:224 offset1:240
	s_wait_dscnt 0x0
	v_fmac_f64_e32 v[44:45], v[62:63], v[84:85]
	v_fmac_f64_e32 v[42:43], v[64:65], v[84:85]
	v_fmac_f64_e32 v[40:41], v[62:63], v[88:89]
	v_fmac_f64_e32 v[36:37], v[64:65], v[88:89]
	ds_load_b128 v[62:65], v70 offset:64
	ds_load_2addr_b64 v[66:69], v75 offset1:16
	ds_load_b128 v[78:81], v70 offset:4160
	ds_load_b128 v[82:85], v70 offset:80
	ds_load_b128 v[86:89], v70 offset:4176
	s_wait_dscnt 0x3
	v_fmac_f64_e32 v[44:45], v[66:67], v[62:63]
	v_fmac_f64_e32 v[42:43], v[68:69], v[62:63]
	s_wait_dscnt 0x2
	v_fmac_f64_e32 v[40:41], v[66:67], v[78:79]
	v_fmac_f64_e32 v[36:37], v[68:69], v[78:79]
	ds_load_2addr_b64 v[66:69], v75 offset0:32 offset1:48
	s_wait_dscnt 0x0
	v_fmac_f64_e32 v[44:45], v[66:67], v[64:65]
	v_fmac_f64_e32 v[42:43], v[68:69], v[64:65]
	v_fmac_f64_e32 v[40:41], v[66:67], v[80:81]
	v_fmac_f64_e32 v[36:37], v[68:69], v[80:81]
	ds_load_2addr_b64 v[62:65], v75 offset0:64 offset1:80
	s_wait_dscnt 0x0
	v_fmac_f64_e32 v[44:45], v[62:63], v[82:83]
	v_fmac_f64_e32 v[42:43], v[64:65], v[82:83]
	v_fmac_f64_e32 v[40:41], v[62:63], v[86:87]
	v_fmac_f64_e32 v[36:37], v[64:65], v[86:87]
	ds_load_2addr_b64 v[62:65], v75 offset0:96 offset1:112
	s_wait_dscnt 0x0
	v_fmac_f64_e32 v[44:45], v[62:63], v[84:85]
	v_fmac_f64_e32 v[42:43], v[64:65], v[84:85]
	v_fmac_f64_e32 v[40:41], v[62:63], v[88:89]
	v_fmac_f64_e32 v[36:37], v[64:65], v[88:89]
	ds_load_b128 v[62:65], v70 offset:96
	ds_load_2addr_b64 v[66:69], v75 offset0:128 offset1:144
	ds_load_b128 v[78:81], v70 offset:4192
	ds_load_b128 v[82:85], v70 offset:112
	ds_load_b128 v[86:89], v70 offset:4208
	s_wait_dscnt 0x3
	v_fmac_f64_e32 v[44:45], v[66:67], v[62:63]
	v_fmac_f64_e32 v[42:43], v[68:69], v[62:63]
	s_wait_dscnt 0x2
	v_fmac_f64_e32 v[40:41], v[66:67], v[78:79]
	v_fmac_f64_e32 v[36:37], v[68:69], v[78:79]
	ds_load_2addr_b64 v[66:69], v75 offset0:160 offset1:176
	s_wait_dscnt 0x0
	v_fmac_f64_e32 v[44:45], v[66:67], v[64:65]
	v_fmac_f64_e32 v[42:43], v[68:69], v[64:65]
	v_fmac_f64_e32 v[40:41], v[66:67], v[80:81]
	v_fmac_f64_e32 v[36:37], v[68:69], v[80:81]
	ds_load_2addr_b64 v[62:65], v75 offset0:192 offset1:208
	s_wait_dscnt 0x0
	v_fmac_f64_e32 v[44:45], v[62:63], v[82:83]
	v_fmac_f64_e32 v[42:43], v[64:65], v[82:83]
	v_fmac_f64_e32 v[40:41], v[62:63], v[86:87]
	v_fmac_f64_e32 v[36:37], v[64:65], v[86:87]
	ds_load_2addr_b64 v[62:65], v75 offset0:224 offset1:240
	s_wait_dscnt 0x0
	v_fmac_f64_e32 v[44:45], v[62:63], v[84:85]
	v_fmac_f64_e32 v[42:43], v[64:65], v[84:85]
	v_fmac_f64_e32 v[40:41], v[62:63], v[88:89]
	v_fmac_f64_e32 v[36:37], v[64:65], v[88:89]
	ds_load_b128 v[62:65], v70 offset:128
	ds_load_2addr_b64 v[66:69], v76 offset1:16
	ds_load_b128 v[78:81], v70 offset:4224
	ds_load_b128 v[82:85], v70 offset:144
	ds_load_b128 v[86:89], v70 offset:4240
	;; [unrolled: 58-line block ×3, first 2 shown]
	s_wait_dscnt 0x3
	v_fmac_f64_e32 v[44:45], v[66:67], v[62:63]
	v_fmac_f64_e32 v[42:43], v[68:69], v[62:63]
	s_wait_dscnt 0x2
	v_fmac_f64_e32 v[40:41], v[66:67], v[78:79]
	v_fmac_f64_e32 v[36:37], v[68:69], v[78:79]
	ds_load_2addr_b64 v[66:69], v77 offset0:32 offset1:48
	s_wait_dscnt 0x0
	v_fmac_f64_e32 v[44:45], v[66:67], v[64:65]
	v_fmac_f64_e32 v[42:43], v[68:69], v[64:65]
	v_fmac_f64_e32 v[40:41], v[66:67], v[80:81]
	v_fmac_f64_e32 v[36:37], v[68:69], v[80:81]
	ds_load_2addr_b64 v[62:65], v77 offset0:64 offset1:80
	s_wait_dscnt 0x0
	v_fmac_f64_e32 v[44:45], v[62:63], v[82:83]
	v_fmac_f64_e32 v[42:43], v[64:65], v[82:83]
	;; [unrolled: 6-line block ×3, first 2 shown]
	v_fmac_f64_e32 v[40:41], v[62:63], v[88:89]
	v_fmac_f64_e32 v[36:37], v[64:65], v[88:89]
	ds_load_b128 v[62:65], v70 offset:224
	ds_load_2addr_b64 v[66:69], v77 offset0:128 offset1:144
	ds_load_b128 v[78:81], v70 offset:4320
	ds_load_b128 v[82:85], v70 offset:240
	;; [unrolled: 1-line block ×3, first 2 shown]
	s_wait_dscnt 0x3
	v_fmac_f64_e32 v[44:45], v[66:67], v[62:63]
	v_fmac_f64_e32 v[42:43], v[68:69], v[62:63]
	s_wait_dscnt 0x2
	v_fmac_f64_e32 v[40:41], v[66:67], v[78:79]
	v_fmac_f64_e32 v[36:37], v[68:69], v[78:79]
	ds_load_2addr_b64 v[66:69], v77 offset0:160 offset1:176
	s_wait_dscnt 0x0
	v_fmac_f64_e32 v[44:45], v[66:67], v[64:65]
	v_fmac_f64_e32 v[42:43], v[68:69], v[64:65]
	;; [unrolled: 1-line block ×4, first 2 shown]
	ds_load_2addr_b64 v[62:65], v77 offset0:192 offset1:208
	s_wait_dscnt 0x0
	v_fmac_f64_e32 v[44:45], v[62:63], v[82:83]
	v_fmac_f64_e32 v[42:43], v[64:65], v[82:83]
	;; [unrolled: 1-line block ×4, first 2 shown]
	ds_load_2addr_b64 v[62:65], v77 offset0:224 offset1:240
	s_wait_dscnt 0x0
	s_barrier_signal -1
	s_barrier_wait -1
	v_fmac_f64_e32 v[44:45], v[62:63], v[84:85]
	v_fmac_f64_e32 v[42:43], v[64:65], v[84:85]
	;; [unrolled: 1-line block ×4, first 2 shown]
	s_cbranch_scc1 .LBB52_47
.LBB52_11:                              ;   Parent Loop BB52_4 Depth=1
                                        ;     Parent Loop BB52_8 Depth=2
                                        ; =>    This Inner Loop Header: Depth=3
	v_add_nc_u64_e32 v[64:65], s[24:25], v[2:3]
	v_cmp_eq_u64_e64 s7, s[24:25], v[48:49]
	v_add_nc_u64_e32 v[62:63], v[50:51], v[52:53]
                                        ; implicit-def: $vgpr68_vgpr69
	s_delay_alu instid0(VALU_DEP_3) | instskip(SKIP_3) | instid1(SALU_CYCLE_1)
	v_cmp_gt_i64_e64 s5, v[64:65], v[38:39]
	v_cmp_le_i64_e64 s6, s[40:41], v[64:65]
	s_and_b32 s51, s36, s7
	s_or_b32 s7, vcc_lo, s5
	s_or_b32 s7, s7, s51
	s_delay_alu instid0(SALU_CYCLE_1) | instskip(NEXT) | instid1(SALU_CYCLE_1)
	s_nor_b32 s7, s6, s7
	s_and_saveexec_b32 s8, s7
	s_delay_alu instid0(SALU_CYCLE_1)
	s_xor_b32 s7, exec_lo, s8
	s_cbranch_execz .LBB52_13
; %bb.12:                               ;   in Loop: Header=BB52_11 Depth=3
	global_load_b64 v[68:69], v[62:63], off
.LBB52_13:                              ;   in Loop: Header=BB52_11 Depth=3
	s_wait_xcnt 0x0
	s_and_not1_saveexec_b32 s7, s7
	s_cbranch_execz .LBB52_15
; %bb.14:                               ;   in Loop: Header=BB52_11 Depth=3
	v_cndmask_b32_e64 v5, 0, 0x3ff00000, s51
	s_wait_loadcnt 0x0
	s_delay_alu instid0(VALU_DEP_1)
	v_mov_b64_e32 v[68:69], v[4:5]
.LBB52_15:                              ;   in Loop: Header=BB52_11 Depth=3
	s_or_b32 exec_lo, exec_lo, s7
	v_add_nc_u64_e32 v[66:67], 16, v[64:65]
	v_cmp_eq_u64_e64 s8, s[24:25], v[56:57]
	s_wait_loadcnt 0x0
	ds_store_b64 v72, v[68:69]
	v_cmp_gt_i64_e64 s9, v[66:67], v[38:39]
	v_cmp_le_i64_e64 s7, s[40:41], v[66:67]
	v_add_nc_u64_e32 v[66:67], v[58:59], v[52:53]
	s_and_b32 s52, s36, s8
	s_or_b32 s8, vcc_lo, s9
	s_delay_alu instid0(SALU_CYCLE_1) | instskip(NEXT) | instid1(SALU_CYCLE_1)
	s_or_b32 s8, s8, s52
	s_nor_b32 s8, s7, s8
	s_delay_alu instid0(SALU_CYCLE_1) | instskip(NEXT) | instid1(SALU_CYCLE_1)
	s_and_saveexec_b32 s9, s8
	s_xor_b32 s8, exec_lo, s9
	s_cbranch_execz .LBB52_17
; %bb.16:                               ;   in Loop: Header=BB52_11 Depth=3
	global_load_b64 v[68:69], v[66:67], off
	s_wait_loadcnt 0x0
	ds_store_b64 v72, v[68:69] offset:128
.LBB52_17:                              ;   in Loop: Header=BB52_11 Depth=3
	s_wait_xcnt 0x0
	s_and_not1_saveexec_b32 s8, s8
	s_cbranch_execz .LBB52_23
; %bb.18:                               ;   in Loop: Header=BB52_11 Depth=3
	s_xor_b32 s9, s52, -1
	s_delay_alu instid0(SALU_CYCLE_1) | instskip(NEXT) | instid1(SALU_CYCLE_1)
	s_and_saveexec_b32 s52, s9
	s_xor_b32 s9, exec_lo, s52
; %bb.19:                               ;   in Loop: Header=BB52_11 Depth=3
	ds_store_b64 v72, v[22:23] offset:128
; %bb.20:                               ;   in Loop: Header=BB52_11 Depth=3
	s_and_not1_saveexec_b32 s9, s9
; %bb.21:                               ;   in Loop: Header=BB52_11 Depth=3
	ds_store_b64 v72, v[24:25] offset:128
; %bb.22:                               ;   in Loop: Header=BB52_11 Depth=3
	s_or_b32 exec_lo, exec_lo, s9
.LBB52_23:                              ;   in Loop: Header=BB52_11 Depth=3
	s_delay_alu instid0(SALU_CYCLE_1) | instskip(SKIP_4) | instid1(SALU_CYCLE_1)
	s_or_b32 exec_lo, exec_lo, s8
	v_cmp_eq_u64_e64 s8, s[24:25], v[54:55]
	v_cmp_gt_i64_e64 s9, v[64:65], v[46:47]
                                        ; implicit-def: $vgpr64_vgpr65
	s_and_b32 s8, s36, s8
	s_or_b32 s9, s4, s9
	s_or_b32 s9, s9, s8
	s_delay_alu instid0(SALU_CYCLE_1) | instskip(NEXT) | instid1(SALU_CYCLE_1)
	s_nor_b32 s6, s6, s9
	s_and_saveexec_b32 s9, s6
	s_delay_alu instid0(SALU_CYCLE_1)
	s_xor_b32 s6, exec_lo, s9
	s_cbranch_execz .LBB52_25
; %bb.24:                               ;   in Loop: Header=BB52_11 Depth=3
	global_load_b64 v[64:65], v[62:63], off offset:128
.LBB52_25:                              ;   in Loop: Header=BB52_11 Depth=3
	s_wait_xcnt 0x0
	s_and_not1_saveexec_b32 s6, s6
	s_cbranch_execz .LBB52_27
; %bb.26:                               ;   in Loop: Header=BB52_11 Depth=3
	v_cndmask_b32_e64 v5, 0, 0x3ff00000, s8
	s_wait_loadcnt 0x0
	s_delay_alu instid0(VALU_DEP_1)
	v_mov_b64_e32 v[64:65], v[4:5]
.LBB52_27:                              ;   in Loop: Header=BB52_11 Depth=3
	s_or_b32 exec_lo, exec_lo, s6
	s_or_b32 s5, s4, s5
	s_wait_loadcnt 0x0
	ds_store_b64 v72, v[64:65] offset:4096
	s_or_b32 s5, s5, s51
	s_delay_alu instid0(SALU_CYCLE_1) | instskip(NEXT) | instid1(SALU_CYCLE_1)
	s_nor_b32 s5, s7, s5
	s_and_saveexec_b32 s6, s5
	s_delay_alu instid0(SALU_CYCLE_1)
	s_xor_b32 s5, exec_lo, s6
	s_cbranch_execz .LBB52_29
; %bb.28:                               ;   in Loop: Header=BB52_11 Depth=3
	global_load_b64 v[62:63], v[66:67], off offset:128
	s_wait_loadcnt 0x0
	ds_store_b64 v72, v[62:63] offset:4224
.LBB52_29:                              ;   in Loop: Header=BB52_11 Depth=3
	s_wait_xcnt 0x0
	s_and_not1_saveexec_b32 s5, s5
	s_cbranch_execz .LBB52_35
; %bb.30:                               ;   in Loop: Header=BB52_11 Depth=3
	s_xor_b32 s6, s51, -1
	s_delay_alu instid0(SALU_CYCLE_1) | instskip(NEXT) | instid1(SALU_CYCLE_1)
	s_and_saveexec_b32 s7, s6
	s_xor_b32 s6, exec_lo, s7
; %bb.31:                               ;   in Loop: Header=BB52_11 Depth=3
	ds_store_b64 v72, v[22:23] offset:4224
; %bb.32:                               ;   in Loop: Header=BB52_11 Depth=3
	s_and_not1_saveexec_b32 s6, s6
; %bb.33:                               ;   in Loop: Header=BB52_11 Depth=3
	ds_store_b64 v72, v[24:25] offset:4224
; %bb.34:                               ;   in Loop: Header=BB52_11 Depth=3
	s_or_b32 exec_lo, exec_lo, s6
.LBB52_35:                              ;   in Loop: Header=BB52_11 Depth=3
	s_delay_alu instid0(SALU_CYCLE_1) | instskip(SKIP_3) | instid1(VALU_DEP_3)
	s_or_b32 exec_lo, exec_lo, s5
	v_add_nc_u64_e32 v[62:63], s[24:25], v[0:1]
	v_add_nc_u64_e32 v[64:65], v[60:61], v[16:17]
	v_mov_b64_e32 v[66:67], 0
	v_cmp_le_i64_e64 s5, s[40:41], v[62:63]
	s_nor_b32 s7, s5, s0
	s_delay_alu instid0(SALU_CYCLE_1)
	s_and_saveexec_b32 s6, s7
	s_cbranch_execz .LBB52_37
; %bb.36:                               ;   in Loop: Header=BB52_11 Depth=3
	global_load_b64 v[66:67], v[64:65], off offset:-128
.LBB52_37:                              ;   in Loop: Header=BB52_11 Depth=3
	s_wait_xcnt 0x0
	s_or_b32 exec_lo, exec_lo, s6
	s_nor_b32 s5, s5, s1
	s_wait_loadcnt 0x0
	ds_store_b64 v73, v[66:67]
	s_and_saveexec_b32 s6, s5
	s_delay_alu instid0(SALU_CYCLE_1)
	s_xor_b32 s5, exec_lo, s6
	s_cbranch_execz .LBB52_39
; %bb.38:                               ;   in Loop: Header=BB52_11 Depth=3
	global_load_b64 v[64:65], v[64:65], off
	s_wait_loadcnt 0x0
	ds_store_b64 v73, v[64:65] offset:128
.LBB52_39:                              ;   in Loop: Header=BB52_11 Depth=3
	s_wait_xcnt 0x0
	s_and_not1_saveexec_b32 s5, s5
; %bb.40:                               ;   in Loop: Header=BB52_11 Depth=3
	ds_store_b64 v73, v[22:23] offset:128
; %bb.41:                               ;   in Loop: Header=BB52_11 Depth=3
	s_or_b32 exec_lo, exec_lo, s5
	v_cmp_le_i64_e64 s5, s[16:17], v[62:63]
	v_add_nc_u64_e32 v[62:63], v[60:61], v[8:9]
	v_mov_b64_e32 v[64:65], 0
	s_nor_b32 s7, s5, s0
	s_delay_alu instid0(SALU_CYCLE_1)
	s_and_saveexec_b32 s6, s7
	s_cbranch_execz .LBB52_43
; %bb.42:                               ;   in Loop: Header=BB52_11 Depth=3
	global_load_b64 v[64:65], v[62:63], off offset:-128
.LBB52_43:                              ;   in Loop: Header=BB52_11 Depth=3
	s_wait_xcnt 0x0
	s_or_b32 exec_lo, exec_lo, s6
	s_nor_b32 s5, s5, s1
	s_wait_loadcnt 0x0
	ds_store_b64 v73, v[64:65] offset:4096
	s_and_saveexec_b32 s6, s5
	s_delay_alu instid0(SALU_CYCLE_1)
	s_xor_b32 s5, exec_lo, s6
	s_cbranch_execz .LBB52_45
; %bb.44:                               ;   in Loop: Header=BB52_11 Depth=3
	global_load_b64 v[62:63], v[62:63], off
	s_wait_loadcnt 0x0
	ds_store_b64 v73, v[62:63] offset:4224
.LBB52_45:                              ;   in Loop: Header=BB52_11 Depth=3
	s_wait_xcnt 0x0
	s_and_not1_saveexec_b32 s5, s5
	s_cbranch_execz .LBB52_10
; %bb.46:                               ;   in Loop: Header=BB52_11 Depth=3
	ds_store_b64 v73, v[22:23] offset:4224
	s_branch .LBB52_10
.LBB52_47:                              ;   in Loop: Header=BB52_8 Depth=2
	s_delay_alu instid0(VALU_DEP_1) | instskip(SKIP_2) | instid1(VALU_DEP_2)
	v_mul_u64_e32 v[46:47], s[28:29], v[38:39]
	v_cmp_gt_i32_e32 vcc_lo, s38, v38
	s_and_b32 s5, s2, vcc_lo
	v_lshl_add_u64 v[46:47], v[46:47], 3, s[22:23]
	s_and_saveexec_b32 s4, s5
	s_cbranch_execz .LBB52_49
; %bb.48:                               ;   in Loop: Header=BB52_8 Depth=2
	s_delay_alu instid0(VALU_DEP_1)
	v_lshl_add_u64 v[48:49], v[6:7], 3, v[46:47]
	global_load_b64 v[50:51], v[48:49], off
	s_wait_loadcnt 0x0
	v_fmac_f64_e32 v[50:51], v[26:27], v[44:45]
	global_store_b64 v[48:49], v[50:51], off
.LBB52_49:                              ;   in Loop: Header=BB52_8 Depth=2
	s_wait_xcnt 0x0
	s_or_b32 exec_lo, exec_lo, s4
	s_and_b32 s5, s3, vcc_lo
	s_delay_alu instid0(SALU_CYCLE_1)
	s_and_saveexec_b32 s4, s5
	s_cbranch_execz .LBB52_51
; %bb.50:                               ;   in Loop: Header=BB52_8 Depth=2
	v_lshl_add_u64 v[44:45], v[10:11], 3, v[46:47]
	global_load_b64 v[46:47], v[44:45], off
	s_wait_loadcnt 0x0
	v_fmac_f64_e32 v[46:47], v[26:27], v[42:43]
	global_store_b64 v[44:45], v[46:47], off
.LBB52_51:                              ;   in Loop: Header=BB52_8 Depth=2
	s_wait_xcnt 0x0
	s_or_b32 exec_lo, exec_lo, s4
	v_add_nc_u32_e32 v38, 16, v38
	s_delay_alu instid0(VALU_DEP_1) | instskip(SKIP_1) | instid1(VALU_DEP_2)
	v_ashrrev_i32_e32 v39, 31, v38
	v_cmp_gt_i32_e32 vcc_lo, s38, v38
	v_mul_u64_e32 v[42:43], s[28:29], v[38:39]
	s_and_b32 s5, s2, vcc_lo
	s_delay_alu instid0(VALU_DEP_1)
	v_lshl_add_u64 v[38:39], v[42:43], 3, s[22:23]
	s_and_saveexec_b32 s4, s5
	s_cbranch_execz .LBB52_53
; %bb.52:                               ;   in Loop: Header=BB52_8 Depth=2
	s_delay_alu instid0(VALU_DEP_1)
	v_lshl_add_u64 v[42:43], v[6:7], 3, v[38:39]
	global_load_b64 v[44:45], v[42:43], off
	s_wait_loadcnt 0x0
	v_fmac_f64_e32 v[44:45], v[26:27], v[40:41]
	global_store_b64 v[42:43], v[44:45], off
.LBB52_53:                              ;   in Loop: Header=BB52_8 Depth=2
	s_wait_xcnt 0x0
	s_or_b32 exec_lo, exec_lo, s4
	s_and_b32 s5, s3, vcc_lo
	s_delay_alu instid0(SALU_CYCLE_1)
	s_and_saveexec_b32 s4, s5
	s_cbranch_execz .LBB52_7
; %bb.54:                               ;   in Loop: Header=BB52_8 Depth=2
	v_lshl_add_u64 v[38:39], v[10:11], 3, v[38:39]
	global_load_b64 v[40:41], v[38:39], off
	s_wait_loadcnt 0x0
	v_fmac_f64_e32 v[40:41], v[26:27], v[36:37]
	global_store_b64 v[38:39], v[40:41], off
	s_branch .LBB52_7
.LBB52_55:
	s_sendmsg sendmsg(MSG_DEALLOC_VGPRS)
	s_endpgm
	.section	.rodata,"a",@progbits
	.p2align	6, 0x0
	.amdhsa_kernel _ZL30rocblas_trmm_outofplace_kernelIdLi32ELi2ELb0ELb0ELb1ELb0EPKdS0_dEv17rocblas_diagonal_iiT6_lPT7_lllS5_lllPT8_llli
		.amdhsa_group_segment_fixed_size 16384
		.amdhsa_private_segment_fixed_size 0
		.amdhsa_kernarg_size 392
		.amdhsa_user_sgpr_count 2
		.amdhsa_user_sgpr_dispatch_ptr 0
		.amdhsa_user_sgpr_queue_ptr 0
		.amdhsa_user_sgpr_kernarg_segment_ptr 1
		.amdhsa_user_sgpr_dispatch_id 0
		.amdhsa_user_sgpr_kernarg_preload_length 0
		.amdhsa_user_sgpr_kernarg_preload_offset 0
		.amdhsa_user_sgpr_private_segment_size 0
		.amdhsa_wavefront_size32 1
		.amdhsa_uses_dynamic_stack 0
		.amdhsa_enable_private_segment 0
		.amdhsa_system_sgpr_workgroup_id_x 1
		.amdhsa_system_sgpr_workgroup_id_y 1
		.amdhsa_system_sgpr_workgroup_id_z 1
		.amdhsa_system_sgpr_workgroup_info 0
		.amdhsa_system_vgpr_workitem_id 1
		.amdhsa_next_free_vgpr 90
		.amdhsa_next_free_sgpr 53
		.amdhsa_named_barrier_count 0
		.amdhsa_reserve_vcc 1
		.amdhsa_float_round_mode_32 0
		.amdhsa_float_round_mode_16_64 0
		.amdhsa_float_denorm_mode_32 3
		.amdhsa_float_denorm_mode_16_64 3
		.amdhsa_fp16_overflow 0
		.amdhsa_memory_ordered 1
		.amdhsa_forward_progress 1
		.amdhsa_inst_pref_size 25
		.amdhsa_round_robin_scheduling 0
		.amdhsa_exception_fp_ieee_invalid_op 0
		.amdhsa_exception_fp_denorm_src 0
		.amdhsa_exception_fp_ieee_div_zero 0
		.amdhsa_exception_fp_ieee_overflow 0
		.amdhsa_exception_fp_ieee_underflow 0
		.amdhsa_exception_fp_ieee_inexact 0
		.amdhsa_exception_int_div_zero 0
	.end_amdhsa_kernel
	.section	.text._ZL30rocblas_trmm_outofplace_kernelIdLi32ELi2ELb0ELb0ELb1ELb0EPKdS0_dEv17rocblas_diagonal_iiT6_lPT7_lllS5_lllPT8_llli,"axG",@progbits,_ZL30rocblas_trmm_outofplace_kernelIdLi32ELi2ELb0ELb0ELb1ELb0EPKdS0_dEv17rocblas_diagonal_iiT6_lPT7_lllS5_lllPT8_llli,comdat
.Lfunc_end52:
	.size	_ZL30rocblas_trmm_outofplace_kernelIdLi32ELi2ELb0ELb0ELb1ELb0EPKdS0_dEv17rocblas_diagonal_iiT6_lPT7_lllS5_lllPT8_llli, .Lfunc_end52-_ZL30rocblas_trmm_outofplace_kernelIdLi32ELi2ELb0ELb0ELb1ELb0EPKdS0_dEv17rocblas_diagonal_iiT6_lPT7_lllS5_lllPT8_llli
                                        ; -- End function
	.set _ZL30rocblas_trmm_outofplace_kernelIdLi32ELi2ELb0ELb0ELb1ELb0EPKdS0_dEv17rocblas_diagonal_iiT6_lPT7_lllS5_lllPT8_llli.num_vgpr, 90
	.set _ZL30rocblas_trmm_outofplace_kernelIdLi32ELi2ELb0ELb0ELb1ELb0EPKdS0_dEv17rocblas_diagonal_iiT6_lPT7_lllS5_lllPT8_llli.num_agpr, 0
	.set _ZL30rocblas_trmm_outofplace_kernelIdLi32ELi2ELb0ELb0ELb1ELb0EPKdS0_dEv17rocblas_diagonal_iiT6_lPT7_lllS5_lllPT8_llli.numbered_sgpr, 53
	.set _ZL30rocblas_trmm_outofplace_kernelIdLi32ELi2ELb0ELb0ELb1ELb0EPKdS0_dEv17rocblas_diagonal_iiT6_lPT7_lllS5_lllPT8_llli.num_named_barrier, 0
	.set _ZL30rocblas_trmm_outofplace_kernelIdLi32ELi2ELb0ELb0ELb1ELb0EPKdS0_dEv17rocblas_diagonal_iiT6_lPT7_lllS5_lllPT8_llli.private_seg_size, 0
	.set _ZL30rocblas_trmm_outofplace_kernelIdLi32ELi2ELb0ELb0ELb1ELb0EPKdS0_dEv17rocblas_diagonal_iiT6_lPT7_lllS5_lllPT8_llli.uses_vcc, 1
	.set _ZL30rocblas_trmm_outofplace_kernelIdLi32ELi2ELb0ELb0ELb1ELb0EPKdS0_dEv17rocblas_diagonal_iiT6_lPT7_lllS5_lllPT8_llli.uses_flat_scratch, 0
	.set _ZL30rocblas_trmm_outofplace_kernelIdLi32ELi2ELb0ELb0ELb1ELb0EPKdS0_dEv17rocblas_diagonal_iiT6_lPT7_lllS5_lllPT8_llli.has_dyn_sized_stack, 0
	.set _ZL30rocblas_trmm_outofplace_kernelIdLi32ELi2ELb0ELb0ELb1ELb0EPKdS0_dEv17rocblas_diagonal_iiT6_lPT7_lllS5_lllPT8_llli.has_recursion, 0
	.set _ZL30rocblas_trmm_outofplace_kernelIdLi32ELi2ELb0ELb0ELb1ELb0EPKdS0_dEv17rocblas_diagonal_iiT6_lPT7_lllS5_lllPT8_llli.has_indirect_call, 0
	.section	.AMDGPU.csdata,"",@progbits
; Kernel info:
; codeLenInByte = 3192
; TotalNumSgprs: 55
; NumVgprs: 90
; ScratchSize: 0
; MemoryBound: 0
; FloatMode: 240
; IeeeMode: 1
; LDSByteSize: 16384 bytes/workgroup (compile time only)
; SGPRBlocks: 0
; VGPRBlocks: 5
; NumSGPRsForWavesPerEU: 55
; NumVGPRsForWavesPerEU: 90
; NamedBarCnt: 0
; Occupancy: 10
; WaveLimiterHint : 0
; COMPUTE_PGM_RSRC2:SCRATCH_EN: 0
; COMPUTE_PGM_RSRC2:USER_SGPR: 2
; COMPUTE_PGM_RSRC2:TRAP_HANDLER: 0
; COMPUTE_PGM_RSRC2:TGID_X_EN: 1
; COMPUTE_PGM_RSRC2:TGID_Y_EN: 1
; COMPUTE_PGM_RSRC2:TGID_Z_EN: 1
; COMPUTE_PGM_RSRC2:TIDIG_COMP_CNT: 1
	.section	.text._ZL30rocblas_trmm_outofplace_kernelIdLi32ELi2ELb0ELb0ELb1ELb0EdKddEv17rocblas_diagonal_iiT6_lPT7_lllS4_lllPT8_llli,"axG",@progbits,_ZL30rocblas_trmm_outofplace_kernelIdLi32ELi2ELb0ELb0ELb1ELb0EdKddEv17rocblas_diagonal_iiT6_lPT7_lllS4_lllPT8_llli,comdat
	.globl	_ZL30rocblas_trmm_outofplace_kernelIdLi32ELi2ELb0ELb0ELb1ELb0EdKddEv17rocblas_diagonal_iiT6_lPT7_lllS4_lllPT8_llli ; -- Begin function _ZL30rocblas_trmm_outofplace_kernelIdLi32ELi2ELb0ELb0ELb1ELb0EdKddEv17rocblas_diagonal_iiT6_lPT7_lllS4_lllPT8_llli
	.p2align	8
	.type	_ZL30rocblas_trmm_outofplace_kernelIdLi32ELi2ELb0ELb0ELb1ELb0EdKddEv17rocblas_diagonal_iiT6_lPT7_lllS4_lllPT8_llli,@function
_ZL30rocblas_trmm_outofplace_kernelIdLi32ELi2ELb0ELb0ELb1ELb0EdKddEv17rocblas_diagonal_iiT6_lPT7_lllS4_lllPT8_llli: ; @_ZL30rocblas_trmm_outofplace_kernelIdLi32ELi2ELb0ELb0ELb1ELb0EdKddEv17rocblas_diagonal_iiT6_lPT7_lllS4_lllPT8_llli
; %bb.0:
	s_load_b32 s31, s[0:1], 0x80
	s_bfe_u32 s2, ttmp6, 0x40014
	s_lshr_b32 s3, ttmp7, 16
	s_add_co_i32 s2, s2, 1
	s_bfe_u32 s5, ttmp6, 0x40008
	s_mul_i32 s4, s3, s2
	s_getreg_b32 s2, hwreg(HW_REG_IB_STS2, 6, 4)
	s_add_co_i32 s5, s5, s4
	s_cmp_eq_u32 s2, 0
	s_cselect_b32 s34, s3, s5
	s_wait_kmcnt 0x0
	s_cmp_ge_u32 s34, s31
	s_cbranch_scc1 .LBB53_54
; %bb.1:
	s_load_b64 s[36:37], s[0:1], 0x10
	s_wait_kmcnt 0x0
	v_cmp_eq_f64_e64 s3, s[36:37], 0
	s_and_b32 vcc_lo, exec_lo, s3
	s_cbranch_vccnz .LBB53_54
; %bb.2:
	s_clause 0x1
	s_load_b96 s[28:30], s[0:1], 0x0
	s_load_b512 s[4:19], s[0:1], 0x20
	s_bfe_u32 s33, ttmp6, 0x4000c
	s_bfe_u32 s38, ttmp6, 0x40010
	s_and_b32 s39, ttmp7, 0xffff
	s_add_co_i32 s33, s33, 1
	s_add_co_i32 s38, s38, 1
	s_and_b32 s3, ttmp6, 15
	s_bfe_u32 s40, ttmp6, 0x40004
	s_mul_i32 s33, ttmp9, s33
	s_mul_i32 s38, s39, s38
	v_and_b32_e32 v2, 0x3ff, v0
	v_bfe_u32 v0, v0, 10, 10
	v_mov_b32_e32 v4, 0
	s_add_co_i32 s3, s3, s33
	s_add_co_i32 s40, s40, s38
	s_load_b256 s[20:27], s[0:1], 0x60
	s_delay_alu instid0(VALU_DEP_1)
	v_dual_mov_b32 v3, v4 :: v_dual_lshlrev_b32 v62, 8, v0
	v_mov_b32_e32 v1, v4
	s_wait_kmcnt 0x0
	s_add_co_i32 s41, s30, -1
	v_dual_lshlrev_b32 v5, 3, v2 :: v_dual_lshlrev_b32 v8, 3, v0
	s_ashr_i32 s42, s41, 31
	v_mul_u64_e32 v[14:15], s[16:17], v[0:1]
	s_lshr_b32 s42, s42, 27
	v_mul_u64_e32 v[18:19], s[8:9], v[2:3]
	s_add_co_i32 s41, s41, s42
	v_or_b32_e32 v63, 0x2000, v5
	s_ashr_i32 s33, s41, 5
	s_cmp_eq_u32 s2, 0
	v_add_nc_u32_e32 v64, v62, v5
	s_cselect_b32 s2, ttmp9, s3
	s_cselect_b32 s42, s39, s40
	v_lshl_add_u32 v6, s2, 5, v2
	v_mov_b32_e32 v9, v4
	s_cmp_le_i32 s42, s33
	s_mov_b32 s2, s29
	s_cselect_b32 s43, -1, 0
	v_ashrrev_i32_e32 v7, 31, v6
	v_add_nc_u64_e32 v[8:9], 0x80, v[8:9]
	s_cmp_eq_u32 s28, 0x84
	v_add_nc_u32_e32 v5, 0x80, v5
	s_cselect_b32 s44, -1, 0
	s_ashr_i32 s3, s29, 31
	v_add_nc_u32_e32 v12, 16, v6
	v_sub_nc_u64_e32 v[16:17], s[2:3], v[6:7]
	v_mul_u64_e32 v[8:9], s[16:17], v[8:9]
	s_lshl_b64 s[2:3], s[22:23], 3
	s_add_nc_u64 s[22:23], s[0:1], 0x88
	s_lshl_b64 s[0:1], s[6:7], 3
	s_add_nc_u64 s[20:21], s[20:21], s[2:3]
	s_add_nc_u64 s[4:5], s[4:5], s[0:1]
	s_lshl_b64 s[2:3], s[14:15], 3
	v_mad_nc_u64_u32 v[10:11], s8, v5, s[4:5]
	s_add_nc_u64 s[2:3], s[12:13], s[2:3]
	v_cmp_gt_i64_e64 s0, 1, v[16:17]
	v_cmp_gt_i64_e64 s1, 17, v[16:17]
	v_lshl_add_u64 v[16:17], v[6:7], 3, s[2:3]
	v_lshlrev_b64_e32 v[14:15], 3, v[14:15]
	v_mov_b64_e32 v[20:21], 0
	v_mov_b64_e32 v[22:23], 1.0
	v_add_nc_u32_e32 v65, v63, v62
	v_add_nc_u64_e32 v[16:17], 0x80, v[16:17]
	v_cmp_gt_i32_e64 s2, s29, v6
	v_mad_u32 v11, s9, v5, v11
	v_cmp_gt_i32_e64 s3, s29, v12
	v_ashrrev_i32_e32 v13, 31, v12
	v_lshl_add_u64 v[18:19], v[18:19], 3, s[4:5]
	v_add_nc_u32_e32 v66, 0x800, v63
	v_add_nc_u32_e32 v67, 0x1000, v63
	;; [unrolled: 1-line block ×3, first 2 shown]
	s_mov_b32 s38, s30
	s_ashr_i32 s39, s30, 31
	s_mov_b32 s35, 0
	s_lshl_b64 s[40:41], s[8:9], 8
	s_lshl_b64 s[16:17], s[16:17], 8
	s_add_nc_u64 s[12:13], s[38:39], -16
	s_lshl_b64 s[14:15], s[18:19], 3
	s_lshl_b64 s[10:11], s[10:11], 3
	s_branch .LBB53_4
.LBB53_3:                               ;   in Loop: Header=BB53_4 Depth=1
	s_add_co_i32 s34, s34, 0x10000
	s_delay_alu instid0(SALU_CYCLE_1)
	s_cmp_ge_u32 s34, s31
	s_cbranch_scc1 .LBB53_54
.LBB53_4:                               ; =>This Loop Header: Depth=1
                                        ;     Child Loop BB53_7 Depth 2
                                        ;       Child Loop BB53_10 Depth 3
	s_and_not1_b32 vcc_lo, exec_lo, s43
	s_cbranch_vccnz .LBB53_3
; %bb.5:                                ;   in Loop: Header=BB53_4 Depth=1
	s_load_b32 s45, s[22:23], 0x4
	v_mad_nc_u64_u32 v[24:25], s14, s34, v[16:17]
	v_mad_nc_u64_u32 v[26:27], s10, s34, v[10:11]
	;; [unrolled: 1-line block ×3, first 2 shown]
	s_mul_i32 s6, s11, s34
	s_mul_u64 s[4:5], s[26:27], s[34:35]
	v_lshl_add_u32 v30, s42, 5, v0
	s_lshl_b64 s[4:5], s[4:5], 3
	s_mov_b32 s47, s42
	s_add_nc_u64 s[18:19], s[20:21], s[4:5]
	s_delay_alu instid0(VALU_DEP_4) | instskip(NEXT) | instid1(VALU_DEP_3)
	v_mad_u32 v25, s15, s34, v25
	v_dual_add_nc_u32 v27, s6, v27 :: v_dual_add_nc_u32 v29, s6, v29
	s_wait_kmcnt 0x0
	s_lshl_b32 s46, s45, 5
	s_branch .LBB53_7
.LBB53_6:                               ;   in Loop: Header=BB53_7 Depth=2
	s_wait_xcnt 0x0
	s_or_b32 exec_lo, exec_lo, s4
	v_add_nc_u32_e32 v30, s46, v30
	s_add_co_i32 s47, s45, s47
	s_delay_alu instid0(SALU_CYCLE_1)
	s_cmp_gt_i32 s47, s33
	s_cbranch_scc1 .LBB53_3
.LBB53_7:                               ;   Parent Loop BB53_4 Depth=1
                                        ; =>  This Loop Header: Depth=2
                                        ;       Child Loop BB53_10 Depth 3
	s_lshl_b32 s48, s47, 5
	v_mov_b64_e32 v[40:41], 0
	v_add_nc_u32_e32 v34, s48, v0
	v_mov_b64_e32 v[38:39], 0
	v_mov_b64_e32 v[36:37], 0
	;; [unrolled: 1-line block ×3, first 2 shown]
	s_cmp_lt_i32 s47, 0
	v_ashrrev_i32_e32 v35, 31, v34
	s_cbranch_scc1 .LBB53_46
; %bb.8:                                ;   in Loop: Header=BB53_7 Depth=2
	v_sub_nc_u64_e32 v[38:39], 0, v[2:3]
	s_delay_alu instid0(VALU_DEP_2)
	v_add_nc_u64_e32 v[42:43], 16, v[34:35]
	v_ashrrev_i32_e32 v31, 31, v30
	v_mov_b64_e32 v[32:33], 0
	v_mov_b64_e32 v[44:45], v[28:29]
	;; [unrolled: 1-line block ×4, first 2 shown]
	v_add_nc_u64_e32 v[46:47], v[38:39], v[30:31]
	v_mov_b64_e32 v[38:39], 0
	v_lshlrev_b64_e32 v[48:49], 3, v[30:31]
	v_cmp_le_i64_e64 s4, s[38:39], v[42:43]
	v_mov_b64_e32 v[50:51], v[26:27]
	v_mov_b64_e32 v[52:53], v[24:25]
	s_mov_b64 s[28:29], 0
	v_cmp_le_i32_e32 vcc_lo, s30, v34
	s_branch .LBB53_10
.LBB53_9:                               ;   in Loop: Header=BB53_10 Depth=3
	s_or_b32 exec_lo, exec_lo, s5
	s_wait_dscnt 0x0
	s_barrier_signal -1
	s_barrier_wait -1
	ds_load_b128 v[54:57], v62
	ds_load_2addr_b64 v[58:61], v63 offset1:16
	ds_load_b128 v[70:73], v62 offset:4096
	ds_load_b128 v[74:77], v62 offset:16
	;; [unrolled: 1-line block ×3, first 2 shown]
	v_add_nc_u64_e32 v[52:53], s[16:17], v[52:53]
	v_add_nc_u64_e32 v[50:51], s[40:41], v[50:51]
	v_add_nc_u64_e32 v[44:45], s[40:41], v[44:45]
	s_add_nc_u64 s[28:29], s[28:29], 32
	s_delay_alu instid0(SALU_CYCLE_1) | instskip(NEXT) | instid1(SALU_CYCLE_1)
	s_sub_co_i32 s5, s28, 32
	s_cmp_ge_i32 s5, s48
	s_wait_dscnt 0x3
	v_fmac_f64_e32 v[40:41], v[58:59], v[54:55]
	v_fmac_f64_e32 v[38:39], v[60:61], v[54:55]
	s_wait_dscnt 0x2
	v_fmac_f64_e32 v[36:37], v[58:59], v[70:71]
	v_fmac_f64_e32 v[32:33], v[60:61], v[70:71]
	ds_load_2addr_b64 v[58:61], v63 offset0:32 offset1:48
	s_wait_dscnt 0x0
	v_fmac_f64_e32 v[40:41], v[58:59], v[56:57]
	v_fmac_f64_e32 v[38:39], v[60:61], v[56:57]
	v_fmac_f64_e32 v[36:37], v[58:59], v[72:73]
	v_fmac_f64_e32 v[32:33], v[60:61], v[72:73]
	ds_load_2addr_b64 v[54:57], v63 offset0:64 offset1:80
	s_wait_dscnt 0x0
	v_fmac_f64_e32 v[40:41], v[54:55], v[74:75]
	v_fmac_f64_e32 v[38:39], v[56:57], v[74:75]
	v_fmac_f64_e32 v[36:37], v[54:55], v[78:79]
	v_fmac_f64_e32 v[32:33], v[56:57], v[78:79]
	ds_load_2addr_b64 v[54:57], v63 offset0:96 offset1:112
	s_wait_dscnt 0x0
	v_fmac_f64_e32 v[40:41], v[54:55], v[76:77]
	v_fmac_f64_e32 v[38:39], v[56:57], v[76:77]
	v_fmac_f64_e32 v[36:37], v[54:55], v[80:81]
	v_fmac_f64_e32 v[32:33], v[56:57], v[80:81]
	ds_load_b128 v[54:57], v62 offset:32
	ds_load_2addr_b64 v[58:61], v63 offset0:128 offset1:144
	ds_load_b128 v[70:73], v62 offset:4128
	ds_load_b128 v[74:77], v62 offset:48
	ds_load_b128 v[78:81], v62 offset:4144
	s_wait_dscnt 0x3
	v_fmac_f64_e32 v[40:41], v[58:59], v[54:55]
	v_fmac_f64_e32 v[38:39], v[60:61], v[54:55]
	s_wait_dscnt 0x2
	v_fmac_f64_e32 v[36:37], v[58:59], v[70:71]
	v_fmac_f64_e32 v[32:33], v[60:61], v[70:71]
	ds_load_2addr_b64 v[58:61], v63 offset0:160 offset1:176
	s_wait_dscnt 0x0
	v_fmac_f64_e32 v[40:41], v[58:59], v[56:57]
	v_fmac_f64_e32 v[38:39], v[60:61], v[56:57]
	v_fmac_f64_e32 v[36:37], v[58:59], v[72:73]
	v_fmac_f64_e32 v[32:33], v[60:61], v[72:73]
	ds_load_2addr_b64 v[54:57], v63 offset0:192 offset1:208
	s_wait_dscnt 0x0
	v_fmac_f64_e32 v[40:41], v[54:55], v[74:75]
	v_fmac_f64_e32 v[38:39], v[56:57], v[74:75]
	v_fmac_f64_e32 v[36:37], v[54:55], v[78:79]
	v_fmac_f64_e32 v[32:33], v[56:57], v[78:79]
	ds_load_2addr_b64 v[54:57], v63 offset0:224 offset1:240
	s_wait_dscnt 0x0
	v_fmac_f64_e32 v[40:41], v[54:55], v[76:77]
	v_fmac_f64_e32 v[38:39], v[56:57], v[76:77]
	v_fmac_f64_e32 v[36:37], v[54:55], v[80:81]
	v_fmac_f64_e32 v[32:33], v[56:57], v[80:81]
	ds_load_b128 v[54:57], v62 offset:64
	ds_load_2addr_b64 v[58:61], v66 offset1:16
	ds_load_b128 v[70:73], v62 offset:4160
	ds_load_b128 v[74:77], v62 offset:80
	ds_load_b128 v[78:81], v62 offset:4176
	s_wait_dscnt 0x3
	v_fmac_f64_e32 v[40:41], v[58:59], v[54:55]
	v_fmac_f64_e32 v[38:39], v[60:61], v[54:55]
	s_wait_dscnt 0x2
	v_fmac_f64_e32 v[36:37], v[58:59], v[70:71]
	v_fmac_f64_e32 v[32:33], v[60:61], v[70:71]
	ds_load_2addr_b64 v[58:61], v66 offset0:32 offset1:48
	s_wait_dscnt 0x0
	v_fmac_f64_e32 v[40:41], v[58:59], v[56:57]
	v_fmac_f64_e32 v[38:39], v[60:61], v[56:57]
	v_fmac_f64_e32 v[36:37], v[58:59], v[72:73]
	v_fmac_f64_e32 v[32:33], v[60:61], v[72:73]
	ds_load_2addr_b64 v[54:57], v66 offset0:64 offset1:80
	s_wait_dscnt 0x0
	v_fmac_f64_e32 v[40:41], v[54:55], v[74:75]
	v_fmac_f64_e32 v[38:39], v[56:57], v[74:75]
	v_fmac_f64_e32 v[36:37], v[54:55], v[78:79]
	v_fmac_f64_e32 v[32:33], v[56:57], v[78:79]
	ds_load_2addr_b64 v[54:57], v66 offset0:96 offset1:112
	s_wait_dscnt 0x0
	v_fmac_f64_e32 v[40:41], v[54:55], v[76:77]
	v_fmac_f64_e32 v[38:39], v[56:57], v[76:77]
	v_fmac_f64_e32 v[36:37], v[54:55], v[80:81]
	v_fmac_f64_e32 v[32:33], v[56:57], v[80:81]
	ds_load_b128 v[54:57], v62 offset:96
	ds_load_2addr_b64 v[58:61], v66 offset0:128 offset1:144
	ds_load_b128 v[70:73], v62 offset:4192
	ds_load_b128 v[74:77], v62 offset:112
	ds_load_b128 v[78:81], v62 offset:4208
	s_wait_dscnt 0x3
	v_fmac_f64_e32 v[40:41], v[58:59], v[54:55]
	v_fmac_f64_e32 v[38:39], v[60:61], v[54:55]
	s_wait_dscnt 0x2
	v_fmac_f64_e32 v[36:37], v[58:59], v[70:71]
	v_fmac_f64_e32 v[32:33], v[60:61], v[70:71]
	ds_load_2addr_b64 v[58:61], v66 offset0:160 offset1:176
	s_wait_dscnt 0x0
	v_fmac_f64_e32 v[40:41], v[58:59], v[56:57]
	v_fmac_f64_e32 v[38:39], v[60:61], v[56:57]
	v_fmac_f64_e32 v[36:37], v[58:59], v[72:73]
	v_fmac_f64_e32 v[32:33], v[60:61], v[72:73]
	ds_load_2addr_b64 v[54:57], v66 offset0:192 offset1:208
	s_wait_dscnt 0x0
	v_fmac_f64_e32 v[40:41], v[54:55], v[74:75]
	v_fmac_f64_e32 v[38:39], v[56:57], v[74:75]
	v_fmac_f64_e32 v[36:37], v[54:55], v[78:79]
	v_fmac_f64_e32 v[32:33], v[56:57], v[78:79]
	ds_load_2addr_b64 v[54:57], v66 offset0:224 offset1:240
	s_wait_dscnt 0x0
	v_fmac_f64_e32 v[40:41], v[54:55], v[76:77]
	v_fmac_f64_e32 v[38:39], v[56:57], v[76:77]
	v_fmac_f64_e32 v[36:37], v[54:55], v[80:81]
	v_fmac_f64_e32 v[32:33], v[56:57], v[80:81]
	ds_load_b128 v[54:57], v62 offset:128
	ds_load_2addr_b64 v[58:61], v67 offset1:16
	ds_load_b128 v[70:73], v62 offset:4224
	ds_load_b128 v[74:77], v62 offset:144
	ds_load_b128 v[78:81], v62 offset:4240
	;; [unrolled: 58-line block ×3, first 2 shown]
	s_wait_dscnt 0x3
	v_fmac_f64_e32 v[40:41], v[58:59], v[54:55]
	v_fmac_f64_e32 v[38:39], v[60:61], v[54:55]
	s_wait_dscnt 0x2
	v_fmac_f64_e32 v[36:37], v[58:59], v[70:71]
	v_fmac_f64_e32 v[32:33], v[60:61], v[70:71]
	ds_load_2addr_b64 v[58:61], v68 offset0:32 offset1:48
	s_wait_dscnt 0x0
	v_fmac_f64_e32 v[40:41], v[58:59], v[56:57]
	v_fmac_f64_e32 v[38:39], v[60:61], v[56:57]
	v_fmac_f64_e32 v[36:37], v[58:59], v[72:73]
	v_fmac_f64_e32 v[32:33], v[60:61], v[72:73]
	ds_load_2addr_b64 v[54:57], v68 offset0:64 offset1:80
	s_wait_dscnt 0x0
	v_fmac_f64_e32 v[40:41], v[54:55], v[74:75]
	v_fmac_f64_e32 v[38:39], v[56:57], v[74:75]
	;; [unrolled: 6-line block ×3, first 2 shown]
	v_fmac_f64_e32 v[36:37], v[54:55], v[80:81]
	v_fmac_f64_e32 v[32:33], v[56:57], v[80:81]
	ds_load_b128 v[54:57], v62 offset:224
	ds_load_2addr_b64 v[58:61], v68 offset0:128 offset1:144
	ds_load_b128 v[70:73], v62 offset:4320
	ds_load_b128 v[74:77], v62 offset:240
	;; [unrolled: 1-line block ×3, first 2 shown]
	s_wait_dscnt 0x3
	v_fmac_f64_e32 v[40:41], v[58:59], v[54:55]
	v_fmac_f64_e32 v[38:39], v[60:61], v[54:55]
	s_wait_dscnt 0x2
	v_fmac_f64_e32 v[36:37], v[58:59], v[70:71]
	v_fmac_f64_e32 v[32:33], v[60:61], v[70:71]
	ds_load_2addr_b64 v[58:61], v68 offset0:160 offset1:176
	s_wait_dscnt 0x0
	v_fmac_f64_e32 v[40:41], v[58:59], v[56:57]
	v_fmac_f64_e32 v[38:39], v[60:61], v[56:57]
	;; [unrolled: 1-line block ×4, first 2 shown]
	ds_load_2addr_b64 v[54:57], v68 offset0:192 offset1:208
	s_wait_dscnt 0x0
	v_fmac_f64_e32 v[40:41], v[54:55], v[74:75]
	v_fmac_f64_e32 v[38:39], v[56:57], v[74:75]
	;; [unrolled: 1-line block ×4, first 2 shown]
	ds_load_2addr_b64 v[54:57], v68 offset0:224 offset1:240
	s_wait_dscnt 0x0
	s_barrier_signal -1
	s_barrier_wait -1
	v_fmac_f64_e32 v[40:41], v[54:55], v[76:77]
	v_fmac_f64_e32 v[38:39], v[56:57], v[76:77]
	;; [unrolled: 1-line block ×4, first 2 shown]
	s_cbranch_scc1 .LBB53_46
.LBB53_10:                              ;   Parent Loop BB53_4 Depth=1
                                        ;     Parent Loop BB53_7 Depth=2
                                        ; =>    This Inner Loop Header: Depth=3
	v_add_nc_u64_e32 v[56:57], s[28:29], v[2:3]
	v_cmp_eq_u64_e64 s7, s[28:29], v[46:47]
	v_add_nc_u64_e32 v[54:55], v[44:45], v[48:49]
                                        ; implicit-def: $vgpr60_vgpr61
	s_delay_alu instid0(VALU_DEP_3) | instskip(SKIP_3) | instid1(SALU_CYCLE_1)
	v_cmp_gt_i64_e64 s5, v[56:57], v[34:35]
	v_cmp_le_i64_e64 s6, s[38:39], v[56:57]
	s_and_b32 s49, s44, s7
	s_or_b32 s7, vcc_lo, s5
	s_or_b32 s7, s7, s49
	s_delay_alu instid0(SALU_CYCLE_1) | instskip(NEXT) | instid1(SALU_CYCLE_1)
	s_nor_b32 s7, s6, s7
	s_and_saveexec_b32 s8, s7
	s_delay_alu instid0(SALU_CYCLE_1)
	s_xor_b32 s7, exec_lo, s8
	s_cbranch_execz .LBB53_12
; %bb.11:                               ;   in Loop: Header=BB53_10 Depth=3
	global_load_b64 v[60:61], v[54:55], off
.LBB53_12:                              ;   in Loop: Header=BB53_10 Depth=3
	s_wait_xcnt 0x0
	s_and_not1_saveexec_b32 s7, s7
	s_cbranch_execz .LBB53_14
; %bb.13:                               ;   in Loop: Header=BB53_10 Depth=3
	v_cndmask_b32_e64 v5, 0, 0x3ff00000, s49
	s_wait_loadcnt 0x0
	s_delay_alu instid0(VALU_DEP_1)
	v_mov_b64_e32 v[60:61], v[4:5]
.LBB53_14:                              ;   in Loop: Header=BB53_10 Depth=3
	s_or_b32 exec_lo, exec_lo, s7
	v_add_nc_u64_e32 v[58:59], -16, v[46:47]
	v_add_nc_u64_e32 v[70:71], 16, v[56:57]
	s_wait_loadcnt 0x0
	ds_store_b64 v64, v[60:61]
	v_cmp_eq_u64_e64 s8, s[28:29], v[58:59]
	v_cmp_gt_i64_e64 s9, v[70:71], v[34:35]
	v_cmp_le_i64_e64 s7, s[38:39], v[70:71]
	v_add_nc_u64_e32 v[58:59], v[50:51], v[48:49]
	s_and_b32 s50, s44, s8
	s_or_b32 s8, vcc_lo, s9
	s_delay_alu instid0(SALU_CYCLE_1) | instskip(NEXT) | instid1(SALU_CYCLE_1)
	s_or_b32 s8, s8, s50
	s_nor_b32 s8, s7, s8
	s_delay_alu instid0(SALU_CYCLE_1) | instskip(NEXT) | instid1(SALU_CYCLE_1)
	s_and_saveexec_b32 s9, s8
	s_xor_b32 s8, exec_lo, s9
	s_cbranch_execz .LBB53_16
; %bb.15:                               ;   in Loop: Header=BB53_10 Depth=3
	global_load_b64 v[60:61], v[58:59], off
	s_wait_loadcnt 0x0
	ds_store_b64 v64, v[60:61] offset:128
.LBB53_16:                              ;   in Loop: Header=BB53_10 Depth=3
	s_wait_xcnt 0x0
	s_and_not1_saveexec_b32 s8, s8
	s_cbranch_execz .LBB53_22
; %bb.17:                               ;   in Loop: Header=BB53_10 Depth=3
	s_xor_b32 s9, s50, -1
	s_delay_alu instid0(SALU_CYCLE_1) | instskip(NEXT) | instid1(SALU_CYCLE_1)
	s_and_saveexec_b32 s50, s9
	s_xor_b32 s9, exec_lo, s50
; %bb.18:                               ;   in Loop: Header=BB53_10 Depth=3
	ds_store_b64 v64, v[20:21] offset:128
; %bb.19:                               ;   in Loop: Header=BB53_10 Depth=3
	s_and_not1_saveexec_b32 s9, s9
; %bb.20:                               ;   in Loop: Header=BB53_10 Depth=3
	ds_store_b64 v64, v[22:23] offset:128
; %bb.21:                               ;   in Loop: Header=BB53_10 Depth=3
	s_or_b32 exec_lo, exec_lo, s9
.LBB53_22:                              ;   in Loop: Header=BB53_10 Depth=3
	s_delay_alu instid0(SALU_CYCLE_1) | instskip(SKIP_2) | instid1(VALU_DEP_2)
	s_or_b32 exec_lo, exec_lo, s8
	v_add_nc_u64_e32 v[60:61], 16, v[46:47]
	v_cmp_gt_i64_e64 s9, v[56:57], v[42:43]
                                        ; implicit-def: $vgpr56_vgpr57
	v_cmp_eq_u64_e64 s8, s[28:29], v[60:61]
	s_or_b32 s9, s4, s9
	s_and_b32 s8, s44, s8
	s_delay_alu instid0(SALU_CYCLE_1) | instskip(NEXT) | instid1(SALU_CYCLE_1)
	s_or_b32 s9, s9, s8
	s_nor_b32 s6, s6, s9
	s_delay_alu instid0(SALU_CYCLE_1) | instskip(NEXT) | instid1(SALU_CYCLE_1)
	s_and_saveexec_b32 s9, s6
	s_xor_b32 s6, exec_lo, s9
	s_cbranch_execz .LBB53_24
; %bb.23:                               ;   in Loop: Header=BB53_10 Depth=3
	global_load_b64 v[56:57], v[54:55], off offset:128
.LBB53_24:                              ;   in Loop: Header=BB53_10 Depth=3
	s_wait_xcnt 0x0
	s_and_not1_saveexec_b32 s6, s6
	s_cbranch_execz .LBB53_26
; %bb.25:                               ;   in Loop: Header=BB53_10 Depth=3
	v_cndmask_b32_e64 v5, 0, 0x3ff00000, s8
	s_wait_loadcnt 0x0
	s_delay_alu instid0(VALU_DEP_1)
	v_mov_b64_e32 v[56:57], v[4:5]
.LBB53_26:                              ;   in Loop: Header=BB53_10 Depth=3
	s_or_b32 exec_lo, exec_lo, s6
	s_or_b32 s5, s4, s5
	s_wait_loadcnt 0x0
	ds_store_b64 v64, v[56:57] offset:4096
	s_or_b32 s5, s5, s49
	s_delay_alu instid0(SALU_CYCLE_1) | instskip(NEXT) | instid1(SALU_CYCLE_1)
	s_nor_b32 s5, s7, s5
	s_and_saveexec_b32 s6, s5
	s_delay_alu instid0(SALU_CYCLE_1)
	s_xor_b32 s5, exec_lo, s6
	s_cbranch_execz .LBB53_28
; %bb.27:                               ;   in Loop: Header=BB53_10 Depth=3
	global_load_b64 v[54:55], v[58:59], off offset:128
	s_wait_loadcnt 0x0
	ds_store_b64 v64, v[54:55] offset:4224
.LBB53_28:                              ;   in Loop: Header=BB53_10 Depth=3
	s_wait_xcnt 0x0
	s_and_not1_saveexec_b32 s5, s5
	s_cbranch_execz .LBB53_34
; %bb.29:                               ;   in Loop: Header=BB53_10 Depth=3
	s_xor_b32 s6, s49, -1
	s_delay_alu instid0(SALU_CYCLE_1) | instskip(NEXT) | instid1(SALU_CYCLE_1)
	s_and_saveexec_b32 s7, s6
	s_xor_b32 s6, exec_lo, s7
; %bb.30:                               ;   in Loop: Header=BB53_10 Depth=3
	ds_store_b64 v64, v[20:21] offset:4224
; %bb.31:                               ;   in Loop: Header=BB53_10 Depth=3
	s_and_not1_saveexec_b32 s6, s6
; %bb.32:                               ;   in Loop: Header=BB53_10 Depth=3
	ds_store_b64 v64, v[22:23] offset:4224
; %bb.33:                               ;   in Loop: Header=BB53_10 Depth=3
	s_or_b32 exec_lo, exec_lo, s6
.LBB53_34:                              ;   in Loop: Header=BB53_10 Depth=3
	s_delay_alu instid0(SALU_CYCLE_1) | instskip(SKIP_3) | instid1(VALU_DEP_3)
	s_or_b32 exec_lo, exec_lo, s5
	v_add_nc_u64_e32 v[54:55], s[28:29], v[0:1]
	v_add_nc_u64_e32 v[56:57], v[52:53], v[14:15]
	v_mov_b64_e32 v[58:59], 0
	v_cmp_le_i64_e64 s5, s[38:39], v[54:55]
	s_nor_b32 s7, s5, s0
	s_delay_alu instid0(SALU_CYCLE_1)
	s_and_saveexec_b32 s6, s7
	s_cbranch_execz .LBB53_36
; %bb.35:                               ;   in Loop: Header=BB53_10 Depth=3
	global_load_b64 v[58:59], v[56:57], off offset:-128
.LBB53_36:                              ;   in Loop: Header=BB53_10 Depth=3
	s_wait_xcnt 0x0
	s_or_b32 exec_lo, exec_lo, s6
	s_nor_b32 s5, s5, s1
	s_wait_loadcnt 0x0
	ds_store_b64 v65, v[58:59]
	s_and_saveexec_b32 s6, s5
	s_delay_alu instid0(SALU_CYCLE_1)
	s_xor_b32 s5, exec_lo, s6
	s_cbranch_execz .LBB53_38
; %bb.37:                               ;   in Loop: Header=BB53_10 Depth=3
	global_load_b64 v[56:57], v[56:57], off
	s_wait_loadcnt 0x0
	ds_store_b64 v65, v[56:57] offset:128
.LBB53_38:                              ;   in Loop: Header=BB53_10 Depth=3
	s_wait_xcnt 0x0
	s_and_not1_saveexec_b32 s5, s5
; %bb.39:                               ;   in Loop: Header=BB53_10 Depth=3
	ds_store_b64 v65, v[20:21] offset:128
; %bb.40:                               ;   in Loop: Header=BB53_10 Depth=3
	s_or_b32 exec_lo, exec_lo, s5
	v_cmp_le_i64_e64 s5, s[12:13], v[54:55]
	v_add_nc_u64_e32 v[54:55], v[52:53], v[8:9]
	v_mov_b64_e32 v[56:57], 0
	s_nor_b32 s7, s5, s0
	s_delay_alu instid0(SALU_CYCLE_1)
	s_and_saveexec_b32 s6, s7
	s_cbranch_execz .LBB53_42
; %bb.41:                               ;   in Loop: Header=BB53_10 Depth=3
	global_load_b64 v[56:57], v[54:55], off offset:-128
.LBB53_42:                              ;   in Loop: Header=BB53_10 Depth=3
	s_wait_xcnt 0x0
	s_or_b32 exec_lo, exec_lo, s6
	s_nor_b32 s5, s5, s1
	s_wait_loadcnt 0x0
	ds_store_b64 v65, v[56:57] offset:4096
	s_and_saveexec_b32 s6, s5
	s_delay_alu instid0(SALU_CYCLE_1)
	s_xor_b32 s5, exec_lo, s6
	s_cbranch_execz .LBB53_44
; %bb.43:                               ;   in Loop: Header=BB53_10 Depth=3
	global_load_b64 v[54:55], v[54:55], off
	s_wait_loadcnt 0x0
	ds_store_b64 v65, v[54:55] offset:4224
.LBB53_44:                              ;   in Loop: Header=BB53_10 Depth=3
	s_wait_xcnt 0x0
	s_and_not1_saveexec_b32 s5, s5
	s_cbranch_execz .LBB53_9
; %bb.45:                               ;   in Loop: Header=BB53_10 Depth=3
	ds_store_b64 v65, v[20:21] offset:4224
	s_branch .LBB53_9
.LBB53_46:                              ;   in Loop: Header=BB53_7 Depth=2
	s_delay_alu instid0(VALU_DEP_1) | instskip(SKIP_2) | instid1(VALU_DEP_2)
	v_mul_u64_e32 v[42:43], s[24:25], v[34:35]
	v_cmp_gt_i32_e32 vcc_lo, s30, v34
	s_and_b32 s5, s2, vcc_lo
	v_lshl_add_u64 v[42:43], v[42:43], 3, s[18:19]
	s_and_saveexec_b32 s4, s5
	s_cbranch_execz .LBB53_48
; %bb.47:                               ;   in Loop: Header=BB53_7 Depth=2
	s_delay_alu instid0(VALU_DEP_1)
	v_lshl_add_u64 v[44:45], v[6:7], 3, v[42:43]
	global_load_b64 v[46:47], v[44:45], off
	s_wait_loadcnt 0x0
	v_fmac_f64_e32 v[46:47], s[36:37], v[40:41]
	global_store_b64 v[44:45], v[46:47], off
.LBB53_48:                              ;   in Loop: Header=BB53_7 Depth=2
	s_wait_xcnt 0x0
	s_or_b32 exec_lo, exec_lo, s4
	s_and_b32 s5, s3, vcc_lo
	s_delay_alu instid0(SALU_CYCLE_1)
	s_and_saveexec_b32 s4, s5
	s_cbranch_execz .LBB53_50
; %bb.49:                               ;   in Loop: Header=BB53_7 Depth=2
	v_lshl_add_u64 v[40:41], v[12:13], 3, v[42:43]
	global_load_b64 v[42:43], v[40:41], off
	s_wait_loadcnt 0x0
	v_fmac_f64_e32 v[42:43], s[36:37], v[38:39]
	global_store_b64 v[40:41], v[42:43], off
.LBB53_50:                              ;   in Loop: Header=BB53_7 Depth=2
	s_wait_xcnt 0x0
	s_or_b32 exec_lo, exec_lo, s4
	v_add_nc_u32_e32 v34, 16, v34
	s_delay_alu instid0(VALU_DEP_1) | instskip(SKIP_1) | instid1(VALU_DEP_2)
	v_ashrrev_i32_e32 v35, 31, v34
	v_cmp_gt_i32_e32 vcc_lo, s30, v34
	v_mul_u64_e32 v[38:39], s[24:25], v[34:35]
	s_and_b32 s5, s2, vcc_lo
	s_delay_alu instid0(VALU_DEP_1)
	v_lshl_add_u64 v[34:35], v[38:39], 3, s[18:19]
	s_and_saveexec_b32 s4, s5
	s_cbranch_execz .LBB53_52
; %bb.51:                               ;   in Loop: Header=BB53_7 Depth=2
	s_delay_alu instid0(VALU_DEP_1)
	v_lshl_add_u64 v[38:39], v[6:7], 3, v[34:35]
	global_load_b64 v[40:41], v[38:39], off
	s_wait_loadcnt 0x0
	v_fmac_f64_e32 v[40:41], s[36:37], v[36:37]
	global_store_b64 v[38:39], v[40:41], off
.LBB53_52:                              ;   in Loop: Header=BB53_7 Depth=2
	s_wait_xcnt 0x0
	s_or_b32 exec_lo, exec_lo, s4
	s_and_b32 s5, s3, vcc_lo
	s_delay_alu instid0(SALU_CYCLE_1)
	s_and_saveexec_b32 s4, s5
	s_cbranch_execz .LBB53_6
; %bb.53:                               ;   in Loop: Header=BB53_7 Depth=2
	v_lshl_add_u64 v[34:35], v[12:13], 3, v[34:35]
	global_load_b64 v[36:37], v[34:35], off
	s_wait_loadcnt 0x0
	v_fmac_f64_e32 v[36:37], s[36:37], v[32:33]
	global_store_b64 v[34:35], v[36:37], off
	s_branch .LBB53_6
.LBB53_54:
	s_sendmsg sendmsg(MSG_DEALLOC_VGPRS)
	s_endpgm
	.section	.rodata,"a",@progbits
	.p2align	6, 0x0
	.amdhsa_kernel _ZL30rocblas_trmm_outofplace_kernelIdLi32ELi2ELb0ELb0ELb1ELb0EdKddEv17rocblas_diagonal_iiT6_lPT7_lllS4_lllPT8_llli
		.amdhsa_group_segment_fixed_size 16384
		.amdhsa_private_segment_fixed_size 0
		.amdhsa_kernarg_size 392
		.amdhsa_user_sgpr_count 2
		.amdhsa_user_sgpr_dispatch_ptr 0
		.amdhsa_user_sgpr_queue_ptr 0
		.amdhsa_user_sgpr_kernarg_segment_ptr 1
		.amdhsa_user_sgpr_dispatch_id 0
		.amdhsa_user_sgpr_kernarg_preload_length 0
		.amdhsa_user_sgpr_kernarg_preload_offset 0
		.amdhsa_user_sgpr_private_segment_size 0
		.amdhsa_wavefront_size32 1
		.amdhsa_uses_dynamic_stack 0
		.amdhsa_enable_private_segment 0
		.amdhsa_system_sgpr_workgroup_id_x 1
		.amdhsa_system_sgpr_workgroup_id_y 1
		.amdhsa_system_sgpr_workgroup_id_z 1
		.amdhsa_system_sgpr_workgroup_info 0
		.amdhsa_system_vgpr_workitem_id 1
		.amdhsa_next_free_vgpr 82
		.amdhsa_next_free_sgpr 51
		.amdhsa_named_barrier_count 0
		.amdhsa_reserve_vcc 1
		.amdhsa_float_round_mode_32 0
		.amdhsa_float_round_mode_16_64 0
		.amdhsa_float_denorm_mode_32 3
		.amdhsa_float_denorm_mode_16_64 3
		.amdhsa_fp16_overflow 0
		.amdhsa_memory_ordered 1
		.amdhsa_forward_progress 1
		.amdhsa_inst_pref_size 25
		.amdhsa_round_robin_scheduling 0
		.amdhsa_exception_fp_ieee_invalid_op 0
		.amdhsa_exception_fp_denorm_src 0
		.amdhsa_exception_fp_ieee_div_zero 0
		.amdhsa_exception_fp_ieee_overflow 0
		.amdhsa_exception_fp_ieee_underflow 0
		.amdhsa_exception_fp_ieee_inexact 0
		.amdhsa_exception_int_div_zero 0
	.end_amdhsa_kernel
	.section	.text._ZL30rocblas_trmm_outofplace_kernelIdLi32ELi2ELb0ELb0ELb1ELb0EdKddEv17rocblas_diagonal_iiT6_lPT7_lllS4_lllPT8_llli,"axG",@progbits,_ZL30rocblas_trmm_outofplace_kernelIdLi32ELi2ELb0ELb0ELb1ELb0EdKddEv17rocblas_diagonal_iiT6_lPT7_lllS4_lllPT8_llli,comdat
.Lfunc_end53:
	.size	_ZL30rocblas_trmm_outofplace_kernelIdLi32ELi2ELb0ELb0ELb1ELb0EdKddEv17rocblas_diagonal_iiT6_lPT7_lllS4_lllPT8_llli, .Lfunc_end53-_ZL30rocblas_trmm_outofplace_kernelIdLi32ELi2ELb0ELb0ELb1ELb0EdKddEv17rocblas_diagonal_iiT6_lPT7_lllS4_lllPT8_llli
                                        ; -- End function
	.set _ZL30rocblas_trmm_outofplace_kernelIdLi32ELi2ELb0ELb0ELb1ELb0EdKddEv17rocblas_diagonal_iiT6_lPT7_lllS4_lllPT8_llli.num_vgpr, 82
	.set _ZL30rocblas_trmm_outofplace_kernelIdLi32ELi2ELb0ELb0ELb1ELb0EdKddEv17rocblas_diagonal_iiT6_lPT7_lllS4_lllPT8_llli.num_agpr, 0
	.set _ZL30rocblas_trmm_outofplace_kernelIdLi32ELi2ELb0ELb0ELb1ELb0EdKddEv17rocblas_diagonal_iiT6_lPT7_lllS4_lllPT8_llli.numbered_sgpr, 51
	.set _ZL30rocblas_trmm_outofplace_kernelIdLi32ELi2ELb0ELb0ELb1ELb0EdKddEv17rocblas_diagonal_iiT6_lPT7_lllS4_lllPT8_llli.num_named_barrier, 0
	.set _ZL30rocblas_trmm_outofplace_kernelIdLi32ELi2ELb0ELb0ELb1ELb0EdKddEv17rocblas_diagonal_iiT6_lPT7_lllS4_lllPT8_llli.private_seg_size, 0
	.set _ZL30rocblas_trmm_outofplace_kernelIdLi32ELi2ELb0ELb0ELb1ELb0EdKddEv17rocblas_diagonal_iiT6_lPT7_lllS4_lllPT8_llli.uses_vcc, 1
	.set _ZL30rocblas_trmm_outofplace_kernelIdLi32ELi2ELb0ELb0ELb1ELb0EdKddEv17rocblas_diagonal_iiT6_lPT7_lllS4_lllPT8_llli.uses_flat_scratch, 0
	.set _ZL30rocblas_trmm_outofplace_kernelIdLi32ELi2ELb0ELb0ELb1ELb0EdKddEv17rocblas_diagonal_iiT6_lPT7_lllS4_lllPT8_llli.has_dyn_sized_stack, 0
	.set _ZL30rocblas_trmm_outofplace_kernelIdLi32ELi2ELb0ELb0ELb1ELb0EdKddEv17rocblas_diagonal_iiT6_lPT7_lllS4_lllPT8_llli.has_recursion, 0
	.set _ZL30rocblas_trmm_outofplace_kernelIdLi32ELi2ELb0ELb0ELb1ELb0EdKddEv17rocblas_diagonal_iiT6_lPT7_lllS4_lllPT8_llli.has_indirect_call, 0
	.section	.AMDGPU.csdata,"",@progbits
; Kernel info:
; codeLenInByte = 3144
; TotalNumSgprs: 53
; NumVgprs: 82
; ScratchSize: 0
; MemoryBound: 0
; FloatMode: 240
; IeeeMode: 1
; LDSByteSize: 16384 bytes/workgroup (compile time only)
; SGPRBlocks: 0
; VGPRBlocks: 5
; NumSGPRsForWavesPerEU: 53
; NumVGPRsForWavesPerEU: 82
; NamedBarCnt: 0
; Occupancy: 10
; WaveLimiterHint : 0
; COMPUTE_PGM_RSRC2:SCRATCH_EN: 0
; COMPUTE_PGM_RSRC2:USER_SGPR: 2
; COMPUTE_PGM_RSRC2:TRAP_HANDLER: 0
; COMPUTE_PGM_RSRC2:TGID_X_EN: 1
; COMPUTE_PGM_RSRC2:TGID_Y_EN: 1
; COMPUTE_PGM_RSRC2:TGID_Z_EN: 1
; COMPUTE_PGM_RSRC2:TIDIG_COMP_CNT: 1
	.section	.text._ZL30rocblas_trmm_outofplace_kernelIdLi32ELi2ELb0ELb1ELb1ELb0EPKdS0_dEv17rocblas_diagonal_iiT6_lPT7_lllS5_lllPT8_llli,"axG",@progbits,_ZL30rocblas_trmm_outofplace_kernelIdLi32ELi2ELb0ELb1ELb1ELb0EPKdS0_dEv17rocblas_diagonal_iiT6_lPT7_lllS5_lllPT8_llli,comdat
	.globl	_ZL30rocblas_trmm_outofplace_kernelIdLi32ELi2ELb0ELb1ELb1ELb0EPKdS0_dEv17rocblas_diagonal_iiT6_lPT7_lllS5_lllPT8_llli ; -- Begin function _ZL30rocblas_trmm_outofplace_kernelIdLi32ELi2ELb0ELb1ELb1ELb0EPKdS0_dEv17rocblas_diagonal_iiT6_lPT7_lllS5_lllPT8_llli
	.p2align	8
	.type	_ZL30rocblas_trmm_outofplace_kernelIdLi32ELi2ELb0ELb1ELb1ELb0EPKdS0_dEv17rocblas_diagonal_iiT6_lPT7_lllS5_lllPT8_llli,@function
_ZL30rocblas_trmm_outofplace_kernelIdLi32ELi2ELb0ELb1ELb1ELb0EPKdS0_dEv17rocblas_diagonal_iiT6_lPT7_lllS5_lllPT8_llli: ; @_ZL30rocblas_trmm_outofplace_kernelIdLi32ELi2ELb0ELb1ELb1ELb0EPKdS0_dEv17rocblas_diagonal_iiT6_lPT7_lllS5_lllPT8_llli
; %bb.0:
	s_load_b32 s11, s[0:1], 0x80
	s_bfe_u32 s2, ttmp6, 0x40014
	s_lshr_b32 s3, ttmp7, 16
	s_add_co_i32 s2, s2, 1
	s_bfe_u32 s5, ttmp6, 0x40008
	s_mul_i32 s4, s3, s2
	s_getreg_b32 s2, hwreg(HW_REG_IB_STS2, 6, 4)
	s_add_co_i32 s5, s5, s4
	s_cmp_eq_u32 s2, 0
	s_mov_b32 s35, 0
	s_cselect_b32 s34, s3, s5
	s_wait_kmcnt 0x0
	s_cmp_ge_u32 s34, s11
	s_cbranch_scc1 .LBB54_56
; %bb.1:
	s_clause 0x3
	s_load_b96 s[8:10], s[0:1], 0x0
	s_load_b512 s[12:27], s[0:1], 0x10
	s_load_b128 s[28:31], s[0:1], 0x70
	s_load_b256 s[36:43], s[0:1], 0x50
	s_bfe_u32 s4, ttmp6, 0x4000c
	s_bfe_u32 s6, ttmp6, 0x40010
	s_add_co_i32 s4, s4, 1
	s_and_b32 s3, ttmp6, 15
	s_and_b32 s5, ttmp7, 0xffff
	s_add_nc_u64 s[44:45], s[0:1], 0x88
	s_add_co_i32 s6, s6, 1
	s_wait_xcnt 0x0
	s_mul_i32 s0, ttmp9, s4
	s_bfe_u32 s7, ttmp6, 0x40004
	s_mul_i32 s1, s5, s6
	s_add_co_i32 s3, s3, s0
	s_add_co_i32 s7, s7, s1
	v_bfe_u32 v58, v0, 10, 10
	v_and_b32_e32 v6, 0x3ff, v0
	v_mov_b64_e32 v[8:9], 0
	v_mov_b64_e32 v[10:11], 1.0
	s_wait_kmcnt 0x0
	s_add_co_i32 s0, s10, -1
	v_lshlrev_b32_e32 v59, 8, v58
	s_ashr_i32 s1, s0, 31
	v_lshlrev_b32_e32 v0, 3, v6
	s_lshr_b32 s1, s1, 27
	s_delay_alu instid0(SALU_CYCLE_1)
	s_add_co_i32 s4, s0, s1
	s_lshl_b64 s[0:1], s[42:43], 3
	s_ashr_i32 s33, s4, 5
	s_cmp_eq_u32 s2, 0
	v_add_nc_u32_e32 v60, v59, v0
	s_cselect_b32 s2, ttmp9, s3
	v_or_b32_e32 v61, 0x2000, v0
	v_lshl_add_u32 v0, s2, 5, v6
	s_cselect_b32 s56, s5, s7
	s_mov_b32 s2, s9
	s_cmp_le_i32 s56, s33
	s_add_nc_u64 s[40:41], s[40:41], s[0:1]
	v_ashrrev_i32_e32 v1, 31, v0
	s_cselect_b32 s57, -1, 0
	s_cmp_eq_u32 s8, 0x84
	v_add_nc_u32_e32 v2, 16, v0
	s_cselect_b32 s58, -1, 0
	s_ashr_i32 s3, s9, 31
	s_lshl_b64 s[4:5], s[26:27], 3
	v_sub_nc_u64_e32 v[4:5], s[2:3], v[0:1]
	s_lshl_b32 s6, s56, 5
	s_add_nc_u64 s[4:5], s[24:25], s[4:5]
	v_add_nc_u32_e32 v62, v61, v59
	v_cmp_gt_i32_e64 s0, s9, v0
	v_cmp_gt_i32_e64 s3, s9, v2
	v_ashrrev_i32_e32 v3, 31, v2
	v_cmp_gt_i64_e64 s1, 1, v[4:5]
	v_cmp_gt_i64_e64 s2, 17, v[4:5]
	v_add_nc_u32_e32 v63, s6, v6
	v_add_nc_u32_e32 v64, s6, v58
	v_lshl_add_u64 v[4:5], v[0:1], 3, s[4:5]
	v_dual_mov_b32 v6, 0 :: v_dual_add_nc_u32 v65, 0x800, v61
	v_add_nc_u32_e32 v66, 0x1000, v61
	v_add_nc_u32_e32 v67, 0x1800, v61
	s_mov_b32 s42, s10
	s_ashr_i32 s43, s10, 31
	s_lshl_b64 s[4:5], s[18:19], 3
	s_lshl_b64 s[46:47], s[20:21], 8
	;; [unrolled: 1-line block ×3, first 2 shown]
	s_add_nc_u64 s[50:51], s[42:43], -16
	s_lshl_b64 s[24:25], s[36:37], 3
	s_lshl_b64 s[26:27], s[38:39], 3
	s_add_nc_u64 s[16:17], s[16:17], s[4:5]
	s_lshl_b64 s[18:19], s[22:23], 3
	s_lshl_b64 s[22:23], s[20:21], 3
	s_branch .LBB54_4
.LBB54_2:                               ;   in Loop: Header=BB54_4 Depth=1
	s_add_co_i32 s34, s34, 0x10000
	s_delay_alu instid0(SALU_CYCLE_1)
	s_cmp_ge_u32 s34, s11
	s_cselect_b32 s4, -1, 0
.LBB54_3:                               ;   in Loop: Header=BB54_4 Depth=1
	s_delay_alu instid0(SALU_CYCLE_1)
	s_and_b32 vcc_lo, exec_lo, s4
	s_cbranch_vccnz .LBB54_56
.LBB54_4:                               ; =>This Loop Header: Depth=1
                                        ;     Child Loop BB54_8 Depth 2
                                        ;       Child Loop BB54_11 Depth 3
	s_mul_u64 s[4:5], s[14:15], s[34:35]
	s_delay_alu instid0(SALU_CYCLE_1) | instskip(NEXT) | instid1(SALU_CYCLE_1)
	s_lshl_b64 s[4:5], s[4:5], 3
	s_add_nc_u64 s[4:5], s[12:13], s[4:5]
	global_load_b64 v[12:13], v6, s[4:5]
	s_wait_xcnt 0x0
	s_mov_b32 s4, -1
	s_wait_loadcnt 0x0
	v_cmp_eq_f64_e32 vcc_lo, 0, v[12:13]
	s_cbranch_vccnz .LBB54_3
; %bb.5:                                ;   in Loop: Header=BB54_4 Depth=1
	s_and_not1_b32 vcc_lo, exec_lo, s57
	s_cbranch_vccnz .LBB54_2
; %bb.6:                                ;   in Loop: Header=BB54_4 Depth=1
	s_load_b32 s59, s[44:45], 0x4
	v_mad_nc_u64_u32 v[14:15], s26, s34, v[4:5]
	s_mul_u64 s[6:7], s[30:31], s[34:35]
	v_dual_mov_b32 v16, v64 :: v_dual_mov_b32 v18, v63
	s_mul_u64 s[4:5], s[18:19], s[34:35]
	s_lshl_b64 s[6:7], s[6:7], 3
	s_add_nc_u64 s[38:39], s[16:17], s[4:5]
	s_add_nc_u64 s[52:53], s[40:41], s[6:7]
	s_mov_b32 s61, s56
	s_delay_alu instid0(VALU_DEP_2)
	v_mad_u32 v15, s27, s34, v15
	s_wait_kmcnt 0x0
	s_lshl_b32 s60, s59, 5
	s_branch .LBB54_8
.LBB54_7:                               ;   in Loop: Header=BB54_8 Depth=2
	s_wait_xcnt 0x0
	s_or_b32 exec_lo, exec_lo, s4
	v_dual_add_nc_u32 v18, s60, v18 :: v_dual_add_nc_u32 v16, s60, v16
	s_add_co_i32 s61, s59, s61
	s_delay_alu instid0(SALU_CYCLE_1)
	s_cmp_gt_i32 s61, s33
	s_cbranch_scc1 .LBB54_2
.LBB54_8:                               ;   Parent Loop BB54_4 Depth=1
                                        ; =>  This Loop Header: Depth=2
                                        ;       Child Loop BB54_11 Depth 3
	s_lshl_b32 s4, s61, 5
	s_delay_alu instid0(SALU_CYCLE_1) | instskip(SKIP_2) | instid1(SALU_CYCLE_1)
	v_dual_ashrrev_i32 v17, 31, v16 :: v_dual_add_nc_u32 v20, s4, v58
	v_ashrrev_i32_e32 v19, 31, v18
	s_sub_co_i32 s62, s10, s4
	s_cmp_lt_i32 s62, 1
	s_delay_alu instid0(VALU_DEP_2)
	v_ashrrev_i32_e32 v21, 31, v20
	s_cbranch_scc1 .LBB54_47
; %bb.9:                                ;   in Loop: Header=BB54_8 Depth=2
	v_lshlrev_b64_e32 v[26:27], 3, v[16:17]
	v_lshl_add_u64 v[24:25], v[18:19], 3, 0x80
	v_mad_nc_u64_u32 v[30:31], s24, v16, 0x80
	v_mad_nc_u64_u32 v[34:35], s22, v18, s[38:39]
	v_sub_nc_u64_e32 v[42:43], v[16:17], v[18:19]
	v_add_nc_u64_e32 v[40:41], 16, v[20:21]
	v_mad_nc_u64_u32 v[36:37], s20, v24, s[38:39]
	v_add_nc_u64_e32 v[22:23], 0x80, v[26:27]
	v_mov_b64_e32 v[32:33], 0
	v_mov_b64_e32 v[48:49], v[14:15]
	v_cmp_le_i32_e64 s4, s10, v20
	v_add_nc_u64_e32 v[44:45], 16, v[42:43]
	v_add_nc_u64_e32 v[46:47], -16, v[42:43]
	v_mad_u32 v7, s25, v16, v31
	v_mad_nc_u64_u32 v[38:39], s36, v22, 0x80
	v_mad_u32 v28, s23, v18, v35
	s_mov_b64 s[54:55], 0
	v_mad_u32 v24, s21, v24, v37
	v_cmp_le_i64_e32 vcc_lo, s[42:43], v[40:41]
	v_mad_u32 v31, s24, v17, v7
	v_mad_u32 v22, s37, v22, v39
	;; [unrolled: 1-line block ×3, first 2 shown]
	v_mov_b64_e32 v[28:29], 0
	v_mad_u32 v37, s20, v25, v24
	v_mov_b64_e32 v[24:25], 0
	v_mad_u32 v39, s36, v23, v22
	v_mov_b64_e32 v[22:23], 0
	s_branch .LBB54_11
.LBB54_10:                              ;   in Loop: Header=BB54_11 Depth=3
	s_or_b32 exec_lo, exec_lo, s5
	s_wait_dscnt 0x0
	s_barrier_signal -1
	s_barrier_wait -1
	ds_load_b128 v[50:53], v59
	ds_load_2addr_b64 v[54:57], v61 offset1:16
	ds_load_b128 v[68:71], v59 offset:4096
	ds_load_b128 v[72:75], v59 offset:16
	;; [unrolled: 1-line block ×3, first 2 shown]
	v_add_nc_u64_e32 v[48:49], s[48:49], v[48:49]
	v_add_nc_u64_e32 v[36:37], s[46:47], v[36:37]
	;; [unrolled: 1-line block ×3, first 2 shown]
	s_add_nc_u64 s[54:55], s[54:55], 32
	s_delay_alu instid0(SALU_CYCLE_1)
	s_cmp_ge_i32 s54, s62
	s_wait_dscnt 0x3
	v_fmac_f64_e32 v[32:33], v[54:55], v[50:51]
	v_fmac_f64_e32 v[28:29], v[56:57], v[50:51]
	s_wait_dscnt 0x2
	v_fmac_f64_e32 v[24:25], v[54:55], v[68:69]
	v_fmac_f64_e32 v[22:23], v[56:57], v[68:69]
	ds_load_2addr_b64 v[54:57], v61 offset0:32 offset1:48
	s_wait_dscnt 0x0
	v_fmac_f64_e32 v[32:33], v[54:55], v[52:53]
	v_fmac_f64_e32 v[28:29], v[56:57], v[52:53]
	v_fmac_f64_e32 v[24:25], v[54:55], v[70:71]
	v_fmac_f64_e32 v[22:23], v[56:57], v[70:71]
	ds_load_2addr_b64 v[50:53], v61 offset0:64 offset1:80
	s_wait_dscnt 0x0
	v_fmac_f64_e32 v[32:33], v[50:51], v[72:73]
	v_fmac_f64_e32 v[28:29], v[52:53], v[72:73]
	v_fmac_f64_e32 v[24:25], v[50:51], v[76:77]
	v_fmac_f64_e32 v[22:23], v[52:53], v[76:77]
	ds_load_2addr_b64 v[50:53], v61 offset0:96 offset1:112
	s_wait_dscnt 0x0
	v_fmac_f64_e32 v[32:33], v[50:51], v[74:75]
	v_fmac_f64_e32 v[28:29], v[52:53], v[74:75]
	v_fmac_f64_e32 v[24:25], v[50:51], v[78:79]
	v_fmac_f64_e32 v[22:23], v[52:53], v[78:79]
	ds_load_b128 v[50:53], v59 offset:32
	ds_load_2addr_b64 v[54:57], v61 offset0:128 offset1:144
	ds_load_b128 v[68:71], v59 offset:4128
	ds_load_b128 v[72:75], v59 offset:48
	ds_load_b128 v[76:79], v59 offset:4144
	s_wait_dscnt 0x3
	v_fmac_f64_e32 v[32:33], v[54:55], v[50:51]
	v_fmac_f64_e32 v[28:29], v[56:57], v[50:51]
	s_wait_dscnt 0x2
	v_fmac_f64_e32 v[24:25], v[54:55], v[68:69]
	v_fmac_f64_e32 v[22:23], v[56:57], v[68:69]
	ds_load_2addr_b64 v[54:57], v61 offset0:160 offset1:176
	s_wait_dscnt 0x0
	v_fmac_f64_e32 v[32:33], v[54:55], v[52:53]
	v_fmac_f64_e32 v[28:29], v[56:57], v[52:53]
	v_fmac_f64_e32 v[24:25], v[54:55], v[70:71]
	v_fmac_f64_e32 v[22:23], v[56:57], v[70:71]
	ds_load_2addr_b64 v[50:53], v61 offset0:192 offset1:208
	s_wait_dscnt 0x0
	v_fmac_f64_e32 v[32:33], v[50:51], v[72:73]
	v_fmac_f64_e32 v[28:29], v[52:53], v[72:73]
	v_fmac_f64_e32 v[24:25], v[50:51], v[76:77]
	v_fmac_f64_e32 v[22:23], v[52:53], v[76:77]
	ds_load_2addr_b64 v[50:53], v61 offset0:224 offset1:240
	s_wait_dscnt 0x0
	v_fmac_f64_e32 v[32:33], v[50:51], v[74:75]
	v_fmac_f64_e32 v[28:29], v[52:53], v[74:75]
	v_fmac_f64_e32 v[24:25], v[50:51], v[78:79]
	v_fmac_f64_e32 v[22:23], v[52:53], v[78:79]
	ds_load_b128 v[50:53], v59 offset:64
	ds_load_2addr_b64 v[54:57], v65 offset1:16
	ds_load_b128 v[68:71], v59 offset:4160
	ds_load_b128 v[72:75], v59 offset:80
	ds_load_b128 v[76:79], v59 offset:4176
	s_wait_dscnt 0x3
	v_fmac_f64_e32 v[32:33], v[54:55], v[50:51]
	v_fmac_f64_e32 v[28:29], v[56:57], v[50:51]
	s_wait_dscnt 0x2
	v_fmac_f64_e32 v[24:25], v[54:55], v[68:69]
	v_fmac_f64_e32 v[22:23], v[56:57], v[68:69]
	ds_load_2addr_b64 v[54:57], v65 offset0:32 offset1:48
	s_wait_dscnt 0x0
	v_fmac_f64_e32 v[32:33], v[54:55], v[52:53]
	v_fmac_f64_e32 v[28:29], v[56:57], v[52:53]
	v_fmac_f64_e32 v[24:25], v[54:55], v[70:71]
	v_fmac_f64_e32 v[22:23], v[56:57], v[70:71]
	ds_load_2addr_b64 v[50:53], v65 offset0:64 offset1:80
	s_wait_dscnt 0x0
	v_fmac_f64_e32 v[32:33], v[50:51], v[72:73]
	v_fmac_f64_e32 v[28:29], v[52:53], v[72:73]
	v_fmac_f64_e32 v[24:25], v[50:51], v[76:77]
	v_fmac_f64_e32 v[22:23], v[52:53], v[76:77]
	ds_load_2addr_b64 v[50:53], v65 offset0:96 offset1:112
	s_wait_dscnt 0x0
	v_fmac_f64_e32 v[32:33], v[50:51], v[74:75]
	v_fmac_f64_e32 v[28:29], v[52:53], v[74:75]
	v_fmac_f64_e32 v[24:25], v[50:51], v[78:79]
	v_fmac_f64_e32 v[22:23], v[52:53], v[78:79]
	ds_load_b128 v[50:53], v59 offset:96
	ds_load_2addr_b64 v[54:57], v65 offset0:128 offset1:144
	ds_load_b128 v[68:71], v59 offset:4192
	ds_load_b128 v[72:75], v59 offset:112
	ds_load_b128 v[76:79], v59 offset:4208
	s_wait_dscnt 0x3
	v_fmac_f64_e32 v[32:33], v[54:55], v[50:51]
	v_fmac_f64_e32 v[28:29], v[56:57], v[50:51]
	s_wait_dscnt 0x2
	v_fmac_f64_e32 v[24:25], v[54:55], v[68:69]
	v_fmac_f64_e32 v[22:23], v[56:57], v[68:69]
	ds_load_2addr_b64 v[54:57], v65 offset0:160 offset1:176
	s_wait_dscnt 0x0
	v_fmac_f64_e32 v[32:33], v[54:55], v[52:53]
	v_fmac_f64_e32 v[28:29], v[56:57], v[52:53]
	v_fmac_f64_e32 v[24:25], v[54:55], v[70:71]
	v_fmac_f64_e32 v[22:23], v[56:57], v[70:71]
	ds_load_2addr_b64 v[50:53], v65 offset0:192 offset1:208
	s_wait_dscnt 0x0
	v_fmac_f64_e32 v[32:33], v[50:51], v[72:73]
	v_fmac_f64_e32 v[28:29], v[52:53], v[72:73]
	v_fmac_f64_e32 v[24:25], v[50:51], v[76:77]
	v_fmac_f64_e32 v[22:23], v[52:53], v[76:77]
	ds_load_2addr_b64 v[50:53], v65 offset0:224 offset1:240
	s_wait_dscnt 0x0
	v_fmac_f64_e32 v[32:33], v[50:51], v[74:75]
	v_fmac_f64_e32 v[28:29], v[52:53], v[74:75]
	v_fmac_f64_e32 v[24:25], v[50:51], v[78:79]
	v_fmac_f64_e32 v[22:23], v[52:53], v[78:79]
	ds_load_b128 v[50:53], v59 offset:128
	ds_load_2addr_b64 v[54:57], v66 offset1:16
	ds_load_b128 v[68:71], v59 offset:4224
	ds_load_b128 v[72:75], v59 offset:144
	ds_load_b128 v[76:79], v59 offset:4240
	;; [unrolled: 58-line block ×3, first 2 shown]
	s_wait_dscnt 0x3
	v_fmac_f64_e32 v[32:33], v[54:55], v[50:51]
	v_fmac_f64_e32 v[28:29], v[56:57], v[50:51]
	s_wait_dscnt 0x2
	v_fmac_f64_e32 v[24:25], v[54:55], v[68:69]
	v_fmac_f64_e32 v[22:23], v[56:57], v[68:69]
	ds_load_2addr_b64 v[54:57], v67 offset0:32 offset1:48
	s_wait_dscnt 0x0
	v_fmac_f64_e32 v[32:33], v[54:55], v[52:53]
	v_fmac_f64_e32 v[28:29], v[56:57], v[52:53]
	v_fmac_f64_e32 v[24:25], v[54:55], v[70:71]
	v_fmac_f64_e32 v[22:23], v[56:57], v[70:71]
	ds_load_2addr_b64 v[50:53], v67 offset0:64 offset1:80
	s_wait_dscnt 0x0
	v_fmac_f64_e32 v[32:33], v[50:51], v[72:73]
	v_fmac_f64_e32 v[28:29], v[52:53], v[72:73]
	;; [unrolled: 6-line block ×3, first 2 shown]
	v_fmac_f64_e32 v[24:25], v[50:51], v[78:79]
	v_fmac_f64_e32 v[22:23], v[52:53], v[78:79]
	ds_load_b128 v[50:53], v59 offset:224
	ds_load_2addr_b64 v[54:57], v67 offset0:128 offset1:144
	ds_load_b128 v[68:71], v59 offset:4320
	ds_load_b128 v[72:75], v59 offset:240
	;; [unrolled: 1-line block ×3, first 2 shown]
	s_wait_dscnt 0x3
	v_fmac_f64_e32 v[32:33], v[54:55], v[50:51]
	v_fmac_f64_e32 v[28:29], v[56:57], v[50:51]
	s_wait_dscnt 0x2
	v_fmac_f64_e32 v[24:25], v[54:55], v[68:69]
	v_fmac_f64_e32 v[22:23], v[56:57], v[68:69]
	ds_load_2addr_b64 v[54:57], v67 offset0:160 offset1:176
	s_wait_dscnt 0x0
	v_fmac_f64_e32 v[32:33], v[54:55], v[52:53]
	v_fmac_f64_e32 v[28:29], v[56:57], v[52:53]
	;; [unrolled: 1-line block ×4, first 2 shown]
	ds_load_2addr_b64 v[50:53], v67 offset0:192 offset1:208
	s_wait_dscnt 0x0
	v_fmac_f64_e32 v[32:33], v[50:51], v[72:73]
	v_fmac_f64_e32 v[28:29], v[52:53], v[72:73]
	;; [unrolled: 1-line block ×4, first 2 shown]
	ds_load_2addr_b64 v[50:53], v67 offset0:224 offset1:240
	s_wait_dscnt 0x0
	s_barrier_signal -1
	s_barrier_wait -1
	v_fmac_f64_e32 v[32:33], v[50:51], v[74:75]
	v_fmac_f64_e32 v[28:29], v[52:53], v[74:75]
	;; [unrolled: 1-line block ×4, first 2 shown]
	s_cbranch_scc1 .LBB54_48
.LBB54_11:                              ;   Parent Loop BB54_4 Depth=1
                                        ;     Parent Loop BB54_8 Depth=2
                                        ; =>    This Inner Loop Header: Depth=3
	v_add_nc_u64_e32 v[52:53], s[54:55], v[18:19]
	v_cmp_eq_u64_e64 s7, s[54:55], v[42:43]
	v_add_nc_u64_e32 v[50:51], v[34:35], v[26:27]
                                        ; implicit-def: $vgpr56_vgpr57
	s_delay_alu instid0(VALU_DEP_3) | instskip(SKIP_3) | instid1(SALU_CYCLE_1)
	v_cmp_lt_i64_e64 s5, v[52:53], v[20:21]
	v_cmp_le_i64_e64 s6, s[42:43], v[52:53]
	s_and_b32 s63, s58, s7
	s_or_b32 s8, s4, s5
	s_or_b32 s7, s6, s8
	s_delay_alu instid0(SALU_CYCLE_1) | instskip(NEXT) | instid1(SALU_CYCLE_1)
	s_nor_b32 s7, s7, s63
	s_and_saveexec_b32 s8, s7
	s_delay_alu instid0(SALU_CYCLE_1)
	s_xor_b32 s7, exec_lo, s8
	s_cbranch_execz .LBB54_13
; %bb.12:                               ;   in Loop: Header=BB54_11 Depth=3
	global_load_b64 v[56:57], v[50:51], off
.LBB54_13:                              ;   in Loop: Header=BB54_11 Depth=3
	s_wait_xcnt 0x0
	s_and_not1_saveexec_b32 s7, s7
	s_cbranch_execz .LBB54_15
; %bb.14:                               ;   in Loop: Header=BB54_11 Depth=3
	v_cndmask_b32_e64 v7, 0, 0x3ff00000, s63
	s_wait_loadcnt 0x0
	s_delay_alu instid0(VALU_DEP_1)
	v_mov_b64_e32 v[56:57], v[6:7]
.LBB54_15:                              ;   in Loop: Header=BB54_11 Depth=3
	s_or_b32 exec_lo, exec_lo, s7
	v_add_nc_u64_e32 v[54:55], 16, v[52:53]
	v_cmp_eq_u64_e64 s9, s[54:55], v[46:47]
	s_wait_loadcnt 0x0
	ds_store_b64 v60, v[56:57]
	v_cmp_lt_i64_e64 s8, v[54:55], v[20:21]
	v_cmp_le_i64_e64 s7, s[42:43], v[54:55]
	v_add_nc_u64_e32 v[54:55], v[36:37], v[26:27]
	s_and_b32 s9, s58, s9
	s_or_b32 s8, s4, s8
	s_delay_alu instid0(SALU_CYCLE_1) | instskip(NEXT) | instid1(SALU_CYCLE_1)
	s_or_b32 s8, s7, s8
	s_nor_b32 s8, s8, s9
	s_delay_alu instid0(SALU_CYCLE_1) | instskip(NEXT) | instid1(SALU_CYCLE_1)
	s_and_saveexec_b32 s64, s8
	s_xor_b32 s8, exec_lo, s64
	s_cbranch_execz .LBB54_17
; %bb.16:                               ;   in Loop: Header=BB54_11 Depth=3
	global_load_b64 v[56:57], v[54:55], off
	s_wait_loadcnt 0x0
	ds_store_b64 v60, v[56:57] offset:128
.LBB54_17:                              ;   in Loop: Header=BB54_11 Depth=3
	s_wait_xcnt 0x0
	s_and_not1_saveexec_b32 s8, s8
	s_cbranch_execz .LBB54_23
; %bb.18:                               ;   in Loop: Header=BB54_11 Depth=3
	s_xor_b32 s9, s9, -1
	s_delay_alu instid0(SALU_CYCLE_1) | instskip(NEXT) | instid1(SALU_CYCLE_1)
	s_and_saveexec_b32 s64, s9
	s_xor_b32 s9, exec_lo, s64
; %bb.19:                               ;   in Loop: Header=BB54_11 Depth=3
	ds_store_b64 v60, v[8:9] offset:128
; %bb.20:                               ;   in Loop: Header=BB54_11 Depth=3
	s_and_not1_saveexec_b32 s9, s9
; %bb.21:                               ;   in Loop: Header=BB54_11 Depth=3
	ds_store_b64 v60, v[10:11] offset:128
; %bb.22:                               ;   in Loop: Header=BB54_11 Depth=3
	s_or_b32 exec_lo, exec_lo, s9
.LBB54_23:                              ;   in Loop: Header=BB54_11 Depth=3
	s_delay_alu instid0(SALU_CYCLE_1) | instskip(SKIP_4) | instid1(SALU_CYCLE_1)
	s_or_b32 exec_lo, exec_lo, s8
	v_cmp_eq_u64_e64 s8, s[54:55], v[44:45]
	v_cmp_lt_i64_e64 s9, v[52:53], v[40:41]
                                        ; implicit-def: $vgpr52_vgpr53
	s_and_b32 s8, s58, s8
	s_or_b32 s9, vcc_lo, s9
	s_or_b32 s9, s9, s8
	s_delay_alu instid0(SALU_CYCLE_1) | instskip(NEXT) | instid1(SALU_CYCLE_1)
	s_nor_b32 s6, s6, s9
	s_and_saveexec_b32 s9, s6
	s_delay_alu instid0(SALU_CYCLE_1)
	s_xor_b32 s6, exec_lo, s9
	s_cbranch_execz .LBB54_25
; %bb.24:                               ;   in Loop: Header=BB54_11 Depth=3
	global_load_b64 v[52:53], v[50:51], off offset:128
.LBB54_25:                              ;   in Loop: Header=BB54_11 Depth=3
	s_wait_xcnt 0x0
	s_and_not1_saveexec_b32 s6, s6
	s_cbranch_execz .LBB54_27
; %bb.26:                               ;   in Loop: Header=BB54_11 Depth=3
	v_cndmask_b32_e64 v7, 0, 0x3ff00000, s8
	s_wait_loadcnt 0x0
	s_delay_alu instid0(VALU_DEP_1)
	v_mov_b64_e32 v[52:53], v[6:7]
.LBB54_27:                              ;   in Loop: Header=BB54_11 Depth=3
	s_or_b32 exec_lo, exec_lo, s6
	s_or_b32 s5, vcc_lo, s5
	s_wait_loadcnt 0x0
	ds_store_b64 v60, v[52:53] offset:4096
	s_or_b32 s5, s7, s5
	s_delay_alu instid0(SALU_CYCLE_1) | instskip(NEXT) | instid1(SALU_CYCLE_1)
	s_nor_b32 s5, s5, s63
	s_and_saveexec_b32 s6, s5
	s_delay_alu instid0(SALU_CYCLE_1)
	s_xor_b32 s5, exec_lo, s6
	s_cbranch_execz .LBB54_29
; %bb.28:                               ;   in Loop: Header=BB54_11 Depth=3
	global_load_b64 v[50:51], v[54:55], off offset:128
	s_wait_loadcnt 0x0
	ds_store_b64 v60, v[50:51] offset:4224
.LBB54_29:                              ;   in Loop: Header=BB54_11 Depth=3
	s_wait_xcnt 0x0
	s_and_not1_saveexec_b32 s5, s5
	s_cbranch_execz .LBB54_35
; %bb.30:                               ;   in Loop: Header=BB54_11 Depth=3
	s_xor_b32 s6, s63, -1
	s_delay_alu instid0(SALU_CYCLE_1) | instskip(NEXT) | instid1(SALU_CYCLE_1)
	s_and_saveexec_b32 s7, s6
	s_xor_b32 s6, exec_lo, s7
; %bb.31:                               ;   in Loop: Header=BB54_11 Depth=3
	ds_store_b64 v60, v[8:9] offset:4224
; %bb.32:                               ;   in Loop: Header=BB54_11 Depth=3
	s_and_not1_saveexec_b32 s6, s6
; %bb.33:                               ;   in Loop: Header=BB54_11 Depth=3
	ds_store_b64 v60, v[10:11] offset:4224
; %bb.34:                               ;   in Loop: Header=BB54_11 Depth=3
	s_or_b32 exec_lo, exec_lo, s6
.LBB54_35:                              ;   in Loop: Header=BB54_11 Depth=3
	s_delay_alu instid0(SALU_CYCLE_1) | instskip(SKIP_3) | instid1(VALU_DEP_3)
	s_or_b32 exec_lo, exec_lo, s5
	v_add_nc_u64_e32 v[50:51], s[54:55], v[16:17]
	v_add_nc_u64_e32 v[52:53], v[48:49], v[30:31]
	v_mov_b64_e32 v[54:55], 0
	v_cmp_le_i64_e64 s5, s[42:43], v[50:51]
	s_nor_b32 s7, s5, s1
	s_delay_alu instid0(SALU_CYCLE_1)
	s_and_saveexec_b32 s6, s7
	s_cbranch_execz .LBB54_37
; %bb.36:                               ;   in Loop: Header=BB54_11 Depth=3
	global_load_b64 v[54:55], v[52:53], off offset:-128
.LBB54_37:                              ;   in Loop: Header=BB54_11 Depth=3
	s_wait_xcnt 0x0
	s_or_b32 exec_lo, exec_lo, s6
	s_nor_b32 s5, s5, s2
	s_wait_loadcnt 0x0
	ds_store_b64 v62, v[54:55]
	s_and_saveexec_b32 s6, s5
	s_delay_alu instid0(SALU_CYCLE_1)
	s_xor_b32 s5, exec_lo, s6
	s_cbranch_execz .LBB54_39
; %bb.38:                               ;   in Loop: Header=BB54_11 Depth=3
	global_load_b64 v[52:53], v[52:53], off
	s_wait_loadcnt 0x0
	ds_store_b64 v62, v[52:53] offset:128
.LBB54_39:                              ;   in Loop: Header=BB54_11 Depth=3
	s_wait_xcnt 0x0
	s_and_not1_saveexec_b32 s5, s5
; %bb.40:                               ;   in Loop: Header=BB54_11 Depth=3
	ds_store_b64 v62, v[8:9] offset:128
; %bb.41:                               ;   in Loop: Header=BB54_11 Depth=3
	s_or_b32 exec_lo, exec_lo, s5
	v_cmp_le_i64_e64 s5, s[50:51], v[50:51]
	v_add_nc_u64_e32 v[50:51], v[48:49], v[38:39]
	v_mov_b64_e32 v[52:53], 0
	s_nor_b32 s7, s5, s1
	s_delay_alu instid0(SALU_CYCLE_1)
	s_and_saveexec_b32 s6, s7
	s_cbranch_execz .LBB54_43
; %bb.42:                               ;   in Loop: Header=BB54_11 Depth=3
	global_load_b64 v[52:53], v[50:51], off offset:-128
.LBB54_43:                              ;   in Loop: Header=BB54_11 Depth=3
	s_wait_xcnt 0x0
	s_or_b32 exec_lo, exec_lo, s6
	s_nor_b32 s5, s5, s2
	s_wait_loadcnt 0x0
	ds_store_b64 v62, v[52:53] offset:4096
	s_and_saveexec_b32 s6, s5
	s_delay_alu instid0(SALU_CYCLE_1)
	s_xor_b32 s5, exec_lo, s6
	s_cbranch_execz .LBB54_45
; %bb.44:                               ;   in Loop: Header=BB54_11 Depth=3
	global_load_b64 v[50:51], v[50:51], off
	s_wait_loadcnt 0x0
	ds_store_b64 v62, v[50:51] offset:4224
.LBB54_45:                              ;   in Loop: Header=BB54_11 Depth=3
	s_wait_xcnt 0x0
	s_and_not1_saveexec_b32 s5, s5
	s_cbranch_execz .LBB54_10
; %bb.46:                               ;   in Loop: Header=BB54_11 Depth=3
	ds_store_b64 v62, v[8:9] offset:4224
	s_branch .LBB54_10
.LBB54_47:                              ;   in Loop: Header=BB54_8 Depth=2
	v_mov_b64_e32 v[32:33], 0
	v_mov_b64_e32 v[28:29], 0
	;; [unrolled: 1-line block ×4, first 2 shown]
.LBB54_48:                              ;   in Loop: Header=BB54_8 Depth=2
	v_mul_u64_e32 v[26:27], s[28:29], v[20:21]
	v_cmp_gt_i32_e32 vcc_lo, s10, v20
	s_and_b32 s5, s0, vcc_lo
	s_delay_alu instid0(VALU_DEP_2)
	v_lshl_add_u64 v[26:27], v[26:27], 3, s[52:53]
	s_and_saveexec_b32 s4, s5
	s_cbranch_execz .LBB54_50
; %bb.49:                               ;   in Loop: Header=BB54_8 Depth=2
	s_delay_alu instid0(VALU_DEP_1)
	v_lshl_add_u64 v[30:31], v[0:1], 3, v[26:27]
	global_load_b64 v[34:35], v[30:31], off
	s_wait_loadcnt 0x0
	v_fmac_f64_e32 v[34:35], v[12:13], v[32:33]
	global_store_b64 v[30:31], v[34:35], off
.LBB54_50:                              ;   in Loop: Header=BB54_8 Depth=2
	s_wait_xcnt 0x0
	s_or_b32 exec_lo, exec_lo, s4
	s_and_b32 s5, s3, vcc_lo
	s_delay_alu instid0(SALU_CYCLE_1)
	s_and_saveexec_b32 s4, s5
	s_cbranch_execz .LBB54_52
; %bb.51:                               ;   in Loop: Header=BB54_8 Depth=2
	v_lshl_add_u64 v[26:27], v[2:3], 3, v[26:27]
	global_load_b64 v[30:31], v[26:27], off
	s_wait_loadcnt 0x0
	v_fmac_f64_e32 v[30:31], v[12:13], v[28:29]
	global_store_b64 v[26:27], v[30:31], off
.LBB54_52:                              ;   in Loop: Header=BB54_8 Depth=2
	s_wait_xcnt 0x0
	s_or_b32 exec_lo, exec_lo, s4
	v_add_nc_u32_e32 v20, 16, v20
	s_delay_alu instid0(VALU_DEP_1) | instskip(SKIP_1) | instid1(VALU_DEP_2)
	v_ashrrev_i32_e32 v21, 31, v20
	v_cmp_gt_i32_e32 vcc_lo, s10, v20
	v_mul_u64_e32 v[26:27], s[28:29], v[20:21]
	s_and_b32 s5, s0, vcc_lo
	s_delay_alu instid0(VALU_DEP_1)
	v_lshl_add_u64 v[20:21], v[26:27], 3, s[52:53]
	s_and_saveexec_b32 s4, s5
	s_cbranch_execz .LBB54_54
; %bb.53:                               ;   in Loop: Header=BB54_8 Depth=2
	s_delay_alu instid0(VALU_DEP_1)
	v_lshl_add_u64 v[26:27], v[0:1], 3, v[20:21]
	global_load_b64 v[28:29], v[26:27], off
	s_wait_loadcnt 0x0
	v_fmac_f64_e32 v[28:29], v[12:13], v[24:25]
	global_store_b64 v[26:27], v[28:29], off
.LBB54_54:                              ;   in Loop: Header=BB54_8 Depth=2
	s_wait_xcnt 0x0
	s_or_b32 exec_lo, exec_lo, s4
	s_and_b32 s5, s3, vcc_lo
	s_delay_alu instid0(SALU_CYCLE_1)
	s_and_saveexec_b32 s4, s5
	s_cbranch_execz .LBB54_7
; %bb.55:                               ;   in Loop: Header=BB54_8 Depth=2
	v_lshl_add_u64 v[20:21], v[2:3], 3, v[20:21]
	global_load_b64 v[24:25], v[20:21], off
	s_wait_loadcnt 0x0
	v_fmac_f64_e32 v[24:25], v[12:13], v[22:23]
	global_store_b64 v[20:21], v[24:25], off
	s_branch .LBB54_7
.LBB54_56:
	s_sendmsg sendmsg(MSG_DEALLOC_VGPRS)
	s_endpgm
	.section	.rodata,"a",@progbits
	.p2align	6, 0x0
	.amdhsa_kernel _ZL30rocblas_trmm_outofplace_kernelIdLi32ELi2ELb0ELb1ELb1ELb0EPKdS0_dEv17rocblas_diagonal_iiT6_lPT7_lllS5_lllPT8_llli
		.amdhsa_group_segment_fixed_size 16384
		.amdhsa_private_segment_fixed_size 0
		.amdhsa_kernarg_size 392
		.amdhsa_user_sgpr_count 2
		.amdhsa_user_sgpr_dispatch_ptr 0
		.amdhsa_user_sgpr_queue_ptr 0
		.amdhsa_user_sgpr_kernarg_segment_ptr 1
		.amdhsa_user_sgpr_dispatch_id 0
		.amdhsa_user_sgpr_kernarg_preload_length 0
		.amdhsa_user_sgpr_kernarg_preload_offset 0
		.amdhsa_user_sgpr_private_segment_size 0
		.amdhsa_wavefront_size32 1
		.amdhsa_uses_dynamic_stack 0
		.amdhsa_enable_private_segment 0
		.amdhsa_system_sgpr_workgroup_id_x 1
		.amdhsa_system_sgpr_workgroup_id_y 1
		.amdhsa_system_sgpr_workgroup_id_z 1
		.amdhsa_system_sgpr_workgroup_info 0
		.amdhsa_system_vgpr_workitem_id 1
		.amdhsa_next_free_vgpr 80
		.amdhsa_next_free_sgpr 65
		.amdhsa_named_barrier_count 0
		.amdhsa_reserve_vcc 1
		.amdhsa_float_round_mode_32 0
		.amdhsa_float_round_mode_16_64 0
		.amdhsa_float_denorm_mode_32 3
		.amdhsa_float_denorm_mode_16_64 3
		.amdhsa_fp16_overflow 0
		.amdhsa_memory_ordered 1
		.amdhsa_forward_progress 1
		.amdhsa_inst_pref_size 26
		.amdhsa_round_robin_scheduling 0
		.amdhsa_exception_fp_ieee_invalid_op 0
		.amdhsa_exception_fp_denorm_src 0
		.amdhsa_exception_fp_ieee_div_zero 0
		.amdhsa_exception_fp_ieee_overflow 0
		.amdhsa_exception_fp_ieee_underflow 0
		.amdhsa_exception_fp_ieee_inexact 0
		.amdhsa_exception_int_div_zero 0
	.end_amdhsa_kernel
	.section	.text._ZL30rocblas_trmm_outofplace_kernelIdLi32ELi2ELb0ELb1ELb1ELb0EPKdS0_dEv17rocblas_diagonal_iiT6_lPT7_lllS5_lllPT8_llli,"axG",@progbits,_ZL30rocblas_trmm_outofplace_kernelIdLi32ELi2ELb0ELb1ELb1ELb0EPKdS0_dEv17rocblas_diagonal_iiT6_lPT7_lllS5_lllPT8_llli,comdat
.Lfunc_end54:
	.size	_ZL30rocblas_trmm_outofplace_kernelIdLi32ELi2ELb0ELb1ELb1ELb0EPKdS0_dEv17rocblas_diagonal_iiT6_lPT7_lllS5_lllPT8_llli, .Lfunc_end54-_ZL30rocblas_trmm_outofplace_kernelIdLi32ELi2ELb0ELb1ELb1ELb0EPKdS0_dEv17rocblas_diagonal_iiT6_lPT7_lllS5_lllPT8_llli
                                        ; -- End function
	.set _ZL30rocblas_trmm_outofplace_kernelIdLi32ELi2ELb0ELb1ELb1ELb0EPKdS0_dEv17rocblas_diagonal_iiT6_lPT7_lllS5_lllPT8_llli.num_vgpr, 80
	.set _ZL30rocblas_trmm_outofplace_kernelIdLi32ELi2ELb0ELb1ELb1ELb0EPKdS0_dEv17rocblas_diagonal_iiT6_lPT7_lllS5_lllPT8_llli.num_agpr, 0
	.set _ZL30rocblas_trmm_outofplace_kernelIdLi32ELi2ELb0ELb1ELb1ELb0EPKdS0_dEv17rocblas_diagonal_iiT6_lPT7_lllS5_lllPT8_llli.numbered_sgpr, 65
	.set _ZL30rocblas_trmm_outofplace_kernelIdLi32ELi2ELb0ELb1ELb1ELb0EPKdS0_dEv17rocblas_diagonal_iiT6_lPT7_lllS5_lllPT8_llli.num_named_barrier, 0
	.set _ZL30rocblas_trmm_outofplace_kernelIdLi32ELi2ELb0ELb1ELb1ELb0EPKdS0_dEv17rocblas_diagonal_iiT6_lPT7_lllS5_lllPT8_llli.private_seg_size, 0
	.set _ZL30rocblas_trmm_outofplace_kernelIdLi32ELi2ELb0ELb1ELb1ELb0EPKdS0_dEv17rocblas_diagonal_iiT6_lPT7_lllS5_lllPT8_llli.uses_vcc, 1
	.set _ZL30rocblas_trmm_outofplace_kernelIdLi32ELi2ELb0ELb1ELb1ELb0EPKdS0_dEv17rocblas_diagonal_iiT6_lPT7_lllS5_lllPT8_llli.uses_flat_scratch, 0
	.set _ZL30rocblas_trmm_outofplace_kernelIdLi32ELi2ELb0ELb1ELb1ELb0EPKdS0_dEv17rocblas_diagonal_iiT6_lPT7_lllS5_lllPT8_llli.has_dyn_sized_stack, 0
	.set _ZL30rocblas_trmm_outofplace_kernelIdLi32ELi2ELb0ELb1ELb1ELb0EPKdS0_dEv17rocblas_diagonal_iiT6_lPT7_lllS5_lllPT8_llli.has_recursion, 0
	.set _ZL30rocblas_trmm_outofplace_kernelIdLi32ELi2ELb0ELb1ELb1ELb0EPKdS0_dEv17rocblas_diagonal_iiT6_lPT7_lllS5_lllPT8_llli.has_indirect_call, 0
	.section	.AMDGPU.csdata,"",@progbits
; Kernel info:
; codeLenInByte = 3236
; TotalNumSgprs: 67
; NumVgprs: 80
; ScratchSize: 0
; MemoryBound: 0
; FloatMode: 240
; IeeeMode: 1
; LDSByteSize: 16384 bytes/workgroup (compile time only)
; SGPRBlocks: 0
; VGPRBlocks: 4
; NumSGPRsForWavesPerEU: 67
; NumVGPRsForWavesPerEU: 80
; NamedBarCnt: 0
; Occupancy: 12
; WaveLimiterHint : 0
; COMPUTE_PGM_RSRC2:SCRATCH_EN: 0
; COMPUTE_PGM_RSRC2:USER_SGPR: 2
; COMPUTE_PGM_RSRC2:TRAP_HANDLER: 0
; COMPUTE_PGM_RSRC2:TGID_X_EN: 1
; COMPUTE_PGM_RSRC2:TGID_Y_EN: 1
; COMPUTE_PGM_RSRC2:TGID_Z_EN: 1
; COMPUTE_PGM_RSRC2:TIDIG_COMP_CNT: 1
	.section	.text._ZL30rocblas_trmm_outofplace_kernelIdLi32ELi2ELb0ELb1ELb1ELb0EdKddEv17rocblas_diagonal_iiT6_lPT7_lllS4_lllPT8_llli,"axG",@progbits,_ZL30rocblas_trmm_outofplace_kernelIdLi32ELi2ELb0ELb1ELb1ELb0EdKddEv17rocblas_diagonal_iiT6_lPT7_lllS4_lllPT8_llli,comdat
	.globl	_ZL30rocblas_trmm_outofplace_kernelIdLi32ELi2ELb0ELb1ELb1ELb0EdKddEv17rocblas_diagonal_iiT6_lPT7_lllS4_lllPT8_llli ; -- Begin function _ZL30rocblas_trmm_outofplace_kernelIdLi32ELi2ELb0ELb1ELb1ELb0EdKddEv17rocblas_diagonal_iiT6_lPT7_lllS4_lllPT8_llli
	.p2align	8
	.type	_ZL30rocblas_trmm_outofplace_kernelIdLi32ELi2ELb0ELb1ELb1ELb0EdKddEv17rocblas_diagonal_iiT6_lPT7_lllS4_lllPT8_llli,@function
_ZL30rocblas_trmm_outofplace_kernelIdLi32ELi2ELb0ELb1ELb1ELb0EdKddEv17rocblas_diagonal_iiT6_lPT7_lllS4_lllPT8_llli: ; @_ZL30rocblas_trmm_outofplace_kernelIdLi32ELi2ELb0ELb1ELb1ELb0EdKddEv17rocblas_diagonal_iiT6_lPT7_lllS4_lllPT8_llli
; %bb.0:
	s_load_b32 s33, s[0:1], 0x80
	s_bfe_u32 s2, ttmp6, 0x40014
	s_lshr_b32 s3, ttmp7, 16
	s_add_co_i32 s2, s2, 1
	s_bfe_u32 s5, ttmp6, 0x40008
	s_mul_i32 s4, s3, s2
	s_getreg_b32 s2, hwreg(HW_REG_IB_STS2, 6, 4)
	s_add_co_i32 s5, s5, s4
	s_cmp_eq_u32 s2, 0
	s_cselect_b32 s34, s3, s5
	s_wait_kmcnt 0x0
	s_cmp_ge_u32 s34, s33
	s_cbranch_scc1 .LBB55_55
; %bb.1:
	s_load_b64 s[40:41], s[0:1], 0x10
	s_wait_kmcnt 0x0
	v_cmp_eq_f64_e64 s3, s[40:41], 0
	s_and_b32 vcc_lo, exec_lo, s3
	s_cbranch_vccnz .LBB55_55
; %bb.2:
	s_clause 0x1
	s_load_b96 s[36:38], s[0:1], 0x0
	s_load_b512 s[8:23], s[0:1], 0x20
	s_bfe_u32 s4, ttmp6, 0x4000c
	s_and_b32 s3, ttmp6, 15
	s_add_co_i32 s4, s4, 1
	s_bfe_u32 s6, ttmp6, 0x40010
	s_add_nc_u64 s[42:43], s[0:1], 0x88
	s_load_b256 s[24:31], s[0:1], 0x60
	s_wait_xcnt 0x0
	s_mul_i32 s0, ttmp9, s4
	s_and_b32 s5, ttmp7, 0xffff
	s_add_co_i32 s6, s6, 1
	s_add_co_i32 s3, s3, s0
	s_bfe_u32 s7, ttmp6, 0x40004
	s_mul_i32 s1, s5, s6
	v_bfe_u32 v56, v0, 10, 10
	v_and_b32_e32 v6, 0x3ff, v0
	s_add_co_i32 s7, s7, s1
	v_mov_b64_e32 v[8:9], 0
	v_mov_b64_e32 v[10:11], 1.0
	s_delay_alu instid0(VALU_DEP_3)
	v_dual_lshlrev_b32 v57, 8, v56 :: v_dual_lshlrev_b32 v0, 3, v6
	s_wait_kmcnt 0x0
	s_add_co_i32 s0, s38, -1
	s_mov_b32 s44, s38
	s_ashr_i32 s4, s0, 31
	s_mov_b32 s35, 0
	s_lshr_b32 s1, s4, 27
	v_or_b32_e32 v58, 0x2000, v0
	s_add_co_i32 s0, s0, s1
	v_add_nc_u32_e32 v59, v57, v0
	s_ashr_i32 s39, s0, 5
	s_cmp_eq_u32 s2, 0
	v_add_nc_u32_e32 v60, v58, v57
	s_cselect_b32 s0, ttmp9, s3
	s_cselect_b32 s54, s5, s7
	v_lshl_add_u32 v0, s0, 5, v6
	s_cmp_le_i32 s54, s39
	s_mov_b32 s0, s37
	s_cselect_b32 s55, -1, 0
	s_cmp_eq_u32 s36, 0x84
	v_dual_ashrrev_i32 v1, 31, v0 :: v_dual_add_nc_u32 v2, 16, v0
	s_cselect_b32 s56, -1, 0
	s_ashr_i32 s1, s37, 31
	s_lshl_b64 s[2:3], s[26:27], 3
	s_delay_alu instid0(VALU_DEP_1)
	v_sub_nc_u64_e32 v[4:5], s[0:1], v[0:1]
	s_lshl_b64 s[4:5], s[18:19], 3
	s_add_nc_u64 s[24:25], s[24:25], s[2:3]
	s_lshl_b32 s6, s54, 5
	s_add_nc_u64 s[4:5], s[16:17], s[4:5]
	v_cmp_gt_i32_e64 s0, s37, v0
	v_cmp_gt_i32_e64 s3, s37, v2
	v_cmp_gt_i64_e64 s1, 1, v[4:5]
	v_cmp_gt_i64_e64 s2, 17, v[4:5]
	v_dual_ashrrev_i32 v3, 31, v2 :: v_dual_add_nc_u32 v62, s6, v56
	v_dual_mov_b32 v6, 0 :: v_dual_add_nc_u32 v61, s6, v6
	v_lshl_add_u64 v[4:5], v[0:1], 3, s[4:5]
	v_add_nc_u32_e32 v63, 0x800, v58
	v_add_nc_u32_e32 v64, 0x1000, v58
	;; [unrolled: 1-line block ×3, first 2 shown]
	s_ashr_i32 s45, s38, 31
	s_lshl_b64 s[4:5], s[10:11], 3
	s_lshl_b64 s[46:47], s[12:13], 8
	;; [unrolled: 1-line block ×3, first 2 shown]
	s_add_nc_u64 s[26:27], s[44:45], -16
	s_lshl_b64 s[16:17], s[20:21], 3
	s_lshl_b64 s[18:19], s[22:23], 3
	s_add_nc_u64 s[10:11], s[8:9], s[4:5]
	s_lshl_b64 s[14:15], s[14:15], 3
	s_lshl_b64 s[22:23], s[12:13], 3
	s_branch .LBB55_4
.LBB55_3:                               ;   in Loop: Header=BB55_4 Depth=1
	s_add_co_i32 s34, s34, 0x10000
	s_delay_alu instid0(SALU_CYCLE_1)
	s_cmp_ge_u32 s34, s33
	s_cbranch_scc1 .LBB55_55
.LBB55_4:                               ; =>This Loop Header: Depth=1
                                        ;     Child Loop BB55_7 Depth 2
                                        ;       Child Loop BB55_10 Depth 3
	s_and_not1_b32 vcc_lo, exec_lo, s55
	s_cbranch_vccnz .LBB55_3
; %bb.5:                                ;   in Loop: Header=BB55_4 Depth=1
	s_load_b32 s57, s[42:43], 0x4
	v_mad_nc_u64_u32 v[12:13], s18, s34, v[4:5]
	s_mul_u64 s[6:7], s[30:31], s[34:35]
	v_dual_mov_b32 v14, v62 :: v_dual_mov_b32 v16, v61
	s_mul_u64 s[4:5], s[14:15], s[34:35]
	s_lshl_b64 s[6:7], s[6:7], 3
	s_add_nc_u64 s[36:37], s[10:11], s[4:5]
	s_add_nc_u64 s[50:51], s[24:25], s[6:7]
	s_mov_b32 s59, s54
	s_delay_alu instid0(VALU_DEP_2)
	v_mad_u32 v13, s19, s34, v13
	s_wait_kmcnt 0x0
	s_lshl_b32 s58, s57, 5
	s_branch .LBB55_7
.LBB55_6:                               ;   in Loop: Header=BB55_7 Depth=2
	s_wait_xcnt 0x0
	s_or_b32 exec_lo, exec_lo, s4
	v_dual_add_nc_u32 v16, s58, v16 :: v_dual_add_nc_u32 v14, s58, v14
	s_add_co_i32 s59, s57, s59
	s_delay_alu instid0(SALU_CYCLE_1)
	s_cmp_gt_i32 s59, s39
	s_cbranch_scc1 .LBB55_3
.LBB55_7:                               ;   Parent Loop BB55_4 Depth=1
                                        ; =>  This Loop Header: Depth=2
                                        ;       Child Loop BB55_10 Depth 3
	s_lshl_b32 s4, s59, 5
	s_delay_alu instid0(SALU_CYCLE_1) | instskip(SKIP_2) | instid1(SALU_CYCLE_1)
	v_dual_ashrrev_i32 v15, 31, v14 :: v_dual_add_nc_u32 v18, s4, v56
	v_ashrrev_i32_e32 v17, 31, v16
	s_sub_co_i32 s60, s38, s4
	s_cmp_lt_i32 s60, 1
	s_delay_alu instid0(VALU_DEP_2)
	v_ashrrev_i32_e32 v19, 31, v18
	s_cbranch_scc1 .LBB55_46
; %bb.8:                                ;   in Loop: Header=BB55_7 Depth=2
	v_lshlrev_b64_e32 v[24:25], 3, v[14:15]
	v_lshl_add_u64 v[22:23], v[16:17], 3, 0x80
	v_mad_nc_u64_u32 v[28:29], s16, v14, 0x80
	v_mad_nc_u64_u32 v[32:33], s22, v16, s[36:37]
	v_sub_nc_u64_e32 v[40:41], v[14:15], v[16:17]
	v_add_nc_u64_e32 v[38:39], 16, v[18:19]
	v_mad_nc_u64_u32 v[34:35], s12, v22, s[36:37]
	v_add_nc_u64_e32 v[20:21], 0x80, v[24:25]
	v_mov_b64_e32 v[30:31], 0
	v_mov_b64_e32 v[46:47], v[12:13]
	v_cmp_le_i32_e64 s4, s38, v18
	v_add_nc_u64_e32 v[42:43], 16, v[40:41]
	v_add_nc_u64_e32 v[44:45], -16, v[40:41]
	v_mad_u32 v7, s17, v14, v29
	v_mad_nc_u64_u32 v[36:37], s20, v20, 0x80
	v_mad_u32 v26, s23, v16, v33
	s_mov_b64 s[52:53], 0
	v_mad_u32 v22, s13, v22, v35
	v_cmp_le_i64_e32 vcc_lo, s[44:45], v[38:39]
	v_mad_u32 v29, s16, v15, v7
	v_mad_u32 v20, s21, v20, v37
	;; [unrolled: 1-line block ×3, first 2 shown]
	v_mov_b64_e32 v[26:27], 0
	v_mad_u32 v35, s12, v23, v22
	v_mov_b64_e32 v[22:23], 0
	v_mad_u32 v37, s20, v21, v20
	v_mov_b64_e32 v[20:21], 0
	s_branch .LBB55_10
.LBB55_9:                               ;   in Loop: Header=BB55_10 Depth=3
	s_or_b32 exec_lo, exec_lo, s5
	s_wait_dscnt 0x0
	s_barrier_signal -1
	s_barrier_wait -1
	ds_load_b128 v[48:51], v57
	ds_load_2addr_b64 v[52:55], v58 offset1:16
	ds_load_b128 v[66:69], v57 offset:4096
	ds_load_b128 v[70:73], v57 offset:16
	;; [unrolled: 1-line block ×3, first 2 shown]
	v_add_nc_u64_e32 v[46:47], s[48:49], v[46:47]
	v_add_nc_u64_e32 v[34:35], s[46:47], v[34:35]
	;; [unrolled: 1-line block ×3, first 2 shown]
	s_add_nc_u64 s[52:53], s[52:53], 32
	s_delay_alu instid0(SALU_CYCLE_1)
	s_cmp_ge_i32 s52, s60
	s_wait_dscnt 0x3
	v_fmac_f64_e32 v[30:31], v[52:53], v[48:49]
	v_fmac_f64_e32 v[26:27], v[54:55], v[48:49]
	s_wait_dscnt 0x2
	v_fmac_f64_e32 v[22:23], v[52:53], v[66:67]
	v_fmac_f64_e32 v[20:21], v[54:55], v[66:67]
	ds_load_2addr_b64 v[52:55], v58 offset0:32 offset1:48
	s_wait_dscnt 0x0
	v_fmac_f64_e32 v[30:31], v[52:53], v[50:51]
	v_fmac_f64_e32 v[26:27], v[54:55], v[50:51]
	v_fmac_f64_e32 v[22:23], v[52:53], v[68:69]
	v_fmac_f64_e32 v[20:21], v[54:55], v[68:69]
	ds_load_2addr_b64 v[48:51], v58 offset0:64 offset1:80
	s_wait_dscnt 0x0
	v_fmac_f64_e32 v[30:31], v[48:49], v[70:71]
	v_fmac_f64_e32 v[26:27], v[50:51], v[70:71]
	v_fmac_f64_e32 v[22:23], v[48:49], v[74:75]
	v_fmac_f64_e32 v[20:21], v[50:51], v[74:75]
	ds_load_2addr_b64 v[48:51], v58 offset0:96 offset1:112
	s_wait_dscnt 0x0
	v_fmac_f64_e32 v[30:31], v[48:49], v[72:73]
	v_fmac_f64_e32 v[26:27], v[50:51], v[72:73]
	v_fmac_f64_e32 v[22:23], v[48:49], v[76:77]
	v_fmac_f64_e32 v[20:21], v[50:51], v[76:77]
	ds_load_b128 v[48:51], v57 offset:32
	ds_load_2addr_b64 v[52:55], v58 offset0:128 offset1:144
	ds_load_b128 v[66:69], v57 offset:4128
	ds_load_b128 v[70:73], v57 offset:48
	ds_load_b128 v[74:77], v57 offset:4144
	s_wait_dscnt 0x3
	v_fmac_f64_e32 v[30:31], v[52:53], v[48:49]
	v_fmac_f64_e32 v[26:27], v[54:55], v[48:49]
	s_wait_dscnt 0x2
	v_fmac_f64_e32 v[22:23], v[52:53], v[66:67]
	v_fmac_f64_e32 v[20:21], v[54:55], v[66:67]
	ds_load_2addr_b64 v[52:55], v58 offset0:160 offset1:176
	s_wait_dscnt 0x0
	v_fmac_f64_e32 v[30:31], v[52:53], v[50:51]
	v_fmac_f64_e32 v[26:27], v[54:55], v[50:51]
	v_fmac_f64_e32 v[22:23], v[52:53], v[68:69]
	v_fmac_f64_e32 v[20:21], v[54:55], v[68:69]
	ds_load_2addr_b64 v[48:51], v58 offset0:192 offset1:208
	s_wait_dscnt 0x0
	v_fmac_f64_e32 v[30:31], v[48:49], v[70:71]
	v_fmac_f64_e32 v[26:27], v[50:51], v[70:71]
	v_fmac_f64_e32 v[22:23], v[48:49], v[74:75]
	v_fmac_f64_e32 v[20:21], v[50:51], v[74:75]
	ds_load_2addr_b64 v[48:51], v58 offset0:224 offset1:240
	s_wait_dscnt 0x0
	v_fmac_f64_e32 v[30:31], v[48:49], v[72:73]
	v_fmac_f64_e32 v[26:27], v[50:51], v[72:73]
	v_fmac_f64_e32 v[22:23], v[48:49], v[76:77]
	v_fmac_f64_e32 v[20:21], v[50:51], v[76:77]
	ds_load_b128 v[48:51], v57 offset:64
	ds_load_2addr_b64 v[52:55], v63 offset1:16
	ds_load_b128 v[66:69], v57 offset:4160
	ds_load_b128 v[70:73], v57 offset:80
	ds_load_b128 v[74:77], v57 offset:4176
	s_wait_dscnt 0x3
	v_fmac_f64_e32 v[30:31], v[52:53], v[48:49]
	v_fmac_f64_e32 v[26:27], v[54:55], v[48:49]
	s_wait_dscnt 0x2
	v_fmac_f64_e32 v[22:23], v[52:53], v[66:67]
	v_fmac_f64_e32 v[20:21], v[54:55], v[66:67]
	ds_load_2addr_b64 v[52:55], v63 offset0:32 offset1:48
	s_wait_dscnt 0x0
	v_fmac_f64_e32 v[30:31], v[52:53], v[50:51]
	v_fmac_f64_e32 v[26:27], v[54:55], v[50:51]
	v_fmac_f64_e32 v[22:23], v[52:53], v[68:69]
	v_fmac_f64_e32 v[20:21], v[54:55], v[68:69]
	ds_load_2addr_b64 v[48:51], v63 offset0:64 offset1:80
	s_wait_dscnt 0x0
	v_fmac_f64_e32 v[30:31], v[48:49], v[70:71]
	v_fmac_f64_e32 v[26:27], v[50:51], v[70:71]
	v_fmac_f64_e32 v[22:23], v[48:49], v[74:75]
	v_fmac_f64_e32 v[20:21], v[50:51], v[74:75]
	ds_load_2addr_b64 v[48:51], v63 offset0:96 offset1:112
	s_wait_dscnt 0x0
	v_fmac_f64_e32 v[30:31], v[48:49], v[72:73]
	v_fmac_f64_e32 v[26:27], v[50:51], v[72:73]
	v_fmac_f64_e32 v[22:23], v[48:49], v[76:77]
	v_fmac_f64_e32 v[20:21], v[50:51], v[76:77]
	ds_load_b128 v[48:51], v57 offset:96
	ds_load_2addr_b64 v[52:55], v63 offset0:128 offset1:144
	ds_load_b128 v[66:69], v57 offset:4192
	ds_load_b128 v[70:73], v57 offset:112
	ds_load_b128 v[74:77], v57 offset:4208
	s_wait_dscnt 0x3
	v_fmac_f64_e32 v[30:31], v[52:53], v[48:49]
	v_fmac_f64_e32 v[26:27], v[54:55], v[48:49]
	s_wait_dscnt 0x2
	v_fmac_f64_e32 v[22:23], v[52:53], v[66:67]
	v_fmac_f64_e32 v[20:21], v[54:55], v[66:67]
	ds_load_2addr_b64 v[52:55], v63 offset0:160 offset1:176
	s_wait_dscnt 0x0
	v_fmac_f64_e32 v[30:31], v[52:53], v[50:51]
	v_fmac_f64_e32 v[26:27], v[54:55], v[50:51]
	v_fmac_f64_e32 v[22:23], v[52:53], v[68:69]
	v_fmac_f64_e32 v[20:21], v[54:55], v[68:69]
	ds_load_2addr_b64 v[48:51], v63 offset0:192 offset1:208
	s_wait_dscnt 0x0
	v_fmac_f64_e32 v[30:31], v[48:49], v[70:71]
	v_fmac_f64_e32 v[26:27], v[50:51], v[70:71]
	v_fmac_f64_e32 v[22:23], v[48:49], v[74:75]
	v_fmac_f64_e32 v[20:21], v[50:51], v[74:75]
	ds_load_2addr_b64 v[48:51], v63 offset0:224 offset1:240
	s_wait_dscnt 0x0
	v_fmac_f64_e32 v[30:31], v[48:49], v[72:73]
	v_fmac_f64_e32 v[26:27], v[50:51], v[72:73]
	v_fmac_f64_e32 v[22:23], v[48:49], v[76:77]
	v_fmac_f64_e32 v[20:21], v[50:51], v[76:77]
	ds_load_b128 v[48:51], v57 offset:128
	ds_load_2addr_b64 v[52:55], v64 offset1:16
	ds_load_b128 v[66:69], v57 offset:4224
	ds_load_b128 v[70:73], v57 offset:144
	ds_load_b128 v[74:77], v57 offset:4240
	;; [unrolled: 58-line block ×3, first 2 shown]
	s_wait_dscnt 0x3
	v_fmac_f64_e32 v[30:31], v[52:53], v[48:49]
	v_fmac_f64_e32 v[26:27], v[54:55], v[48:49]
	s_wait_dscnt 0x2
	v_fmac_f64_e32 v[22:23], v[52:53], v[66:67]
	v_fmac_f64_e32 v[20:21], v[54:55], v[66:67]
	ds_load_2addr_b64 v[52:55], v65 offset0:32 offset1:48
	s_wait_dscnt 0x0
	v_fmac_f64_e32 v[30:31], v[52:53], v[50:51]
	v_fmac_f64_e32 v[26:27], v[54:55], v[50:51]
	v_fmac_f64_e32 v[22:23], v[52:53], v[68:69]
	v_fmac_f64_e32 v[20:21], v[54:55], v[68:69]
	ds_load_2addr_b64 v[48:51], v65 offset0:64 offset1:80
	s_wait_dscnt 0x0
	v_fmac_f64_e32 v[30:31], v[48:49], v[70:71]
	v_fmac_f64_e32 v[26:27], v[50:51], v[70:71]
	;; [unrolled: 6-line block ×3, first 2 shown]
	v_fmac_f64_e32 v[22:23], v[48:49], v[76:77]
	v_fmac_f64_e32 v[20:21], v[50:51], v[76:77]
	ds_load_b128 v[48:51], v57 offset:224
	ds_load_2addr_b64 v[52:55], v65 offset0:128 offset1:144
	ds_load_b128 v[66:69], v57 offset:4320
	ds_load_b128 v[70:73], v57 offset:240
	;; [unrolled: 1-line block ×3, first 2 shown]
	s_wait_dscnt 0x3
	v_fmac_f64_e32 v[30:31], v[52:53], v[48:49]
	v_fmac_f64_e32 v[26:27], v[54:55], v[48:49]
	s_wait_dscnt 0x2
	v_fmac_f64_e32 v[22:23], v[52:53], v[66:67]
	v_fmac_f64_e32 v[20:21], v[54:55], v[66:67]
	ds_load_2addr_b64 v[52:55], v65 offset0:160 offset1:176
	s_wait_dscnt 0x0
	v_fmac_f64_e32 v[30:31], v[52:53], v[50:51]
	v_fmac_f64_e32 v[26:27], v[54:55], v[50:51]
	;; [unrolled: 1-line block ×4, first 2 shown]
	ds_load_2addr_b64 v[48:51], v65 offset0:192 offset1:208
	s_wait_dscnt 0x0
	v_fmac_f64_e32 v[30:31], v[48:49], v[70:71]
	v_fmac_f64_e32 v[26:27], v[50:51], v[70:71]
	;; [unrolled: 1-line block ×4, first 2 shown]
	ds_load_2addr_b64 v[48:51], v65 offset0:224 offset1:240
	s_wait_dscnt 0x0
	s_barrier_signal -1
	s_barrier_wait -1
	v_fmac_f64_e32 v[30:31], v[48:49], v[72:73]
	v_fmac_f64_e32 v[26:27], v[50:51], v[72:73]
	;; [unrolled: 1-line block ×4, first 2 shown]
	s_cbranch_scc1 .LBB55_47
.LBB55_10:                              ;   Parent Loop BB55_4 Depth=1
                                        ;     Parent Loop BB55_7 Depth=2
                                        ; =>    This Inner Loop Header: Depth=3
	v_add_nc_u64_e32 v[50:51], s[52:53], v[16:17]
	v_cmp_eq_u64_e64 s7, s[52:53], v[40:41]
	v_add_nc_u64_e32 v[48:49], v[32:33], v[24:25]
                                        ; implicit-def: $vgpr54_vgpr55
	s_delay_alu instid0(VALU_DEP_3) | instskip(SKIP_3) | instid1(SALU_CYCLE_1)
	v_cmp_lt_i64_e64 s5, v[50:51], v[18:19]
	v_cmp_le_i64_e64 s6, s[44:45], v[50:51]
	s_and_b32 s61, s56, s7
	s_or_b32 s8, s4, s5
	s_or_b32 s7, s6, s8
	s_delay_alu instid0(SALU_CYCLE_1) | instskip(NEXT) | instid1(SALU_CYCLE_1)
	s_nor_b32 s7, s7, s61
	s_and_saveexec_b32 s8, s7
	s_delay_alu instid0(SALU_CYCLE_1)
	s_xor_b32 s7, exec_lo, s8
	s_cbranch_execz .LBB55_12
; %bb.11:                               ;   in Loop: Header=BB55_10 Depth=3
	global_load_b64 v[54:55], v[48:49], off
.LBB55_12:                              ;   in Loop: Header=BB55_10 Depth=3
	s_wait_xcnt 0x0
	s_and_not1_saveexec_b32 s7, s7
	s_cbranch_execz .LBB55_14
; %bb.13:                               ;   in Loop: Header=BB55_10 Depth=3
	v_cndmask_b32_e64 v7, 0, 0x3ff00000, s61
	s_wait_loadcnt 0x0
	s_delay_alu instid0(VALU_DEP_1)
	v_mov_b64_e32 v[54:55], v[6:7]
.LBB55_14:                              ;   in Loop: Header=BB55_10 Depth=3
	s_or_b32 exec_lo, exec_lo, s7
	v_add_nc_u64_e32 v[52:53], 16, v[50:51]
	v_cmp_eq_u64_e64 s9, s[52:53], v[44:45]
	s_wait_loadcnt 0x0
	ds_store_b64 v59, v[54:55]
	v_cmp_lt_i64_e64 s8, v[52:53], v[18:19]
	v_cmp_le_i64_e64 s7, s[44:45], v[52:53]
	v_add_nc_u64_e32 v[52:53], v[34:35], v[24:25]
	s_and_b32 s9, s56, s9
	s_or_b32 s8, s4, s8
	s_delay_alu instid0(SALU_CYCLE_1) | instskip(NEXT) | instid1(SALU_CYCLE_1)
	s_or_b32 s8, s7, s8
	s_nor_b32 s8, s8, s9
	s_delay_alu instid0(SALU_CYCLE_1) | instskip(NEXT) | instid1(SALU_CYCLE_1)
	s_and_saveexec_b32 s62, s8
	s_xor_b32 s8, exec_lo, s62
	s_cbranch_execz .LBB55_16
; %bb.15:                               ;   in Loop: Header=BB55_10 Depth=3
	global_load_b64 v[54:55], v[52:53], off
	s_wait_loadcnt 0x0
	ds_store_b64 v59, v[54:55] offset:128
.LBB55_16:                              ;   in Loop: Header=BB55_10 Depth=3
	s_wait_xcnt 0x0
	s_and_not1_saveexec_b32 s8, s8
	s_cbranch_execz .LBB55_22
; %bb.17:                               ;   in Loop: Header=BB55_10 Depth=3
	s_xor_b32 s9, s9, -1
	s_delay_alu instid0(SALU_CYCLE_1) | instskip(NEXT) | instid1(SALU_CYCLE_1)
	s_and_saveexec_b32 s62, s9
	s_xor_b32 s9, exec_lo, s62
; %bb.18:                               ;   in Loop: Header=BB55_10 Depth=3
	ds_store_b64 v59, v[8:9] offset:128
; %bb.19:                               ;   in Loop: Header=BB55_10 Depth=3
	s_and_not1_saveexec_b32 s9, s9
; %bb.20:                               ;   in Loop: Header=BB55_10 Depth=3
	ds_store_b64 v59, v[10:11] offset:128
; %bb.21:                               ;   in Loop: Header=BB55_10 Depth=3
	s_or_b32 exec_lo, exec_lo, s9
.LBB55_22:                              ;   in Loop: Header=BB55_10 Depth=3
	s_delay_alu instid0(SALU_CYCLE_1) | instskip(SKIP_4) | instid1(SALU_CYCLE_1)
	s_or_b32 exec_lo, exec_lo, s8
	v_cmp_eq_u64_e64 s8, s[52:53], v[42:43]
	v_cmp_lt_i64_e64 s9, v[50:51], v[38:39]
                                        ; implicit-def: $vgpr50_vgpr51
	s_and_b32 s8, s56, s8
	s_or_b32 s9, vcc_lo, s9
	s_or_b32 s9, s9, s8
	s_delay_alu instid0(SALU_CYCLE_1) | instskip(NEXT) | instid1(SALU_CYCLE_1)
	s_nor_b32 s6, s6, s9
	s_and_saveexec_b32 s9, s6
	s_delay_alu instid0(SALU_CYCLE_1)
	s_xor_b32 s6, exec_lo, s9
	s_cbranch_execz .LBB55_24
; %bb.23:                               ;   in Loop: Header=BB55_10 Depth=3
	global_load_b64 v[50:51], v[48:49], off offset:128
.LBB55_24:                              ;   in Loop: Header=BB55_10 Depth=3
	s_wait_xcnt 0x0
	s_and_not1_saveexec_b32 s6, s6
	s_cbranch_execz .LBB55_26
; %bb.25:                               ;   in Loop: Header=BB55_10 Depth=3
	v_cndmask_b32_e64 v7, 0, 0x3ff00000, s8
	s_wait_loadcnt 0x0
	s_delay_alu instid0(VALU_DEP_1)
	v_mov_b64_e32 v[50:51], v[6:7]
.LBB55_26:                              ;   in Loop: Header=BB55_10 Depth=3
	s_or_b32 exec_lo, exec_lo, s6
	s_or_b32 s5, vcc_lo, s5
	s_wait_loadcnt 0x0
	ds_store_b64 v59, v[50:51] offset:4096
	s_or_b32 s5, s7, s5
	s_delay_alu instid0(SALU_CYCLE_1) | instskip(NEXT) | instid1(SALU_CYCLE_1)
	s_nor_b32 s5, s5, s61
	s_and_saveexec_b32 s6, s5
	s_delay_alu instid0(SALU_CYCLE_1)
	s_xor_b32 s5, exec_lo, s6
	s_cbranch_execz .LBB55_28
; %bb.27:                               ;   in Loop: Header=BB55_10 Depth=3
	global_load_b64 v[48:49], v[52:53], off offset:128
	s_wait_loadcnt 0x0
	ds_store_b64 v59, v[48:49] offset:4224
.LBB55_28:                              ;   in Loop: Header=BB55_10 Depth=3
	s_wait_xcnt 0x0
	s_and_not1_saveexec_b32 s5, s5
	s_cbranch_execz .LBB55_34
; %bb.29:                               ;   in Loop: Header=BB55_10 Depth=3
	s_xor_b32 s6, s61, -1
	s_delay_alu instid0(SALU_CYCLE_1) | instskip(NEXT) | instid1(SALU_CYCLE_1)
	s_and_saveexec_b32 s7, s6
	s_xor_b32 s6, exec_lo, s7
; %bb.30:                               ;   in Loop: Header=BB55_10 Depth=3
	ds_store_b64 v59, v[8:9] offset:4224
; %bb.31:                               ;   in Loop: Header=BB55_10 Depth=3
	s_and_not1_saveexec_b32 s6, s6
; %bb.32:                               ;   in Loop: Header=BB55_10 Depth=3
	ds_store_b64 v59, v[10:11] offset:4224
; %bb.33:                               ;   in Loop: Header=BB55_10 Depth=3
	s_or_b32 exec_lo, exec_lo, s6
.LBB55_34:                              ;   in Loop: Header=BB55_10 Depth=3
	s_delay_alu instid0(SALU_CYCLE_1) | instskip(SKIP_3) | instid1(VALU_DEP_3)
	s_or_b32 exec_lo, exec_lo, s5
	v_add_nc_u64_e32 v[48:49], s[52:53], v[14:15]
	v_add_nc_u64_e32 v[50:51], v[46:47], v[28:29]
	v_mov_b64_e32 v[52:53], 0
	v_cmp_le_i64_e64 s5, s[44:45], v[48:49]
	s_nor_b32 s7, s5, s1
	s_delay_alu instid0(SALU_CYCLE_1)
	s_and_saveexec_b32 s6, s7
	s_cbranch_execz .LBB55_36
; %bb.35:                               ;   in Loop: Header=BB55_10 Depth=3
	global_load_b64 v[52:53], v[50:51], off offset:-128
.LBB55_36:                              ;   in Loop: Header=BB55_10 Depth=3
	s_wait_xcnt 0x0
	s_or_b32 exec_lo, exec_lo, s6
	s_nor_b32 s5, s5, s2
	s_wait_loadcnt 0x0
	ds_store_b64 v60, v[52:53]
	s_and_saveexec_b32 s6, s5
	s_delay_alu instid0(SALU_CYCLE_1)
	s_xor_b32 s5, exec_lo, s6
	s_cbranch_execz .LBB55_38
; %bb.37:                               ;   in Loop: Header=BB55_10 Depth=3
	global_load_b64 v[50:51], v[50:51], off
	s_wait_loadcnt 0x0
	ds_store_b64 v60, v[50:51] offset:128
.LBB55_38:                              ;   in Loop: Header=BB55_10 Depth=3
	s_wait_xcnt 0x0
	s_and_not1_saveexec_b32 s5, s5
; %bb.39:                               ;   in Loop: Header=BB55_10 Depth=3
	ds_store_b64 v60, v[8:9] offset:128
; %bb.40:                               ;   in Loop: Header=BB55_10 Depth=3
	s_or_b32 exec_lo, exec_lo, s5
	v_cmp_le_i64_e64 s5, s[26:27], v[48:49]
	v_add_nc_u64_e32 v[48:49], v[46:47], v[36:37]
	v_mov_b64_e32 v[50:51], 0
	s_nor_b32 s7, s5, s1
	s_delay_alu instid0(SALU_CYCLE_1)
	s_and_saveexec_b32 s6, s7
	s_cbranch_execz .LBB55_42
; %bb.41:                               ;   in Loop: Header=BB55_10 Depth=3
	global_load_b64 v[50:51], v[48:49], off offset:-128
.LBB55_42:                              ;   in Loop: Header=BB55_10 Depth=3
	s_wait_xcnt 0x0
	s_or_b32 exec_lo, exec_lo, s6
	s_nor_b32 s5, s5, s2
	s_wait_loadcnt 0x0
	ds_store_b64 v60, v[50:51] offset:4096
	s_and_saveexec_b32 s6, s5
	s_delay_alu instid0(SALU_CYCLE_1)
	s_xor_b32 s5, exec_lo, s6
	s_cbranch_execz .LBB55_44
; %bb.43:                               ;   in Loop: Header=BB55_10 Depth=3
	global_load_b64 v[48:49], v[48:49], off
	s_wait_loadcnt 0x0
	ds_store_b64 v60, v[48:49] offset:4224
.LBB55_44:                              ;   in Loop: Header=BB55_10 Depth=3
	s_wait_xcnt 0x0
	s_and_not1_saveexec_b32 s5, s5
	s_cbranch_execz .LBB55_9
; %bb.45:                               ;   in Loop: Header=BB55_10 Depth=3
	ds_store_b64 v60, v[8:9] offset:4224
	s_branch .LBB55_9
.LBB55_46:                              ;   in Loop: Header=BB55_7 Depth=2
	v_mov_b64_e32 v[30:31], 0
	v_mov_b64_e32 v[26:27], 0
	;; [unrolled: 1-line block ×4, first 2 shown]
.LBB55_47:                              ;   in Loop: Header=BB55_7 Depth=2
	v_mul_u64_e32 v[24:25], s[28:29], v[18:19]
	v_cmp_gt_i32_e32 vcc_lo, s38, v18
	s_and_b32 s5, s0, vcc_lo
	s_delay_alu instid0(VALU_DEP_2)
	v_lshl_add_u64 v[24:25], v[24:25], 3, s[50:51]
	s_and_saveexec_b32 s4, s5
	s_cbranch_execz .LBB55_49
; %bb.48:                               ;   in Loop: Header=BB55_7 Depth=2
	s_delay_alu instid0(VALU_DEP_1)
	v_lshl_add_u64 v[28:29], v[0:1], 3, v[24:25]
	global_load_b64 v[32:33], v[28:29], off
	s_wait_loadcnt 0x0
	v_fmac_f64_e32 v[32:33], s[40:41], v[30:31]
	global_store_b64 v[28:29], v[32:33], off
.LBB55_49:                              ;   in Loop: Header=BB55_7 Depth=2
	s_wait_xcnt 0x0
	s_or_b32 exec_lo, exec_lo, s4
	s_and_b32 s5, s3, vcc_lo
	s_delay_alu instid0(SALU_CYCLE_1)
	s_and_saveexec_b32 s4, s5
	s_cbranch_execz .LBB55_51
; %bb.50:                               ;   in Loop: Header=BB55_7 Depth=2
	v_lshl_add_u64 v[24:25], v[2:3], 3, v[24:25]
	global_load_b64 v[28:29], v[24:25], off
	s_wait_loadcnt 0x0
	v_fmac_f64_e32 v[28:29], s[40:41], v[26:27]
	global_store_b64 v[24:25], v[28:29], off
.LBB55_51:                              ;   in Loop: Header=BB55_7 Depth=2
	s_wait_xcnt 0x0
	s_or_b32 exec_lo, exec_lo, s4
	v_add_nc_u32_e32 v18, 16, v18
	s_delay_alu instid0(VALU_DEP_1) | instskip(SKIP_1) | instid1(VALU_DEP_2)
	v_ashrrev_i32_e32 v19, 31, v18
	v_cmp_gt_i32_e32 vcc_lo, s38, v18
	v_mul_u64_e32 v[24:25], s[28:29], v[18:19]
	s_and_b32 s5, s0, vcc_lo
	s_delay_alu instid0(VALU_DEP_1)
	v_lshl_add_u64 v[18:19], v[24:25], 3, s[50:51]
	s_and_saveexec_b32 s4, s5
	s_cbranch_execz .LBB55_53
; %bb.52:                               ;   in Loop: Header=BB55_7 Depth=2
	s_delay_alu instid0(VALU_DEP_1)
	v_lshl_add_u64 v[24:25], v[0:1], 3, v[18:19]
	global_load_b64 v[26:27], v[24:25], off
	s_wait_loadcnt 0x0
	v_fmac_f64_e32 v[26:27], s[40:41], v[22:23]
	global_store_b64 v[24:25], v[26:27], off
.LBB55_53:                              ;   in Loop: Header=BB55_7 Depth=2
	s_wait_xcnt 0x0
	s_or_b32 exec_lo, exec_lo, s4
	s_and_b32 s5, s3, vcc_lo
	s_delay_alu instid0(SALU_CYCLE_1)
	s_and_saveexec_b32 s4, s5
	s_cbranch_execz .LBB55_6
; %bb.54:                               ;   in Loop: Header=BB55_7 Depth=2
	v_lshl_add_u64 v[18:19], v[2:3], 3, v[18:19]
	global_load_b64 v[22:23], v[18:19], off
	s_wait_loadcnt 0x0
	v_fmac_f64_e32 v[22:23], s[40:41], v[20:21]
	global_store_b64 v[18:19], v[22:23], off
	s_branch .LBB55_6
.LBB55_55:
	s_sendmsg sendmsg(MSG_DEALLOC_VGPRS)
	s_endpgm
	.section	.rodata,"a",@progbits
	.p2align	6, 0x0
	.amdhsa_kernel _ZL30rocblas_trmm_outofplace_kernelIdLi32ELi2ELb0ELb1ELb1ELb0EdKddEv17rocblas_diagonal_iiT6_lPT7_lllS4_lllPT8_llli
		.amdhsa_group_segment_fixed_size 16384
		.amdhsa_private_segment_fixed_size 0
		.amdhsa_kernarg_size 392
		.amdhsa_user_sgpr_count 2
		.amdhsa_user_sgpr_dispatch_ptr 0
		.amdhsa_user_sgpr_queue_ptr 0
		.amdhsa_user_sgpr_kernarg_segment_ptr 1
		.amdhsa_user_sgpr_dispatch_id 0
		.amdhsa_user_sgpr_kernarg_preload_length 0
		.amdhsa_user_sgpr_kernarg_preload_offset 0
		.amdhsa_user_sgpr_private_segment_size 0
		.amdhsa_wavefront_size32 1
		.amdhsa_uses_dynamic_stack 0
		.amdhsa_enable_private_segment 0
		.amdhsa_system_sgpr_workgroup_id_x 1
		.amdhsa_system_sgpr_workgroup_id_y 1
		.amdhsa_system_sgpr_workgroup_id_z 1
		.amdhsa_system_sgpr_workgroup_info 0
		.amdhsa_system_vgpr_workitem_id 1
		.amdhsa_next_free_vgpr 78
		.amdhsa_next_free_sgpr 63
		.amdhsa_named_barrier_count 0
		.amdhsa_reserve_vcc 1
		.amdhsa_float_round_mode_32 0
		.amdhsa_float_round_mode_16_64 0
		.amdhsa_float_denorm_mode_32 3
		.amdhsa_float_denorm_mode_16_64 3
		.amdhsa_fp16_overflow 0
		.amdhsa_memory_ordered 1
		.amdhsa_forward_progress 1
		.amdhsa_inst_pref_size 26
		.amdhsa_round_robin_scheduling 0
		.amdhsa_exception_fp_ieee_invalid_op 0
		.amdhsa_exception_fp_denorm_src 0
		.amdhsa_exception_fp_ieee_div_zero 0
		.amdhsa_exception_fp_ieee_overflow 0
		.amdhsa_exception_fp_ieee_underflow 0
		.amdhsa_exception_fp_ieee_inexact 0
		.amdhsa_exception_int_div_zero 0
	.end_amdhsa_kernel
	.section	.text._ZL30rocblas_trmm_outofplace_kernelIdLi32ELi2ELb0ELb1ELb1ELb0EdKddEv17rocblas_diagonal_iiT6_lPT7_lllS4_lllPT8_llli,"axG",@progbits,_ZL30rocblas_trmm_outofplace_kernelIdLi32ELi2ELb0ELb1ELb1ELb0EdKddEv17rocblas_diagonal_iiT6_lPT7_lllS4_lllPT8_llli,comdat
.Lfunc_end55:
	.size	_ZL30rocblas_trmm_outofplace_kernelIdLi32ELi2ELb0ELb1ELb1ELb0EdKddEv17rocblas_diagonal_iiT6_lPT7_lllS4_lllPT8_llli, .Lfunc_end55-_ZL30rocblas_trmm_outofplace_kernelIdLi32ELi2ELb0ELb1ELb1ELb0EdKddEv17rocblas_diagonal_iiT6_lPT7_lllS4_lllPT8_llli
                                        ; -- End function
	.set _ZL30rocblas_trmm_outofplace_kernelIdLi32ELi2ELb0ELb1ELb1ELb0EdKddEv17rocblas_diagonal_iiT6_lPT7_lllS4_lllPT8_llli.num_vgpr, 78
	.set _ZL30rocblas_trmm_outofplace_kernelIdLi32ELi2ELb0ELb1ELb1ELb0EdKddEv17rocblas_diagonal_iiT6_lPT7_lllS4_lllPT8_llli.num_agpr, 0
	.set _ZL30rocblas_trmm_outofplace_kernelIdLi32ELi2ELb0ELb1ELb1ELb0EdKddEv17rocblas_diagonal_iiT6_lPT7_lllS4_lllPT8_llli.numbered_sgpr, 63
	.set _ZL30rocblas_trmm_outofplace_kernelIdLi32ELi2ELb0ELb1ELb1ELb0EdKddEv17rocblas_diagonal_iiT6_lPT7_lllS4_lllPT8_llli.num_named_barrier, 0
	.set _ZL30rocblas_trmm_outofplace_kernelIdLi32ELi2ELb0ELb1ELb1ELb0EdKddEv17rocblas_diagonal_iiT6_lPT7_lllS4_lllPT8_llli.private_seg_size, 0
	.set _ZL30rocblas_trmm_outofplace_kernelIdLi32ELi2ELb0ELb1ELb1ELb0EdKddEv17rocblas_diagonal_iiT6_lPT7_lllS4_lllPT8_llli.uses_vcc, 1
	.set _ZL30rocblas_trmm_outofplace_kernelIdLi32ELi2ELb0ELb1ELb1ELb0EdKddEv17rocblas_diagonal_iiT6_lPT7_lllS4_lllPT8_llli.uses_flat_scratch, 0
	.set _ZL30rocblas_trmm_outofplace_kernelIdLi32ELi2ELb0ELb1ELb1ELb0EdKddEv17rocblas_diagonal_iiT6_lPT7_lllS4_lllPT8_llli.has_dyn_sized_stack, 0
	.set _ZL30rocblas_trmm_outofplace_kernelIdLi32ELi2ELb0ELb1ELb1ELb0EdKddEv17rocblas_diagonal_iiT6_lPT7_lllS4_lllPT8_llli.has_recursion, 0
	.set _ZL30rocblas_trmm_outofplace_kernelIdLi32ELi2ELb0ELb1ELb1ELb0EdKddEv17rocblas_diagonal_iiT6_lPT7_lllS4_lllPT8_llli.has_indirect_call, 0
	.section	.AMDGPU.csdata,"",@progbits
; Kernel info:
; codeLenInByte = 3212
; TotalNumSgprs: 65
; NumVgprs: 78
; ScratchSize: 0
; MemoryBound: 0
; FloatMode: 240
; IeeeMode: 1
; LDSByteSize: 16384 bytes/workgroup (compile time only)
; SGPRBlocks: 0
; VGPRBlocks: 4
; NumSGPRsForWavesPerEU: 65
; NumVGPRsForWavesPerEU: 78
; NamedBarCnt: 0
; Occupancy: 12
; WaveLimiterHint : 0
; COMPUTE_PGM_RSRC2:SCRATCH_EN: 0
; COMPUTE_PGM_RSRC2:USER_SGPR: 2
; COMPUTE_PGM_RSRC2:TRAP_HANDLER: 0
; COMPUTE_PGM_RSRC2:TGID_X_EN: 1
; COMPUTE_PGM_RSRC2:TGID_Y_EN: 1
; COMPUTE_PGM_RSRC2:TGID_Z_EN: 1
; COMPUTE_PGM_RSRC2:TIDIG_COMP_CNT: 1
	.section	.text._ZL30rocblas_trmm_outofplace_kernelIdLi32ELi2ELb0ELb0ELb1ELb1EPKdS0_dEv17rocblas_diagonal_iiT6_lPT7_lllS5_lllPT8_llli,"axG",@progbits,_ZL30rocblas_trmm_outofplace_kernelIdLi32ELi2ELb0ELb0ELb1ELb1EPKdS0_dEv17rocblas_diagonal_iiT6_lPT7_lllS5_lllPT8_llli,comdat
	.globl	_ZL30rocblas_trmm_outofplace_kernelIdLi32ELi2ELb0ELb0ELb1ELb1EPKdS0_dEv17rocblas_diagonal_iiT6_lPT7_lllS5_lllPT8_llli ; -- Begin function _ZL30rocblas_trmm_outofplace_kernelIdLi32ELi2ELb0ELb0ELb1ELb1EPKdS0_dEv17rocblas_diagonal_iiT6_lPT7_lllS5_lllPT8_llli
	.p2align	8
	.type	_ZL30rocblas_trmm_outofplace_kernelIdLi32ELi2ELb0ELb0ELb1ELb1EPKdS0_dEv17rocblas_diagonal_iiT6_lPT7_lllS5_lllPT8_llli,@function
_ZL30rocblas_trmm_outofplace_kernelIdLi32ELi2ELb0ELb0ELb1ELb1EPKdS0_dEv17rocblas_diagonal_iiT6_lPT7_lllS5_lllPT8_llli: ; @_ZL30rocblas_trmm_outofplace_kernelIdLi32ELi2ELb0ELb0ELb1ELb1EPKdS0_dEv17rocblas_diagonal_iiT6_lPT7_lllS5_lllPT8_llli
; %bb.0:
	s_load_b32 s33, s[0:1], 0x80
	s_bfe_u32 s2, ttmp6, 0x40014
	s_lshr_b32 s3, ttmp7, 16
	s_add_co_i32 s2, s2, 1
	s_bfe_u32 s5, ttmp6, 0x40008
	s_mul_i32 s4, s3, s2
	s_getreg_b32 s2, hwreg(HW_REG_IB_STS2, 6, 4)
	s_add_co_i32 s5, s5, s4
	s_cmp_eq_u32 s2, 0
	s_mov_b32 s35, 0
	s_cselect_b32 s34, s3, s5
	s_wait_kmcnt 0x0
	s_cmp_ge_u32 s34, s33
	s_cbranch_scc1 .LBB56_55
; %bb.1:
	s_clause 0x3
	s_load_b96 s[36:38], s[0:1], 0x0
	s_load_b512 s[12:27], s[0:1], 0x10
	s_load_b128 s[28:31], s[0:1], 0x70
	s_load_b256 s[4:11], s[0:1], 0x50
	s_bfe_u32 s39, ttmp6, 0x4000c
	s_and_b32 s3, ttmp6, 15
	s_add_co_i32 s39, s39, 1
	s_bfe_u32 s41, ttmp6, 0x40010
	s_mul_i32 s39, ttmp9, s39
	s_and_b32 s40, ttmp7, 0xffff
	s_add_co_i32 s41, s41, 1
	s_add_co_i32 s3, s3, s39
	s_bfe_u32 s42, ttmp6, 0x40004
	s_mul_i32 s41, s40, s41
	v_and_b32_e32 v2, 0x3ff, v0
	s_add_co_i32 s42, s42, s41
	v_mov_b32_e32 v4, 0
	v_bfe_u32 v0, v0, 10, 10
	s_add_nc_u64 s[46:47], s[0:1], 0x88
	v_lshlrev_b32_e32 v5, 3, v2
	s_wait_kmcnt 0x0
	s_add_co_i32 s43, s38, -1
	v_dual_mov_b32 v3, v4 :: v_dual_mov_b32 v1, v4
	s_ashr_i32 s44, s43, 31
	s_lshl_b64 s[10:11], s[10:11], 3
	s_lshr_b32 s39, s44, 27
	v_dual_mov_b32 v9, v4 :: v_dual_lshlrev_b32 v70, 8, v0
	s_add_co_i32 s43, s43, s39
	v_mul_u64_e32 v[16:17], s[4:5], v[0:1]
	s_ashr_i32 s39, s43, 5
	s_cmp_eq_u32 s2, 0
	v_mul_u64_e32 v[20:21], s[20:21], v[2:3]
	s_cselect_b32 s2, ttmp9, s3
	s_cselect_b32 s48, s40, s42
	v_lshl_add_u32 v6, s2, 5, v2
	s_cmp_le_i32 s48, s39
	s_mov_b32 s2, s37
	v_lshlrev_b32_e32 v8, 3, v0
	s_cselect_b32 s49, -1, 0
	v_ashrrev_i32_e32 v7, 31, v6
	s_cmp_eq_u32 s36, 0x84
	v_or_b32_e32 v71, 0x2000, v5
	v_add_nc_u64_e32 v[8:9], 0x80, v[8:9]
	s_cselect_b32 s36, -1, 0
	s_ashr_i32 s3, s37, 31
	s_delay_alu instid0(VALU_DEP_2) | instskip(SKIP_2) | instid1(VALU_DEP_4)
	v_dual_add_nc_u32 v72, v70, v5 :: v_dual_add_nc_u32 v73, v71, v70
	v_add_nc_u32_e32 v5, 0x80, v5
	v_sub_nc_u64_e32 v[10:11], s[2:3], v[6:7]
	v_mul_u64_e32 v[8:9], s[4:5], v[8:9]
	s_lshl_b64 s[2:3], s[18:19], 3
	s_lshl_b64 s[44:45], s[4:5], 8
	s_add_nc_u64 s[4:5], s[16:17], s[2:3]
	s_add_nc_u64 s[10:11], s[8:9], s[10:11]
	v_mad_nc_u64_u32 v[12:13], s20, v5, s[4:5]
	s_lshl_b64 s[8:9], s[26:27], 3
	v_cmp_gt_i64_e64 s0, 1, v[10:11]
	s_add_nc_u64 s[8:9], s[24:25], s[8:9]
	v_cmp_gt_i64_e64 s1, 17, v[10:11]
	v_lshl_add_u64 v[18:19], v[6:7], 3, s[8:9]
	v_add_nc_u32_e32 v10, 16, v6
	v_sub_nc_u64_e32 v[14:15], 0, v[2:3]
	v_lshlrev_b64_e32 v[16:17], 3, v[16:17]
	v_mov_b64_e32 v[22:23], 0
	v_add_nc_u64_e32 v[18:19], 0x80, v[18:19]
	v_mad_u32 v13, s21, v5, v13
	v_mov_b64_e32 v[24:25], 1.0
	v_cmp_gt_i32_e64 s2, s37, v6
	v_cmp_gt_i32_e64 s3, s37, v10
	v_ashrrev_i32_e32 v11, 31, v10
	v_lshl_add_u32 v74, s48, 5, v0
	v_lshl_add_u64 v[20:21], v[20:21], 3, s[4:5]
	v_add_nc_u32_e32 v75, 0x800, v71
	v_add_nc_u32_e32 v76, 0x1000, v71
	;; [unrolled: 1-line block ×3, first 2 shown]
	s_ashr_i32 s41, s38, 31
	s_mov_b32 s40, s38
	s_lshl_b64 s[42:43], s[20:21], 8
	s_add_nc_u64 s[16:17], s[40:41], -16
	s_lshl_b64 s[18:19], s[6:7], 3
	s_lshl_b64 s[20:21], s[22:23], 3
	s_branch .LBB56_4
.LBB56_2:                               ;   in Loop: Header=BB56_4 Depth=1
	s_add_co_i32 s34, s34, 0x10000
	s_delay_alu instid0(SALU_CYCLE_1)
	s_cmp_ge_u32 s34, s33
	s_cselect_b32 s4, -1, 0
.LBB56_3:                               ;   in Loop: Header=BB56_4 Depth=1
	s_delay_alu instid0(SALU_CYCLE_1)
	s_and_b32 vcc_lo, exec_lo, s4
	s_cbranch_vccnz .LBB56_55
.LBB56_4:                               ; =>This Loop Header: Depth=1
                                        ;     Child Loop BB56_8 Depth 2
                                        ;       Child Loop BB56_11 Depth 3
	s_mul_u64 s[4:5], s[14:15], s[34:35]
	s_delay_alu instid0(SALU_CYCLE_1) | instskip(NEXT) | instid1(SALU_CYCLE_1)
	s_lshl_b64 s[4:5], s[4:5], 3
	s_add_nc_u64 s[4:5], s[12:13], s[4:5]
	global_load_b64 v[26:27], v4, s[4:5]
	s_wait_xcnt 0x0
	s_mov_b32 s4, -1
	s_wait_loadcnt 0x0
	v_cmp_eq_f64_e32 vcc_lo, 0, v[26:27]
	s_cbranch_vccnz .LBB56_3
; %bb.5:                                ;   in Loop: Header=BB56_4 Depth=1
	s_and_not1_b32 vcc_lo, exec_lo, s49
	s_cbranch_vccnz .LBB56_2
; %bb.6:                                ;   in Loop: Header=BB56_4 Depth=1
	s_load_b32 s26, s[46:47], 0x4
	v_mad_nc_u64_u32 v[28:29], s18, s34, v[18:19]
	v_mad_nc_u64_u32 v[30:31], s20, s34, v[12:13]
	;; [unrolled: 1-line block ×3, first 2 shown]
	s_mul_i32 s6, s21, s34
	s_mul_u64 s[4:5], s[30:31], s[34:35]
	v_mov_b32_e32 v34, v74
	s_lshl_b64 s[4:5], s[4:5], 3
	s_mov_b32 s37, s48
	s_add_nc_u64 s[22:23], s[10:11], s[4:5]
	s_delay_alu instid0(VALU_DEP_4) | instskip(NEXT) | instid1(VALU_DEP_3)
	v_mad_u32 v29, s19, s34, v29
	v_dual_add_nc_u32 v31, s6, v31 :: v_dual_add_nc_u32 v33, s6, v33
	s_wait_kmcnt 0x0
	s_lshl_b32 s27, s26, 5
	s_branch .LBB56_8
.LBB56_7:                               ;   in Loop: Header=BB56_8 Depth=2
	s_wait_xcnt 0x0
	s_or_b32 exec_lo, exec_lo, s4
	v_add_nc_u32_e32 v34, s27, v34
	s_add_co_i32 s37, s26, s37
	s_delay_alu instid0(SALU_CYCLE_1)
	s_cmp_gt_i32 s37, s39
	s_cbranch_scc1 .LBB56_2
.LBB56_8:                               ;   Parent Loop BB56_4 Depth=1
                                        ; =>  This Loop Header: Depth=2
                                        ;       Child Loop BB56_11 Depth 3
	s_lshl_b32 s50, s37, 5
	v_mov_b64_e32 v[44:45], 0
	v_add_nc_u32_e32 v38, s50, v0
	v_mov_b64_e32 v[42:43], 0
	v_mov_b64_e32 v[40:41], 0
	v_mov_b64_e32 v[36:37], 0
	s_cmp_lt_i32 s37, 0
	v_ashrrev_i32_e32 v39, 31, v38
	s_cbranch_scc1 .LBB56_47
; %bb.9:                                ;   in Loop: Header=BB56_8 Depth=2
	v_ashrrev_i32_e32 v35, 31, v34
	s_delay_alu instid0(VALU_DEP_2)
	v_add_nc_u64_e32 v[46:47], 16, v[38:39]
	v_mov_b64_e32 v[36:37], 0
	v_mov_b64_e32 v[50:51], v[32:33]
	;; [unrolled: 1-line block ×3, first 2 shown]
	v_add_nc_u64_e32 v[48:49], v[14:15], v[34:35]
	v_mov_b64_e32 v[42:43], 0
	v_lshlrev_b64_e32 v[52:53], 3, v[34:35]
	v_cmp_le_i64_e64 s4, s[40:41], v[46:47]
	v_mov_b64_e32 v[44:45], 0
	v_mov_b64_e32 v[58:59], v[30:31]
	;; [unrolled: 1-line block ×3, first 2 shown]
	v_add_nc_u64_e32 v[54:55], 16, v[48:49]
	v_add_nc_u64_e32 v[56:57], -16, v[48:49]
	s_mov_b64 s[24:25], 0
	v_cmp_le_i32_e32 vcc_lo, s38, v38
	s_branch .LBB56_11
.LBB56_10:                              ;   in Loop: Header=BB56_11 Depth=3
	s_or_b32 exec_lo, exec_lo, s5
	s_wait_dscnt 0x0
	s_barrier_signal -1
	s_barrier_wait -1
	ds_load_b128 v[62:65], v70
	ds_load_2addr_b64 v[66:69], v71 offset1:16
	ds_load_b128 v[78:81], v70 offset:4096
	ds_load_b128 v[82:85], v70 offset:16
	;; [unrolled: 1-line block ×3, first 2 shown]
	v_add_nc_u64_e32 v[60:61], s[44:45], v[60:61]
	v_add_nc_u64_e32 v[58:59], s[42:43], v[58:59]
	;; [unrolled: 1-line block ×3, first 2 shown]
	s_add_nc_u64 s[24:25], s[24:25], 32
	s_delay_alu instid0(SALU_CYCLE_1) | instskip(NEXT) | instid1(SALU_CYCLE_1)
	s_sub_co_i32 s5, s24, 32
	s_cmp_ge_i32 s5, s50
	s_wait_dscnt 0x3
	v_fmac_f64_e32 v[44:45], v[66:67], v[62:63]
	v_fmac_f64_e32 v[42:43], v[68:69], v[62:63]
	s_wait_dscnt 0x2
	v_fmac_f64_e32 v[40:41], v[66:67], v[78:79]
	v_fmac_f64_e32 v[36:37], v[68:69], v[78:79]
	ds_load_2addr_b64 v[66:69], v71 offset0:32 offset1:48
	s_wait_dscnt 0x0
	v_fmac_f64_e32 v[44:45], v[66:67], v[64:65]
	v_fmac_f64_e32 v[42:43], v[68:69], v[64:65]
	v_fmac_f64_e32 v[40:41], v[66:67], v[80:81]
	v_fmac_f64_e32 v[36:37], v[68:69], v[80:81]
	ds_load_2addr_b64 v[62:65], v71 offset0:64 offset1:80
	s_wait_dscnt 0x0
	v_fmac_f64_e32 v[44:45], v[62:63], v[82:83]
	v_fmac_f64_e32 v[42:43], v[64:65], v[82:83]
	v_fmac_f64_e32 v[40:41], v[62:63], v[86:87]
	v_fmac_f64_e32 v[36:37], v[64:65], v[86:87]
	ds_load_2addr_b64 v[62:65], v71 offset0:96 offset1:112
	s_wait_dscnt 0x0
	v_fmac_f64_e32 v[44:45], v[62:63], v[84:85]
	v_fmac_f64_e32 v[42:43], v[64:65], v[84:85]
	v_fmac_f64_e32 v[40:41], v[62:63], v[88:89]
	v_fmac_f64_e32 v[36:37], v[64:65], v[88:89]
	ds_load_b128 v[62:65], v70 offset:32
	ds_load_2addr_b64 v[66:69], v71 offset0:128 offset1:144
	ds_load_b128 v[78:81], v70 offset:4128
	ds_load_b128 v[82:85], v70 offset:48
	ds_load_b128 v[86:89], v70 offset:4144
	s_wait_dscnt 0x3
	v_fmac_f64_e32 v[44:45], v[66:67], v[62:63]
	v_fmac_f64_e32 v[42:43], v[68:69], v[62:63]
	s_wait_dscnt 0x2
	v_fmac_f64_e32 v[40:41], v[66:67], v[78:79]
	v_fmac_f64_e32 v[36:37], v[68:69], v[78:79]
	ds_load_2addr_b64 v[66:69], v71 offset0:160 offset1:176
	s_wait_dscnt 0x0
	v_fmac_f64_e32 v[44:45], v[66:67], v[64:65]
	v_fmac_f64_e32 v[42:43], v[68:69], v[64:65]
	v_fmac_f64_e32 v[40:41], v[66:67], v[80:81]
	v_fmac_f64_e32 v[36:37], v[68:69], v[80:81]
	ds_load_2addr_b64 v[62:65], v71 offset0:192 offset1:208
	s_wait_dscnt 0x0
	v_fmac_f64_e32 v[44:45], v[62:63], v[82:83]
	v_fmac_f64_e32 v[42:43], v[64:65], v[82:83]
	v_fmac_f64_e32 v[40:41], v[62:63], v[86:87]
	v_fmac_f64_e32 v[36:37], v[64:65], v[86:87]
	ds_load_2addr_b64 v[62:65], v71 offset0:224 offset1:240
	s_wait_dscnt 0x0
	v_fmac_f64_e32 v[44:45], v[62:63], v[84:85]
	v_fmac_f64_e32 v[42:43], v[64:65], v[84:85]
	v_fmac_f64_e32 v[40:41], v[62:63], v[88:89]
	v_fmac_f64_e32 v[36:37], v[64:65], v[88:89]
	ds_load_b128 v[62:65], v70 offset:64
	ds_load_2addr_b64 v[66:69], v75 offset1:16
	ds_load_b128 v[78:81], v70 offset:4160
	ds_load_b128 v[82:85], v70 offset:80
	ds_load_b128 v[86:89], v70 offset:4176
	s_wait_dscnt 0x3
	v_fmac_f64_e32 v[44:45], v[66:67], v[62:63]
	v_fmac_f64_e32 v[42:43], v[68:69], v[62:63]
	s_wait_dscnt 0x2
	v_fmac_f64_e32 v[40:41], v[66:67], v[78:79]
	v_fmac_f64_e32 v[36:37], v[68:69], v[78:79]
	ds_load_2addr_b64 v[66:69], v75 offset0:32 offset1:48
	s_wait_dscnt 0x0
	v_fmac_f64_e32 v[44:45], v[66:67], v[64:65]
	v_fmac_f64_e32 v[42:43], v[68:69], v[64:65]
	v_fmac_f64_e32 v[40:41], v[66:67], v[80:81]
	v_fmac_f64_e32 v[36:37], v[68:69], v[80:81]
	ds_load_2addr_b64 v[62:65], v75 offset0:64 offset1:80
	s_wait_dscnt 0x0
	v_fmac_f64_e32 v[44:45], v[62:63], v[82:83]
	v_fmac_f64_e32 v[42:43], v[64:65], v[82:83]
	v_fmac_f64_e32 v[40:41], v[62:63], v[86:87]
	v_fmac_f64_e32 v[36:37], v[64:65], v[86:87]
	ds_load_2addr_b64 v[62:65], v75 offset0:96 offset1:112
	s_wait_dscnt 0x0
	v_fmac_f64_e32 v[44:45], v[62:63], v[84:85]
	v_fmac_f64_e32 v[42:43], v[64:65], v[84:85]
	v_fmac_f64_e32 v[40:41], v[62:63], v[88:89]
	v_fmac_f64_e32 v[36:37], v[64:65], v[88:89]
	ds_load_b128 v[62:65], v70 offset:96
	ds_load_2addr_b64 v[66:69], v75 offset0:128 offset1:144
	ds_load_b128 v[78:81], v70 offset:4192
	ds_load_b128 v[82:85], v70 offset:112
	ds_load_b128 v[86:89], v70 offset:4208
	s_wait_dscnt 0x3
	v_fmac_f64_e32 v[44:45], v[66:67], v[62:63]
	v_fmac_f64_e32 v[42:43], v[68:69], v[62:63]
	s_wait_dscnt 0x2
	v_fmac_f64_e32 v[40:41], v[66:67], v[78:79]
	v_fmac_f64_e32 v[36:37], v[68:69], v[78:79]
	ds_load_2addr_b64 v[66:69], v75 offset0:160 offset1:176
	s_wait_dscnt 0x0
	v_fmac_f64_e32 v[44:45], v[66:67], v[64:65]
	v_fmac_f64_e32 v[42:43], v[68:69], v[64:65]
	v_fmac_f64_e32 v[40:41], v[66:67], v[80:81]
	v_fmac_f64_e32 v[36:37], v[68:69], v[80:81]
	ds_load_2addr_b64 v[62:65], v75 offset0:192 offset1:208
	s_wait_dscnt 0x0
	v_fmac_f64_e32 v[44:45], v[62:63], v[82:83]
	v_fmac_f64_e32 v[42:43], v[64:65], v[82:83]
	v_fmac_f64_e32 v[40:41], v[62:63], v[86:87]
	v_fmac_f64_e32 v[36:37], v[64:65], v[86:87]
	ds_load_2addr_b64 v[62:65], v75 offset0:224 offset1:240
	s_wait_dscnt 0x0
	v_fmac_f64_e32 v[44:45], v[62:63], v[84:85]
	v_fmac_f64_e32 v[42:43], v[64:65], v[84:85]
	v_fmac_f64_e32 v[40:41], v[62:63], v[88:89]
	v_fmac_f64_e32 v[36:37], v[64:65], v[88:89]
	ds_load_b128 v[62:65], v70 offset:128
	ds_load_2addr_b64 v[66:69], v76 offset1:16
	ds_load_b128 v[78:81], v70 offset:4224
	ds_load_b128 v[82:85], v70 offset:144
	ds_load_b128 v[86:89], v70 offset:4240
	;; [unrolled: 58-line block ×3, first 2 shown]
	s_wait_dscnt 0x3
	v_fmac_f64_e32 v[44:45], v[66:67], v[62:63]
	v_fmac_f64_e32 v[42:43], v[68:69], v[62:63]
	s_wait_dscnt 0x2
	v_fmac_f64_e32 v[40:41], v[66:67], v[78:79]
	v_fmac_f64_e32 v[36:37], v[68:69], v[78:79]
	ds_load_2addr_b64 v[66:69], v77 offset0:32 offset1:48
	s_wait_dscnt 0x0
	v_fmac_f64_e32 v[44:45], v[66:67], v[64:65]
	v_fmac_f64_e32 v[42:43], v[68:69], v[64:65]
	v_fmac_f64_e32 v[40:41], v[66:67], v[80:81]
	v_fmac_f64_e32 v[36:37], v[68:69], v[80:81]
	ds_load_2addr_b64 v[62:65], v77 offset0:64 offset1:80
	s_wait_dscnt 0x0
	v_fmac_f64_e32 v[44:45], v[62:63], v[82:83]
	v_fmac_f64_e32 v[42:43], v[64:65], v[82:83]
	;; [unrolled: 6-line block ×3, first 2 shown]
	v_fmac_f64_e32 v[40:41], v[62:63], v[88:89]
	v_fmac_f64_e32 v[36:37], v[64:65], v[88:89]
	ds_load_b128 v[62:65], v70 offset:224
	ds_load_2addr_b64 v[66:69], v77 offset0:128 offset1:144
	ds_load_b128 v[78:81], v70 offset:4320
	ds_load_b128 v[82:85], v70 offset:240
	;; [unrolled: 1-line block ×3, first 2 shown]
	s_wait_dscnt 0x3
	v_fmac_f64_e32 v[44:45], v[66:67], v[62:63]
	v_fmac_f64_e32 v[42:43], v[68:69], v[62:63]
	s_wait_dscnt 0x2
	v_fmac_f64_e32 v[40:41], v[66:67], v[78:79]
	v_fmac_f64_e32 v[36:37], v[68:69], v[78:79]
	ds_load_2addr_b64 v[66:69], v77 offset0:160 offset1:176
	s_wait_dscnt 0x0
	v_fmac_f64_e32 v[44:45], v[66:67], v[64:65]
	v_fmac_f64_e32 v[42:43], v[68:69], v[64:65]
	;; [unrolled: 1-line block ×4, first 2 shown]
	ds_load_2addr_b64 v[62:65], v77 offset0:192 offset1:208
	s_wait_dscnt 0x0
	v_fmac_f64_e32 v[44:45], v[62:63], v[82:83]
	v_fmac_f64_e32 v[42:43], v[64:65], v[82:83]
	;; [unrolled: 1-line block ×4, first 2 shown]
	ds_load_2addr_b64 v[62:65], v77 offset0:224 offset1:240
	s_wait_dscnt 0x0
	s_barrier_signal -1
	s_barrier_wait -1
	v_fmac_f64_e32 v[44:45], v[62:63], v[84:85]
	v_fmac_f64_e32 v[42:43], v[64:65], v[84:85]
	;; [unrolled: 1-line block ×4, first 2 shown]
	s_cbranch_scc1 .LBB56_47
.LBB56_11:                              ;   Parent Loop BB56_4 Depth=1
                                        ;     Parent Loop BB56_8 Depth=2
                                        ; =>    This Inner Loop Header: Depth=3
	v_add_nc_u64_e32 v[64:65], s[24:25], v[2:3]
	v_cmp_eq_u64_e64 s7, s[24:25], v[48:49]
	v_add_nc_u64_e32 v[62:63], v[50:51], v[52:53]
                                        ; implicit-def: $vgpr68_vgpr69
	s_delay_alu instid0(VALU_DEP_3) | instskip(SKIP_3) | instid1(SALU_CYCLE_1)
	v_cmp_gt_i64_e64 s5, v[64:65], v[38:39]
	v_cmp_le_i64_e64 s6, s[40:41], v[64:65]
	s_and_b32 s51, s36, s7
	s_or_b32 s7, vcc_lo, s5
	s_or_b32 s7, s7, s51
	s_delay_alu instid0(SALU_CYCLE_1) | instskip(NEXT) | instid1(SALU_CYCLE_1)
	s_nor_b32 s7, s6, s7
	s_and_saveexec_b32 s8, s7
	s_delay_alu instid0(SALU_CYCLE_1)
	s_xor_b32 s7, exec_lo, s8
	s_cbranch_execz .LBB56_13
; %bb.12:                               ;   in Loop: Header=BB56_11 Depth=3
	global_load_b64 v[68:69], v[62:63], off
.LBB56_13:                              ;   in Loop: Header=BB56_11 Depth=3
	s_wait_xcnt 0x0
	s_and_not1_saveexec_b32 s7, s7
	s_cbranch_execz .LBB56_15
; %bb.14:                               ;   in Loop: Header=BB56_11 Depth=3
	v_cndmask_b32_e64 v5, 0, 0x3ff00000, s51
	s_wait_loadcnt 0x0
	s_delay_alu instid0(VALU_DEP_1)
	v_mov_b64_e32 v[68:69], v[4:5]
.LBB56_15:                              ;   in Loop: Header=BB56_11 Depth=3
	s_or_b32 exec_lo, exec_lo, s7
	v_add_nc_u64_e32 v[66:67], 16, v[64:65]
	v_cmp_eq_u64_e64 s8, s[24:25], v[56:57]
	s_wait_loadcnt 0x0
	ds_store_b64 v72, v[68:69]
	v_cmp_gt_i64_e64 s9, v[66:67], v[38:39]
	v_cmp_le_i64_e64 s7, s[40:41], v[66:67]
	v_add_nc_u64_e32 v[66:67], v[58:59], v[52:53]
	s_and_b32 s52, s36, s8
	s_or_b32 s8, vcc_lo, s9
	s_delay_alu instid0(SALU_CYCLE_1) | instskip(NEXT) | instid1(SALU_CYCLE_1)
	s_or_b32 s8, s8, s52
	s_nor_b32 s8, s7, s8
	s_delay_alu instid0(SALU_CYCLE_1) | instskip(NEXT) | instid1(SALU_CYCLE_1)
	s_and_saveexec_b32 s9, s8
	s_xor_b32 s8, exec_lo, s9
	s_cbranch_execz .LBB56_17
; %bb.16:                               ;   in Loop: Header=BB56_11 Depth=3
	global_load_b64 v[68:69], v[66:67], off
	s_wait_loadcnt 0x0
	ds_store_b64 v72, v[68:69] offset:128
.LBB56_17:                              ;   in Loop: Header=BB56_11 Depth=3
	s_wait_xcnt 0x0
	s_and_not1_saveexec_b32 s8, s8
	s_cbranch_execz .LBB56_23
; %bb.18:                               ;   in Loop: Header=BB56_11 Depth=3
	s_xor_b32 s9, s52, -1
	s_delay_alu instid0(SALU_CYCLE_1) | instskip(NEXT) | instid1(SALU_CYCLE_1)
	s_and_saveexec_b32 s52, s9
	s_xor_b32 s9, exec_lo, s52
; %bb.19:                               ;   in Loop: Header=BB56_11 Depth=3
	ds_store_b64 v72, v[22:23] offset:128
; %bb.20:                               ;   in Loop: Header=BB56_11 Depth=3
	s_and_not1_saveexec_b32 s9, s9
; %bb.21:                               ;   in Loop: Header=BB56_11 Depth=3
	ds_store_b64 v72, v[24:25] offset:128
; %bb.22:                               ;   in Loop: Header=BB56_11 Depth=3
	s_or_b32 exec_lo, exec_lo, s9
.LBB56_23:                              ;   in Loop: Header=BB56_11 Depth=3
	s_delay_alu instid0(SALU_CYCLE_1) | instskip(SKIP_4) | instid1(SALU_CYCLE_1)
	s_or_b32 exec_lo, exec_lo, s8
	v_cmp_eq_u64_e64 s8, s[24:25], v[54:55]
	v_cmp_gt_i64_e64 s9, v[64:65], v[46:47]
                                        ; implicit-def: $vgpr64_vgpr65
	s_and_b32 s8, s36, s8
	s_or_b32 s9, s4, s9
	s_or_b32 s9, s9, s8
	s_delay_alu instid0(SALU_CYCLE_1) | instskip(NEXT) | instid1(SALU_CYCLE_1)
	s_nor_b32 s6, s6, s9
	s_and_saveexec_b32 s9, s6
	s_delay_alu instid0(SALU_CYCLE_1)
	s_xor_b32 s6, exec_lo, s9
	s_cbranch_execz .LBB56_25
; %bb.24:                               ;   in Loop: Header=BB56_11 Depth=3
	global_load_b64 v[64:65], v[62:63], off offset:128
.LBB56_25:                              ;   in Loop: Header=BB56_11 Depth=3
	s_wait_xcnt 0x0
	s_and_not1_saveexec_b32 s6, s6
	s_cbranch_execz .LBB56_27
; %bb.26:                               ;   in Loop: Header=BB56_11 Depth=3
	v_cndmask_b32_e64 v5, 0, 0x3ff00000, s8
	s_wait_loadcnt 0x0
	s_delay_alu instid0(VALU_DEP_1)
	v_mov_b64_e32 v[64:65], v[4:5]
.LBB56_27:                              ;   in Loop: Header=BB56_11 Depth=3
	s_or_b32 exec_lo, exec_lo, s6
	s_or_b32 s5, s4, s5
	s_wait_loadcnt 0x0
	ds_store_b64 v72, v[64:65] offset:4096
	s_or_b32 s5, s5, s51
	s_delay_alu instid0(SALU_CYCLE_1) | instskip(NEXT) | instid1(SALU_CYCLE_1)
	s_nor_b32 s5, s7, s5
	s_and_saveexec_b32 s6, s5
	s_delay_alu instid0(SALU_CYCLE_1)
	s_xor_b32 s5, exec_lo, s6
	s_cbranch_execz .LBB56_29
; %bb.28:                               ;   in Loop: Header=BB56_11 Depth=3
	global_load_b64 v[62:63], v[66:67], off offset:128
	s_wait_loadcnt 0x0
	ds_store_b64 v72, v[62:63] offset:4224
.LBB56_29:                              ;   in Loop: Header=BB56_11 Depth=3
	s_wait_xcnt 0x0
	s_and_not1_saveexec_b32 s5, s5
	s_cbranch_execz .LBB56_35
; %bb.30:                               ;   in Loop: Header=BB56_11 Depth=3
	s_xor_b32 s6, s51, -1
	s_delay_alu instid0(SALU_CYCLE_1) | instskip(NEXT) | instid1(SALU_CYCLE_1)
	s_and_saveexec_b32 s7, s6
	s_xor_b32 s6, exec_lo, s7
; %bb.31:                               ;   in Loop: Header=BB56_11 Depth=3
	ds_store_b64 v72, v[22:23] offset:4224
; %bb.32:                               ;   in Loop: Header=BB56_11 Depth=3
	s_and_not1_saveexec_b32 s6, s6
; %bb.33:                               ;   in Loop: Header=BB56_11 Depth=3
	ds_store_b64 v72, v[24:25] offset:4224
; %bb.34:                               ;   in Loop: Header=BB56_11 Depth=3
	s_or_b32 exec_lo, exec_lo, s6
.LBB56_35:                              ;   in Loop: Header=BB56_11 Depth=3
	s_delay_alu instid0(SALU_CYCLE_1) | instskip(SKIP_3) | instid1(VALU_DEP_3)
	s_or_b32 exec_lo, exec_lo, s5
	v_add_nc_u64_e32 v[62:63], s[24:25], v[0:1]
	v_add_nc_u64_e32 v[64:65], v[60:61], v[16:17]
	v_mov_b64_e32 v[66:67], 0
	v_cmp_le_i64_e64 s5, s[40:41], v[62:63]
	s_nor_b32 s7, s5, s0
	s_delay_alu instid0(SALU_CYCLE_1)
	s_and_saveexec_b32 s6, s7
	s_cbranch_execz .LBB56_37
; %bb.36:                               ;   in Loop: Header=BB56_11 Depth=3
	global_load_b64 v[66:67], v[64:65], off offset:-128
.LBB56_37:                              ;   in Loop: Header=BB56_11 Depth=3
	s_wait_xcnt 0x0
	s_or_b32 exec_lo, exec_lo, s6
	s_nor_b32 s5, s5, s1
	s_wait_loadcnt 0x0
	ds_store_b64 v73, v[66:67]
	s_and_saveexec_b32 s6, s5
	s_delay_alu instid0(SALU_CYCLE_1)
	s_xor_b32 s5, exec_lo, s6
	s_cbranch_execz .LBB56_39
; %bb.38:                               ;   in Loop: Header=BB56_11 Depth=3
	global_load_b64 v[64:65], v[64:65], off
	s_wait_loadcnt 0x0
	ds_store_b64 v73, v[64:65] offset:128
.LBB56_39:                              ;   in Loop: Header=BB56_11 Depth=3
	s_wait_xcnt 0x0
	s_and_not1_saveexec_b32 s5, s5
; %bb.40:                               ;   in Loop: Header=BB56_11 Depth=3
	ds_store_b64 v73, v[22:23] offset:128
; %bb.41:                               ;   in Loop: Header=BB56_11 Depth=3
	s_or_b32 exec_lo, exec_lo, s5
	v_cmp_le_i64_e64 s5, s[16:17], v[62:63]
	v_add_nc_u64_e32 v[62:63], v[60:61], v[8:9]
	v_mov_b64_e32 v[64:65], 0
	s_nor_b32 s7, s5, s0
	s_delay_alu instid0(SALU_CYCLE_1)
	s_and_saveexec_b32 s6, s7
	s_cbranch_execz .LBB56_43
; %bb.42:                               ;   in Loop: Header=BB56_11 Depth=3
	global_load_b64 v[64:65], v[62:63], off offset:-128
.LBB56_43:                              ;   in Loop: Header=BB56_11 Depth=3
	s_wait_xcnt 0x0
	s_or_b32 exec_lo, exec_lo, s6
	s_nor_b32 s5, s5, s1
	s_wait_loadcnt 0x0
	ds_store_b64 v73, v[64:65] offset:4096
	s_and_saveexec_b32 s6, s5
	s_delay_alu instid0(SALU_CYCLE_1)
	s_xor_b32 s5, exec_lo, s6
	s_cbranch_execz .LBB56_45
; %bb.44:                               ;   in Loop: Header=BB56_11 Depth=3
	global_load_b64 v[62:63], v[62:63], off
	s_wait_loadcnt 0x0
	ds_store_b64 v73, v[62:63] offset:4224
.LBB56_45:                              ;   in Loop: Header=BB56_11 Depth=3
	s_wait_xcnt 0x0
	s_and_not1_saveexec_b32 s5, s5
	s_cbranch_execz .LBB56_10
; %bb.46:                               ;   in Loop: Header=BB56_11 Depth=3
	ds_store_b64 v73, v[22:23] offset:4224
	s_branch .LBB56_10
.LBB56_47:                              ;   in Loop: Header=BB56_8 Depth=2
	s_delay_alu instid0(VALU_DEP_1) | instskip(SKIP_2) | instid1(VALU_DEP_2)
	v_mul_u64_e32 v[46:47], s[28:29], v[38:39]
	v_cmp_gt_i32_e32 vcc_lo, s38, v38
	s_and_b32 s5, s2, vcc_lo
	v_lshl_add_u64 v[46:47], v[46:47], 3, s[22:23]
	s_and_saveexec_b32 s4, s5
	s_cbranch_execz .LBB56_49
; %bb.48:                               ;   in Loop: Header=BB56_8 Depth=2
	s_delay_alu instid0(VALU_DEP_1)
	v_lshl_add_u64 v[48:49], v[6:7], 3, v[46:47]
	global_load_b64 v[50:51], v[48:49], off
	s_wait_loadcnt 0x0
	v_fmac_f64_e32 v[50:51], v[26:27], v[44:45]
	global_store_b64 v[48:49], v[50:51], off
.LBB56_49:                              ;   in Loop: Header=BB56_8 Depth=2
	s_wait_xcnt 0x0
	s_or_b32 exec_lo, exec_lo, s4
	s_and_b32 s5, s3, vcc_lo
	s_delay_alu instid0(SALU_CYCLE_1)
	s_and_saveexec_b32 s4, s5
	s_cbranch_execz .LBB56_51
; %bb.50:                               ;   in Loop: Header=BB56_8 Depth=2
	v_lshl_add_u64 v[44:45], v[10:11], 3, v[46:47]
	global_load_b64 v[46:47], v[44:45], off
	s_wait_loadcnt 0x0
	v_fmac_f64_e32 v[46:47], v[26:27], v[42:43]
	global_store_b64 v[44:45], v[46:47], off
.LBB56_51:                              ;   in Loop: Header=BB56_8 Depth=2
	s_wait_xcnt 0x0
	s_or_b32 exec_lo, exec_lo, s4
	v_add_nc_u32_e32 v38, 16, v38
	s_delay_alu instid0(VALU_DEP_1) | instskip(SKIP_1) | instid1(VALU_DEP_2)
	v_ashrrev_i32_e32 v39, 31, v38
	v_cmp_gt_i32_e32 vcc_lo, s38, v38
	v_mul_u64_e32 v[42:43], s[28:29], v[38:39]
	s_and_b32 s5, s2, vcc_lo
	s_delay_alu instid0(VALU_DEP_1)
	v_lshl_add_u64 v[38:39], v[42:43], 3, s[22:23]
	s_and_saveexec_b32 s4, s5
	s_cbranch_execz .LBB56_53
; %bb.52:                               ;   in Loop: Header=BB56_8 Depth=2
	s_delay_alu instid0(VALU_DEP_1)
	v_lshl_add_u64 v[42:43], v[6:7], 3, v[38:39]
	global_load_b64 v[44:45], v[42:43], off
	s_wait_loadcnt 0x0
	v_fmac_f64_e32 v[44:45], v[26:27], v[40:41]
	global_store_b64 v[42:43], v[44:45], off
.LBB56_53:                              ;   in Loop: Header=BB56_8 Depth=2
	s_wait_xcnt 0x0
	s_or_b32 exec_lo, exec_lo, s4
	s_and_b32 s5, s3, vcc_lo
	s_delay_alu instid0(SALU_CYCLE_1)
	s_and_saveexec_b32 s4, s5
	s_cbranch_execz .LBB56_7
; %bb.54:                               ;   in Loop: Header=BB56_8 Depth=2
	v_lshl_add_u64 v[38:39], v[10:11], 3, v[38:39]
	global_load_b64 v[40:41], v[38:39], off
	s_wait_loadcnt 0x0
	v_fmac_f64_e32 v[40:41], v[26:27], v[36:37]
	global_store_b64 v[38:39], v[40:41], off
	s_branch .LBB56_7
.LBB56_55:
	s_sendmsg sendmsg(MSG_DEALLOC_VGPRS)
	s_endpgm
	.section	.rodata,"a",@progbits
	.p2align	6, 0x0
	.amdhsa_kernel _ZL30rocblas_trmm_outofplace_kernelIdLi32ELi2ELb0ELb0ELb1ELb1EPKdS0_dEv17rocblas_diagonal_iiT6_lPT7_lllS5_lllPT8_llli
		.amdhsa_group_segment_fixed_size 16384
		.amdhsa_private_segment_fixed_size 0
		.amdhsa_kernarg_size 392
		.amdhsa_user_sgpr_count 2
		.amdhsa_user_sgpr_dispatch_ptr 0
		.amdhsa_user_sgpr_queue_ptr 0
		.amdhsa_user_sgpr_kernarg_segment_ptr 1
		.amdhsa_user_sgpr_dispatch_id 0
		.amdhsa_user_sgpr_kernarg_preload_length 0
		.amdhsa_user_sgpr_kernarg_preload_offset 0
		.amdhsa_user_sgpr_private_segment_size 0
		.amdhsa_wavefront_size32 1
		.amdhsa_uses_dynamic_stack 0
		.amdhsa_enable_private_segment 0
		.amdhsa_system_sgpr_workgroup_id_x 1
		.amdhsa_system_sgpr_workgroup_id_y 1
		.amdhsa_system_sgpr_workgroup_id_z 1
		.amdhsa_system_sgpr_workgroup_info 0
		.amdhsa_system_vgpr_workitem_id 1
		.amdhsa_next_free_vgpr 90
		.amdhsa_next_free_sgpr 53
		.amdhsa_named_barrier_count 0
		.amdhsa_reserve_vcc 1
		.amdhsa_float_round_mode_32 0
		.amdhsa_float_round_mode_16_64 0
		.amdhsa_float_denorm_mode_32 3
		.amdhsa_float_denorm_mode_16_64 3
		.amdhsa_fp16_overflow 0
		.amdhsa_memory_ordered 1
		.amdhsa_forward_progress 1
		.amdhsa_inst_pref_size 25
		.amdhsa_round_robin_scheduling 0
		.amdhsa_exception_fp_ieee_invalid_op 0
		.amdhsa_exception_fp_denorm_src 0
		.amdhsa_exception_fp_ieee_div_zero 0
		.amdhsa_exception_fp_ieee_overflow 0
		.amdhsa_exception_fp_ieee_underflow 0
		.amdhsa_exception_fp_ieee_inexact 0
		.amdhsa_exception_int_div_zero 0
	.end_amdhsa_kernel
	.section	.text._ZL30rocblas_trmm_outofplace_kernelIdLi32ELi2ELb0ELb0ELb1ELb1EPKdS0_dEv17rocblas_diagonal_iiT6_lPT7_lllS5_lllPT8_llli,"axG",@progbits,_ZL30rocblas_trmm_outofplace_kernelIdLi32ELi2ELb0ELb0ELb1ELb1EPKdS0_dEv17rocblas_diagonal_iiT6_lPT7_lllS5_lllPT8_llli,comdat
.Lfunc_end56:
	.size	_ZL30rocblas_trmm_outofplace_kernelIdLi32ELi2ELb0ELb0ELb1ELb1EPKdS0_dEv17rocblas_diagonal_iiT6_lPT7_lllS5_lllPT8_llli, .Lfunc_end56-_ZL30rocblas_trmm_outofplace_kernelIdLi32ELi2ELb0ELb0ELb1ELb1EPKdS0_dEv17rocblas_diagonal_iiT6_lPT7_lllS5_lllPT8_llli
                                        ; -- End function
	.set _ZL30rocblas_trmm_outofplace_kernelIdLi32ELi2ELb0ELb0ELb1ELb1EPKdS0_dEv17rocblas_diagonal_iiT6_lPT7_lllS5_lllPT8_llli.num_vgpr, 90
	.set _ZL30rocblas_trmm_outofplace_kernelIdLi32ELi2ELb0ELb0ELb1ELb1EPKdS0_dEv17rocblas_diagonal_iiT6_lPT7_lllS5_lllPT8_llli.num_agpr, 0
	.set _ZL30rocblas_trmm_outofplace_kernelIdLi32ELi2ELb0ELb0ELb1ELb1EPKdS0_dEv17rocblas_diagonal_iiT6_lPT7_lllS5_lllPT8_llli.numbered_sgpr, 53
	.set _ZL30rocblas_trmm_outofplace_kernelIdLi32ELi2ELb0ELb0ELb1ELb1EPKdS0_dEv17rocblas_diagonal_iiT6_lPT7_lllS5_lllPT8_llli.num_named_barrier, 0
	.set _ZL30rocblas_trmm_outofplace_kernelIdLi32ELi2ELb0ELb0ELb1ELb1EPKdS0_dEv17rocblas_diagonal_iiT6_lPT7_lllS5_lllPT8_llli.private_seg_size, 0
	.set _ZL30rocblas_trmm_outofplace_kernelIdLi32ELi2ELb0ELb0ELb1ELb1EPKdS0_dEv17rocblas_diagonal_iiT6_lPT7_lllS5_lllPT8_llli.uses_vcc, 1
	.set _ZL30rocblas_trmm_outofplace_kernelIdLi32ELi2ELb0ELb0ELb1ELb1EPKdS0_dEv17rocblas_diagonal_iiT6_lPT7_lllS5_lllPT8_llli.uses_flat_scratch, 0
	.set _ZL30rocblas_trmm_outofplace_kernelIdLi32ELi2ELb0ELb0ELb1ELb1EPKdS0_dEv17rocblas_diagonal_iiT6_lPT7_lllS5_lllPT8_llli.has_dyn_sized_stack, 0
	.set _ZL30rocblas_trmm_outofplace_kernelIdLi32ELi2ELb0ELb0ELb1ELb1EPKdS0_dEv17rocblas_diagonal_iiT6_lPT7_lllS5_lllPT8_llli.has_recursion, 0
	.set _ZL30rocblas_trmm_outofplace_kernelIdLi32ELi2ELb0ELb0ELb1ELb1EPKdS0_dEv17rocblas_diagonal_iiT6_lPT7_lllS5_lllPT8_llli.has_indirect_call, 0
	.section	.AMDGPU.csdata,"",@progbits
; Kernel info:
; codeLenInByte = 3192
; TotalNumSgprs: 55
; NumVgprs: 90
; ScratchSize: 0
; MemoryBound: 0
; FloatMode: 240
; IeeeMode: 1
; LDSByteSize: 16384 bytes/workgroup (compile time only)
; SGPRBlocks: 0
; VGPRBlocks: 5
; NumSGPRsForWavesPerEU: 55
; NumVGPRsForWavesPerEU: 90
; NamedBarCnt: 0
; Occupancy: 10
; WaveLimiterHint : 0
; COMPUTE_PGM_RSRC2:SCRATCH_EN: 0
; COMPUTE_PGM_RSRC2:USER_SGPR: 2
; COMPUTE_PGM_RSRC2:TRAP_HANDLER: 0
; COMPUTE_PGM_RSRC2:TGID_X_EN: 1
; COMPUTE_PGM_RSRC2:TGID_Y_EN: 1
; COMPUTE_PGM_RSRC2:TGID_Z_EN: 1
; COMPUTE_PGM_RSRC2:TIDIG_COMP_CNT: 1
	.section	.text._ZL30rocblas_trmm_outofplace_kernelIdLi32ELi2ELb0ELb0ELb1ELb1EdKddEv17rocblas_diagonal_iiT6_lPT7_lllS4_lllPT8_llli,"axG",@progbits,_ZL30rocblas_trmm_outofplace_kernelIdLi32ELi2ELb0ELb0ELb1ELb1EdKddEv17rocblas_diagonal_iiT6_lPT7_lllS4_lllPT8_llli,comdat
	.globl	_ZL30rocblas_trmm_outofplace_kernelIdLi32ELi2ELb0ELb0ELb1ELb1EdKddEv17rocblas_diagonal_iiT6_lPT7_lllS4_lllPT8_llli ; -- Begin function _ZL30rocblas_trmm_outofplace_kernelIdLi32ELi2ELb0ELb0ELb1ELb1EdKddEv17rocblas_diagonal_iiT6_lPT7_lllS4_lllPT8_llli
	.p2align	8
	.type	_ZL30rocblas_trmm_outofplace_kernelIdLi32ELi2ELb0ELb0ELb1ELb1EdKddEv17rocblas_diagonal_iiT6_lPT7_lllS4_lllPT8_llli,@function
_ZL30rocblas_trmm_outofplace_kernelIdLi32ELi2ELb0ELb0ELb1ELb1EdKddEv17rocblas_diagonal_iiT6_lPT7_lllS4_lllPT8_llli: ; @_ZL30rocblas_trmm_outofplace_kernelIdLi32ELi2ELb0ELb0ELb1ELb1EdKddEv17rocblas_diagonal_iiT6_lPT7_lllS4_lllPT8_llli
; %bb.0:
	s_load_b32 s31, s[0:1], 0x80
	s_bfe_u32 s2, ttmp6, 0x40014
	s_lshr_b32 s3, ttmp7, 16
	s_add_co_i32 s2, s2, 1
	s_bfe_u32 s5, ttmp6, 0x40008
	s_mul_i32 s4, s3, s2
	s_getreg_b32 s2, hwreg(HW_REG_IB_STS2, 6, 4)
	s_add_co_i32 s5, s5, s4
	s_cmp_eq_u32 s2, 0
	s_cselect_b32 s34, s3, s5
	s_wait_kmcnt 0x0
	s_cmp_ge_u32 s34, s31
	s_cbranch_scc1 .LBB57_54
; %bb.1:
	s_load_b64 s[36:37], s[0:1], 0x10
	s_wait_kmcnt 0x0
	v_cmp_eq_f64_e64 s3, s[36:37], 0
	s_and_b32 vcc_lo, exec_lo, s3
	s_cbranch_vccnz .LBB57_54
; %bb.2:
	s_clause 0x1
	s_load_b96 s[28:30], s[0:1], 0x0
	s_load_b512 s[4:19], s[0:1], 0x20
	s_bfe_u32 s33, ttmp6, 0x4000c
	s_bfe_u32 s38, ttmp6, 0x40010
	s_and_b32 s39, ttmp7, 0xffff
	s_add_co_i32 s33, s33, 1
	s_add_co_i32 s38, s38, 1
	s_and_b32 s3, ttmp6, 15
	s_bfe_u32 s40, ttmp6, 0x40004
	s_mul_i32 s33, ttmp9, s33
	s_mul_i32 s38, s39, s38
	v_and_b32_e32 v2, 0x3ff, v0
	v_bfe_u32 v0, v0, 10, 10
	v_mov_b32_e32 v4, 0
	s_add_co_i32 s3, s3, s33
	s_add_co_i32 s40, s40, s38
	s_load_b256 s[20:27], s[0:1], 0x60
	s_delay_alu instid0(VALU_DEP_1)
	v_dual_mov_b32 v3, v4 :: v_dual_lshlrev_b32 v62, 8, v0
	v_mov_b32_e32 v1, v4
	s_wait_kmcnt 0x0
	s_add_co_i32 s41, s30, -1
	v_dual_lshlrev_b32 v5, 3, v2 :: v_dual_lshlrev_b32 v8, 3, v0
	s_ashr_i32 s42, s41, 31
	v_mul_u64_e32 v[14:15], s[16:17], v[0:1]
	s_lshr_b32 s42, s42, 27
	v_mul_u64_e32 v[18:19], s[8:9], v[2:3]
	s_add_co_i32 s41, s41, s42
	v_or_b32_e32 v63, 0x2000, v5
	s_ashr_i32 s33, s41, 5
	s_cmp_eq_u32 s2, 0
	v_add_nc_u32_e32 v64, v62, v5
	s_cselect_b32 s2, ttmp9, s3
	s_cselect_b32 s42, s39, s40
	v_lshl_add_u32 v6, s2, 5, v2
	v_mov_b32_e32 v9, v4
	s_cmp_le_i32 s42, s33
	s_mov_b32 s2, s29
	s_cselect_b32 s43, -1, 0
	v_ashrrev_i32_e32 v7, 31, v6
	v_add_nc_u64_e32 v[8:9], 0x80, v[8:9]
	s_cmp_eq_u32 s28, 0x84
	v_add_nc_u32_e32 v5, 0x80, v5
	s_cselect_b32 s44, -1, 0
	s_ashr_i32 s3, s29, 31
	v_add_nc_u32_e32 v12, 16, v6
	v_sub_nc_u64_e32 v[16:17], s[2:3], v[6:7]
	v_mul_u64_e32 v[8:9], s[16:17], v[8:9]
	s_lshl_b64 s[2:3], s[22:23], 3
	s_add_nc_u64 s[22:23], s[0:1], 0x88
	s_lshl_b64 s[0:1], s[6:7], 3
	s_add_nc_u64 s[20:21], s[20:21], s[2:3]
	s_add_nc_u64 s[4:5], s[4:5], s[0:1]
	s_lshl_b64 s[2:3], s[14:15], 3
	v_mad_nc_u64_u32 v[10:11], s8, v5, s[4:5]
	s_add_nc_u64 s[2:3], s[12:13], s[2:3]
	v_cmp_gt_i64_e64 s0, 1, v[16:17]
	v_cmp_gt_i64_e64 s1, 17, v[16:17]
	v_lshl_add_u64 v[16:17], v[6:7], 3, s[2:3]
	v_lshlrev_b64_e32 v[14:15], 3, v[14:15]
	v_mov_b64_e32 v[20:21], 0
	v_mov_b64_e32 v[22:23], 1.0
	v_add_nc_u32_e32 v65, v63, v62
	v_add_nc_u64_e32 v[16:17], 0x80, v[16:17]
	v_cmp_gt_i32_e64 s2, s29, v6
	v_mad_u32 v11, s9, v5, v11
	v_cmp_gt_i32_e64 s3, s29, v12
	v_ashrrev_i32_e32 v13, 31, v12
	v_lshl_add_u64 v[18:19], v[18:19], 3, s[4:5]
	v_add_nc_u32_e32 v66, 0x800, v63
	v_add_nc_u32_e32 v67, 0x1000, v63
	;; [unrolled: 1-line block ×3, first 2 shown]
	s_mov_b32 s38, s30
	s_ashr_i32 s39, s30, 31
	s_mov_b32 s35, 0
	s_lshl_b64 s[40:41], s[8:9], 8
	s_lshl_b64 s[16:17], s[16:17], 8
	s_add_nc_u64 s[12:13], s[38:39], -16
	s_lshl_b64 s[14:15], s[18:19], 3
	s_lshl_b64 s[10:11], s[10:11], 3
	s_branch .LBB57_4
.LBB57_3:                               ;   in Loop: Header=BB57_4 Depth=1
	s_add_co_i32 s34, s34, 0x10000
	s_delay_alu instid0(SALU_CYCLE_1)
	s_cmp_ge_u32 s34, s31
	s_cbranch_scc1 .LBB57_54
.LBB57_4:                               ; =>This Loop Header: Depth=1
                                        ;     Child Loop BB57_7 Depth 2
                                        ;       Child Loop BB57_10 Depth 3
	s_and_not1_b32 vcc_lo, exec_lo, s43
	s_cbranch_vccnz .LBB57_3
; %bb.5:                                ;   in Loop: Header=BB57_4 Depth=1
	s_load_b32 s45, s[22:23], 0x4
	v_mad_nc_u64_u32 v[24:25], s14, s34, v[16:17]
	v_mad_nc_u64_u32 v[26:27], s10, s34, v[10:11]
	v_mad_nc_u64_u32 v[28:29], s10, s34, v[18:19]
	s_mul_i32 s6, s11, s34
	s_mul_u64 s[4:5], s[26:27], s[34:35]
	v_lshl_add_u32 v30, s42, 5, v0
	s_lshl_b64 s[4:5], s[4:5], 3
	s_mov_b32 s47, s42
	s_add_nc_u64 s[18:19], s[20:21], s[4:5]
	s_delay_alu instid0(VALU_DEP_4) | instskip(NEXT) | instid1(VALU_DEP_3)
	v_mad_u32 v25, s15, s34, v25
	v_dual_add_nc_u32 v27, s6, v27 :: v_dual_add_nc_u32 v29, s6, v29
	s_wait_kmcnt 0x0
	s_lshl_b32 s46, s45, 5
	s_branch .LBB57_7
.LBB57_6:                               ;   in Loop: Header=BB57_7 Depth=2
	s_wait_xcnt 0x0
	s_or_b32 exec_lo, exec_lo, s4
	v_add_nc_u32_e32 v30, s46, v30
	s_add_co_i32 s47, s45, s47
	s_delay_alu instid0(SALU_CYCLE_1)
	s_cmp_gt_i32 s47, s33
	s_cbranch_scc1 .LBB57_3
.LBB57_7:                               ;   Parent Loop BB57_4 Depth=1
                                        ; =>  This Loop Header: Depth=2
                                        ;       Child Loop BB57_10 Depth 3
	s_lshl_b32 s48, s47, 5
	v_mov_b64_e32 v[40:41], 0
	v_add_nc_u32_e32 v34, s48, v0
	v_mov_b64_e32 v[38:39], 0
	v_mov_b64_e32 v[36:37], 0
	;; [unrolled: 1-line block ×3, first 2 shown]
	s_cmp_lt_i32 s47, 0
	v_ashrrev_i32_e32 v35, 31, v34
	s_cbranch_scc1 .LBB57_46
; %bb.8:                                ;   in Loop: Header=BB57_7 Depth=2
	v_sub_nc_u64_e32 v[38:39], 0, v[2:3]
	s_delay_alu instid0(VALU_DEP_2)
	v_add_nc_u64_e32 v[42:43], 16, v[34:35]
	v_ashrrev_i32_e32 v31, 31, v30
	v_mov_b64_e32 v[32:33], 0
	v_mov_b64_e32 v[44:45], v[28:29]
	;; [unrolled: 1-line block ×4, first 2 shown]
	v_add_nc_u64_e32 v[46:47], v[38:39], v[30:31]
	v_mov_b64_e32 v[38:39], 0
	v_lshlrev_b64_e32 v[48:49], 3, v[30:31]
	v_cmp_le_i64_e64 s4, s[38:39], v[42:43]
	v_mov_b64_e32 v[50:51], v[26:27]
	v_mov_b64_e32 v[52:53], v[24:25]
	s_mov_b64 s[28:29], 0
	v_cmp_le_i32_e32 vcc_lo, s30, v34
	s_branch .LBB57_10
.LBB57_9:                               ;   in Loop: Header=BB57_10 Depth=3
	s_or_b32 exec_lo, exec_lo, s5
	s_wait_dscnt 0x0
	s_barrier_signal -1
	s_barrier_wait -1
	ds_load_b128 v[54:57], v62
	ds_load_2addr_b64 v[58:61], v63 offset1:16
	ds_load_b128 v[70:73], v62 offset:4096
	ds_load_b128 v[74:77], v62 offset:16
	;; [unrolled: 1-line block ×3, first 2 shown]
	v_add_nc_u64_e32 v[52:53], s[16:17], v[52:53]
	v_add_nc_u64_e32 v[50:51], s[40:41], v[50:51]
	;; [unrolled: 1-line block ×3, first 2 shown]
	s_add_nc_u64 s[28:29], s[28:29], 32
	s_delay_alu instid0(SALU_CYCLE_1) | instskip(NEXT) | instid1(SALU_CYCLE_1)
	s_sub_co_i32 s5, s28, 32
	s_cmp_ge_i32 s5, s48
	s_wait_dscnt 0x3
	v_fmac_f64_e32 v[40:41], v[58:59], v[54:55]
	v_fmac_f64_e32 v[38:39], v[60:61], v[54:55]
	s_wait_dscnt 0x2
	v_fmac_f64_e32 v[36:37], v[58:59], v[70:71]
	v_fmac_f64_e32 v[32:33], v[60:61], v[70:71]
	ds_load_2addr_b64 v[58:61], v63 offset0:32 offset1:48
	s_wait_dscnt 0x0
	v_fmac_f64_e32 v[40:41], v[58:59], v[56:57]
	v_fmac_f64_e32 v[38:39], v[60:61], v[56:57]
	v_fmac_f64_e32 v[36:37], v[58:59], v[72:73]
	v_fmac_f64_e32 v[32:33], v[60:61], v[72:73]
	ds_load_2addr_b64 v[54:57], v63 offset0:64 offset1:80
	s_wait_dscnt 0x0
	v_fmac_f64_e32 v[40:41], v[54:55], v[74:75]
	v_fmac_f64_e32 v[38:39], v[56:57], v[74:75]
	v_fmac_f64_e32 v[36:37], v[54:55], v[78:79]
	v_fmac_f64_e32 v[32:33], v[56:57], v[78:79]
	ds_load_2addr_b64 v[54:57], v63 offset0:96 offset1:112
	s_wait_dscnt 0x0
	v_fmac_f64_e32 v[40:41], v[54:55], v[76:77]
	v_fmac_f64_e32 v[38:39], v[56:57], v[76:77]
	v_fmac_f64_e32 v[36:37], v[54:55], v[80:81]
	v_fmac_f64_e32 v[32:33], v[56:57], v[80:81]
	ds_load_b128 v[54:57], v62 offset:32
	ds_load_2addr_b64 v[58:61], v63 offset0:128 offset1:144
	ds_load_b128 v[70:73], v62 offset:4128
	ds_load_b128 v[74:77], v62 offset:48
	ds_load_b128 v[78:81], v62 offset:4144
	s_wait_dscnt 0x3
	v_fmac_f64_e32 v[40:41], v[58:59], v[54:55]
	v_fmac_f64_e32 v[38:39], v[60:61], v[54:55]
	s_wait_dscnt 0x2
	v_fmac_f64_e32 v[36:37], v[58:59], v[70:71]
	v_fmac_f64_e32 v[32:33], v[60:61], v[70:71]
	ds_load_2addr_b64 v[58:61], v63 offset0:160 offset1:176
	s_wait_dscnt 0x0
	v_fmac_f64_e32 v[40:41], v[58:59], v[56:57]
	v_fmac_f64_e32 v[38:39], v[60:61], v[56:57]
	v_fmac_f64_e32 v[36:37], v[58:59], v[72:73]
	v_fmac_f64_e32 v[32:33], v[60:61], v[72:73]
	ds_load_2addr_b64 v[54:57], v63 offset0:192 offset1:208
	s_wait_dscnt 0x0
	v_fmac_f64_e32 v[40:41], v[54:55], v[74:75]
	v_fmac_f64_e32 v[38:39], v[56:57], v[74:75]
	v_fmac_f64_e32 v[36:37], v[54:55], v[78:79]
	v_fmac_f64_e32 v[32:33], v[56:57], v[78:79]
	ds_load_2addr_b64 v[54:57], v63 offset0:224 offset1:240
	s_wait_dscnt 0x0
	v_fmac_f64_e32 v[40:41], v[54:55], v[76:77]
	v_fmac_f64_e32 v[38:39], v[56:57], v[76:77]
	v_fmac_f64_e32 v[36:37], v[54:55], v[80:81]
	v_fmac_f64_e32 v[32:33], v[56:57], v[80:81]
	ds_load_b128 v[54:57], v62 offset:64
	ds_load_2addr_b64 v[58:61], v66 offset1:16
	ds_load_b128 v[70:73], v62 offset:4160
	ds_load_b128 v[74:77], v62 offset:80
	ds_load_b128 v[78:81], v62 offset:4176
	s_wait_dscnt 0x3
	v_fmac_f64_e32 v[40:41], v[58:59], v[54:55]
	v_fmac_f64_e32 v[38:39], v[60:61], v[54:55]
	s_wait_dscnt 0x2
	v_fmac_f64_e32 v[36:37], v[58:59], v[70:71]
	v_fmac_f64_e32 v[32:33], v[60:61], v[70:71]
	ds_load_2addr_b64 v[58:61], v66 offset0:32 offset1:48
	s_wait_dscnt 0x0
	v_fmac_f64_e32 v[40:41], v[58:59], v[56:57]
	v_fmac_f64_e32 v[38:39], v[60:61], v[56:57]
	v_fmac_f64_e32 v[36:37], v[58:59], v[72:73]
	v_fmac_f64_e32 v[32:33], v[60:61], v[72:73]
	ds_load_2addr_b64 v[54:57], v66 offset0:64 offset1:80
	s_wait_dscnt 0x0
	v_fmac_f64_e32 v[40:41], v[54:55], v[74:75]
	v_fmac_f64_e32 v[38:39], v[56:57], v[74:75]
	v_fmac_f64_e32 v[36:37], v[54:55], v[78:79]
	v_fmac_f64_e32 v[32:33], v[56:57], v[78:79]
	ds_load_2addr_b64 v[54:57], v66 offset0:96 offset1:112
	s_wait_dscnt 0x0
	v_fmac_f64_e32 v[40:41], v[54:55], v[76:77]
	v_fmac_f64_e32 v[38:39], v[56:57], v[76:77]
	v_fmac_f64_e32 v[36:37], v[54:55], v[80:81]
	v_fmac_f64_e32 v[32:33], v[56:57], v[80:81]
	ds_load_b128 v[54:57], v62 offset:96
	ds_load_2addr_b64 v[58:61], v66 offset0:128 offset1:144
	ds_load_b128 v[70:73], v62 offset:4192
	ds_load_b128 v[74:77], v62 offset:112
	ds_load_b128 v[78:81], v62 offset:4208
	s_wait_dscnt 0x3
	v_fmac_f64_e32 v[40:41], v[58:59], v[54:55]
	v_fmac_f64_e32 v[38:39], v[60:61], v[54:55]
	s_wait_dscnt 0x2
	v_fmac_f64_e32 v[36:37], v[58:59], v[70:71]
	v_fmac_f64_e32 v[32:33], v[60:61], v[70:71]
	ds_load_2addr_b64 v[58:61], v66 offset0:160 offset1:176
	s_wait_dscnt 0x0
	v_fmac_f64_e32 v[40:41], v[58:59], v[56:57]
	v_fmac_f64_e32 v[38:39], v[60:61], v[56:57]
	v_fmac_f64_e32 v[36:37], v[58:59], v[72:73]
	v_fmac_f64_e32 v[32:33], v[60:61], v[72:73]
	ds_load_2addr_b64 v[54:57], v66 offset0:192 offset1:208
	s_wait_dscnt 0x0
	v_fmac_f64_e32 v[40:41], v[54:55], v[74:75]
	v_fmac_f64_e32 v[38:39], v[56:57], v[74:75]
	v_fmac_f64_e32 v[36:37], v[54:55], v[78:79]
	v_fmac_f64_e32 v[32:33], v[56:57], v[78:79]
	ds_load_2addr_b64 v[54:57], v66 offset0:224 offset1:240
	s_wait_dscnt 0x0
	v_fmac_f64_e32 v[40:41], v[54:55], v[76:77]
	v_fmac_f64_e32 v[38:39], v[56:57], v[76:77]
	v_fmac_f64_e32 v[36:37], v[54:55], v[80:81]
	v_fmac_f64_e32 v[32:33], v[56:57], v[80:81]
	ds_load_b128 v[54:57], v62 offset:128
	ds_load_2addr_b64 v[58:61], v67 offset1:16
	ds_load_b128 v[70:73], v62 offset:4224
	ds_load_b128 v[74:77], v62 offset:144
	ds_load_b128 v[78:81], v62 offset:4240
	;; [unrolled: 58-line block ×3, first 2 shown]
	s_wait_dscnt 0x3
	v_fmac_f64_e32 v[40:41], v[58:59], v[54:55]
	v_fmac_f64_e32 v[38:39], v[60:61], v[54:55]
	s_wait_dscnt 0x2
	v_fmac_f64_e32 v[36:37], v[58:59], v[70:71]
	v_fmac_f64_e32 v[32:33], v[60:61], v[70:71]
	ds_load_2addr_b64 v[58:61], v68 offset0:32 offset1:48
	s_wait_dscnt 0x0
	v_fmac_f64_e32 v[40:41], v[58:59], v[56:57]
	v_fmac_f64_e32 v[38:39], v[60:61], v[56:57]
	v_fmac_f64_e32 v[36:37], v[58:59], v[72:73]
	v_fmac_f64_e32 v[32:33], v[60:61], v[72:73]
	ds_load_2addr_b64 v[54:57], v68 offset0:64 offset1:80
	s_wait_dscnt 0x0
	v_fmac_f64_e32 v[40:41], v[54:55], v[74:75]
	v_fmac_f64_e32 v[38:39], v[56:57], v[74:75]
	;; [unrolled: 6-line block ×3, first 2 shown]
	v_fmac_f64_e32 v[36:37], v[54:55], v[80:81]
	v_fmac_f64_e32 v[32:33], v[56:57], v[80:81]
	ds_load_b128 v[54:57], v62 offset:224
	ds_load_2addr_b64 v[58:61], v68 offset0:128 offset1:144
	ds_load_b128 v[70:73], v62 offset:4320
	ds_load_b128 v[74:77], v62 offset:240
	ds_load_b128 v[78:81], v62 offset:4336
	s_wait_dscnt 0x3
	v_fmac_f64_e32 v[40:41], v[58:59], v[54:55]
	v_fmac_f64_e32 v[38:39], v[60:61], v[54:55]
	s_wait_dscnt 0x2
	v_fmac_f64_e32 v[36:37], v[58:59], v[70:71]
	v_fmac_f64_e32 v[32:33], v[60:61], v[70:71]
	ds_load_2addr_b64 v[58:61], v68 offset0:160 offset1:176
	s_wait_dscnt 0x0
	v_fmac_f64_e32 v[40:41], v[58:59], v[56:57]
	v_fmac_f64_e32 v[38:39], v[60:61], v[56:57]
	;; [unrolled: 1-line block ×4, first 2 shown]
	ds_load_2addr_b64 v[54:57], v68 offset0:192 offset1:208
	s_wait_dscnt 0x0
	v_fmac_f64_e32 v[40:41], v[54:55], v[74:75]
	v_fmac_f64_e32 v[38:39], v[56:57], v[74:75]
	;; [unrolled: 1-line block ×4, first 2 shown]
	ds_load_2addr_b64 v[54:57], v68 offset0:224 offset1:240
	s_wait_dscnt 0x0
	s_barrier_signal -1
	s_barrier_wait -1
	v_fmac_f64_e32 v[40:41], v[54:55], v[76:77]
	v_fmac_f64_e32 v[38:39], v[56:57], v[76:77]
	;; [unrolled: 1-line block ×4, first 2 shown]
	s_cbranch_scc1 .LBB57_46
.LBB57_10:                              ;   Parent Loop BB57_4 Depth=1
                                        ;     Parent Loop BB57_7 Depth=2
                                        ; =>    This Inner Loop Header: Depth=3
	v_add_nc_u64_e32 v[56:57], s[28:29], v[2:3]
	v_cmp_eq_u64_e64 s7, s[28:29], v[46:47]
	v_add_nc_u64_e32 v[54:55], v[44:45], v[48:49]
                                        ; implicit-def: $vgpr60_vgpr61
	s_delay_alu instid0(VALU_DEP_3) | instskip(SKIP_3) | instid1(SALU_CYCLE_1)
	v_cmp_gt_i64_e64 s5, v[56:57], v[34:35]
	v_cmp_le_i64_e64 s6, s[38:39], v[56:57]
	s_and_b32 s49, s44, s7
	s_or_b32 s7, vcc_lo, s5
	s_or_b32 s7, s7, s49
	s_delay_alu instid0(SALU_CYCLE_1) | instskip(NEXT) | instid1(SALU_CYCLE_1)
	s_nor_b32 s7, s6, s7
	s_and_saveexec_b32 s8, s7
	s_delay_alu instid0(SALU_CYCLE_1)
	s_xor_b32 s7, exec_lo, s8
	s_cbranch_execz .LBB57_12
; %bb.11:                               ;   in Loop: Header=BB57_10 Depth=3
	global_load_b64 v[60:61], v[54:55], off
.LBB57_12:                              ;   in Loop: Header=BB57_10 Depth=3
	s_wait_xcnt 0x0
	s_and_not1_saveexec_b32 s7, s7
	s_cbranch_execz .LBB57_14
; %bb.13:                               ;   in Loop: Header=BB57_10 Depth=3
	v_cndmask_b32_e64 v5, 0, 0x3ff00000, s49
	s_wait_loadcnt 0x0
	s_delay_alu instid0(VALU_DEP_1)
	v_mov_b64_e32 v[60:61], v[4:5]
.LBB57_14:                              ;   in Loop: Header=BB57_10 Depth=3
	s_or_b32 exec_lo, exec_lo, s7
	v_add_nc_u64_e32 v[58:59], -16, v[46:47]
	v_add_nc_u64_e32 v[70:71], 16, v[56:57]
	s_wait_loadcnt 0x0
	ds_store_b64 v64, v[60:61]
	v_cmp_eq_u64_e64 s8, s[28:29], v[58:59]
	v_cmp_gt_i64_e64 s9, v[70:71], v[34:35]
	v_cmp_le_i64_e64 s7, s[38:39], v[70:71]
	v_add_nc_u64_e32 v[58:59], v[50:51], v[48:49]
	s_and_b32 s50, s44, s8
	s_or_b32 s8, vcc_lo, s9
	s_delay_alu instid0(SALU_CYCLE_1) | instskip(NEXT) | instid1(SALU_CYCLE_1)
	s_or_b32 s8, s8, s50
	s_nor_b32 s8, s7, s8
	s_delay_alu instid0(SALU_CYCLE_1) | instskip(NEXT) | instid1(SALU_CYCLE_1)
	s_and_saveexec_b32 s9, s8
	s_xor_b32 s8, exec_lo, s9
	s_cbranch_execz .LBB57_16
; %bb.15:                               ;   in Loop: Header=BB57_10 Depth=3
	global_load_b64 v[60:61], v[58:59], off
	s_wait_loadcnt 0x0
	ds_store_b64 v64, v[60:61] offset:128
.LBB57_16:                              ;   in Loop: Header=BB57_10 Depth=3
	s_wait_xcnt 0x0
	s_and_not1_saveexec_b32 s8, s8
	s_cbranch_execz .LBB57_22
; %bb.17:                               ;   in Loop: Header=BB57_10 Depth=3
	s_xor_b32 s9, s50, -1
	s_delay_alu instid0(SALU_CYCLE_1) | instskip(NEXT) | instid1(SALU_CYCLE_1)
	s_and_saveexec_b32 s50, s9
	s_xor_b32 s9, exec_lo, s50
; %bb.18:                               ;   in Loop: Header=BB57_10 Depth=3
	ds_store_b64 v64, v[20:21] offset:128
; %bb.19:                               ;   in Loop: Header=BB57_10 Depth=3
	s_and_not1_saveexec_b32 s9, s9
; %bb.20:                               ;   in Loop: Header=BB57_10 Depth=3
	ds_store_b64 v64, v[22:23] offset:128
; %bb.21:                               ;   in Loop: Header=BB57_10 Depth=3
	s_or_b32 exec_lo, exec_lo, s9
.LBB57_22:                              ;   in Loop: Header=BB57_10 Depth=3
	s_delay_alu instid0(SALU_CYCLE_1) | instskip(SKIP_2) | instid1(VALU_DEP_2)
	s_or_b32 exec_lo, exec_lo, s8
	v_add_nc_u64_e32 v[60:61], 16, v[46:47]
	v_cmp_gt_i64_e64 s9, v[56:57], v[42:43]
                                        ; implicit-def: $vgpr56_vgpr57
	v_cmp_eq_u64_e64 s8, s[28:29], v[60:61]
	s_or_b32 s9, s4, s9
	s_and_b32 s8, s44, s8
	s_delay_alu instid0(SALU_CYCLE_1) | instskip(NEXT) | instid1(SALU_CYCLE_1)
	s_or_b32 s9, s9, s8
	s_nor_b32 s6, s6, s9
	s_delay_alu instid0(SALU_CYCLE_1) | instskip(NEXT) | instid1(SALU_CYCLE_1)
	s_and_saveexec_b32 s9, s6
	s_xor_b32 s6, exec_lo, s9
	s_cbranch_execz .LBB57_24
; %bb.23:                               ;   in Loop: Header=BB57_10 Depth=3
	global_load_b64 v[56:57], v[54:55], off offset:128
.LBB57_24:                              ;   in Loop: Header=BB57_10 Depth=3
	s_wait_xcnt 0x0
	s_and_not1_saveexec_b32 s6, s6
	s_cbranch_execz .LBB57_26
; %bb.25:                               ;   in Loop: Header=BB57_10 Depth=3
	v_cndmask_b32_e64 v5, 0, 0x3ff00000, s8
	s_wait_loadcnt 0x0
	s_delay_alu instid0(VALU_DEP_1)
	v_mov_b64_e32 v[56:57], v[4:5]
.LBB57_26:                              ;   in Loop: Header=BB57_10 Depth=3
	s_or_b32 exec_lo, exec_lo, s6
	s_or_b32 s5, s4, s5
	s_wait_loadcnt 0x0
	ds_store_b64 v64, v[56:57] offset:4096
	s_or_b32 s5, s5, s49
	s_delay_alu instid0(SALU_CYCLE_1) | instskip(NEXT) | instid1(SALU_CYCLE_1)
	s_nor_b32 s5, s7, s5
	s_and_saveexec_b32 s6, s5
	s_delay_alu instid0(SALU_CYCLE_1)
	s_xor_b32 s5, exec_lo, s6
	s_cbranch_execz .LBB57_28
; %bb.27:                               ;   in Loop: Header=BB57_10 Depth=3
	global_load_b64 v[54:55], v[58:59], off offset:128
	s_wait_loadcnt 0x0
	ds_store_b64 v64, v[54:55] offset:4224
.LBB57_28:                              ;   in Loop: Header=BB57_10 Depth=3
	s_wait_xcnt 0x0
	s_and_not1_saveexec_b32 s5, s5
	s_cbranch_execz .LBB57_34
; %bb.29:                               ;   in Loop: Header=BB57_10 Depth=3
	s_xor_b32 s6, s49, -1
	s_delay_alu instid0(SALU_CYCLE_1) | instskip(NEXT) | instid1(SALU_CYCLE_1)
	s_and_saveexec_b32 s7, s6
	s_xor_b32 s6, exec_lo, s7
; %bb.30:                               ;   in Loop: Header=BB57_10 Depth=3
	ds_store_b64 v64, v[20:21] offset:4224
; %bb.31:                               ;   in Loop: Header=BB57_10 Depth=3
	s_and_not1_saveexec_b32 s6, s6
; %bb.32:                               ;   in Loop: Header=BB57_10 Depth=3
	ds_store_b64 v64, v[22:23] offset:4224
; %bb.33:                               ;   in Loop: Header=BB57_10 Depth=3
	s_or_b32 exec_lo, exec_lo, s6
.LBB57_34:                              ;   in Loop: Header=BB57_10 Depth=3
	s_delay_alu instid0(SALU_CYCLE_1) | instskip(SKIP_3) | instid1(VALU_DEP_3)
	s_or_b32 exec_lo, exec_lo, s5
	v_add_nc_u64_e32 v[54:55], s[28:29], v[0:1]
	v_add_nc_u64_e32 v[56:57], v[52:53], v[14:15]
	v_mov_b64_e32 v[58:59], 0
	v_cmp_le_i64_e64 s5, s[38:39], v[54:55]
	s_nor_b32 s7, s5, s0
	s_delay_alu instid0(SALU_CYCLE_1)
	s_and_saveexec_b32 s6, s7
	s_cbranch_execz .LBB57_36
; %bb.35:                               ;   in Loop: Header=BB57_10 Depth=3
	global_load_b64 v[58:59], v[56:57], off offset:-128
.LBB57_36:                              ;   in Loop: Header=BB57_10 Depth=3
	s_wait_xcnt 0x0
	s_or_b32 exec_lo, exec_lo, s6
	s_nor_b32 s5, s5, s1
	s_wait_loadcnt 0x0
	ds_store_b64 v65, v[58:59]
	s_and_saveexec_b32 s6, s5
	s_delay_alu instid0(SALU_CYCLE_1)
	s_xor_b32 s5, exec_lo, s6
	s_cbranch_execz .LBB57_38
; %bb.37:                               ;   in Loop: Header=BB57_10 Depth=3
	global_load_b64 v[56:57], v[56:57], off
	s_wait_loadcnt 0x0
	ds_store_b64 v65, v[56:57] offset:128
.LBB57_38:                              ;   in Loop: Header=BB57_10 Depth=3
	s_wait_xcnt 0x0
	s_and_not1_saveexec_b32 s5, s5
; %bb.39:                               ;   in Loop: Header=BB57_10 Depth=3
	ds_store_b64 v65, v[20:21] offset:128
; %bb.40:                               ;   in Loop: Header=BB57_10 Depth=3
	s_or_b32 exec_lo, exec_lo, s5
	v_cmp_le_i64_e64 s5, s[12:13], v[54:55]
	v_add_nc_u64_e32 v[54:55], v[52:53], v[8:9]
	v_mov_b64_e32 v[56:57], 0
	s_nor_b32 s7, s5, s0
	s_delay_alu instid0(SALU_CYCLE_1)
	s_and_saveexec_b32 s6, s7
	s_cbranch_execz .LBB57_42
; %bb.41:                               ;   in Loop: Header=BB57_10 Depth=3
	global_load_b64 v[56:57], v[54:55], off offset:-128
.LBB57_42:                              ;   in Loop: Header=BB57_10 Depth=3
	s_wait_xcnt 0x0
	s_or_b32 exec_lo, exec_lo, s6
	s_nor_b32 s5, s5, s1
	s_wait_loadcnt 0x0
	ds_store_b64 v65, v[56:57] offset:4096
	s_and_saveexec_b32 s6, s5
	s_delay_alu instid0(SALU_CYCLE_1)
	s_xor_b32 s5, exec_lo, s6
	s_cbranch_execz .LBB57_44
; %bb.43:                               ;   in Loop: Header=BB57_10 Depth=3
	global_load_b64 v[54:55], v[54:55], off
	s_wait_loadcnt 0x0
	ds_store_b64 v65, v[54:55] offset:4224
.LBB57_44:                              ;   in Loop: Header=BB57_10 Depth=3
	s_wait_xcnt 0x0
	s_and_not1_saveexec_b32 s5, s5
	s_cbranch_execz .LBB57_9
; %bb.45:                               ;   in Loop: Header=BB57_10 Depth=3
	ds_store_b64 v65, v[20:21] offset:4224
	s_branch .LBB57_9
.LBB57_46:                              ;   in Loop: Header=BB57_7 Depth=2
	s_delay_alu instid0(VALU_DEP_1) | instskip(SKIP_2) | instid1(VALU_DEP_2)
	v_mul_u64_e32 v[42:43], s[24:25], v[34:35]
	v_cmp_gt_i32_e32 vcc_lo, s30, v34
	s_and_b32 s5, s2, vcc_lo
	v_lshl_add_u64 v[42:43], v[42:43], 3, s[18:19]
	s_and_saveexec_b32 s4, s5
	s_cbranch_execz .LBB57_48
; %bb.47:                               ;   in Loop: Header=BB57_7 Depth=2
	s_delay_alu instid0(VALU_DEP_1)
	v_lshl_add_u64 v[44:45], v[6:7], 3, v[42:43]
	global_load_b64 v[46:47], v[44:45], off
	s_wait_loadcnt 0x0
	v_fmac_f64_e32 v[46:47], s[36:37], v[40:41]
	global_store_b64 v[44:45], v[46:47], off
.LBB57_48:                              ;   in Loop: Header=BB57_7 Depth=2
	s_wait_xcnt 0x0
	s_or_b32 exec_lo, exec_lo, s4
	s_and_b32 s5, s3, vcc_lo
	s_delay_alu instid0(SALU_CYCLE_1)
	s_and_saveexec_b32 s4, s5
	s_cbranch_execz .LBB57_50
; %bb.49:                               ;   in Loop: Header=BB57_7 Depth=2
	v_lshl_add_u64 v[40:41], v[12:13], 3, v[42:43]
	global_load_b64 v[42:43], v[40:41], off
	s_wait_loadcnt 0x0
	v_fmac_f64_e32 v[42:43], s[36:37], v[38:39]
	global_store_b64 v[40:41], v[42:43], off
.LBB57_50:                              ;   in Loop: Header=BB57_7 Depth=2
	s_wait_xcnt 0x0
	s_or_b32 exec_lo, exec_lo, s4
	v_add_nc_u32_e32 v34, 16, v34
	s_delay_alu instid0(VALU_DEP_1) | instskip(SKIP_1) | instid1(VALU_DEP_2)
	v_ashrrev_i32_e32 v35, 31, v34
	v_cmp_gt_i32_e32 vcc_lo, s30, v34
	v_mul_u64_e32 v[38:39], s[24:25], v[34:35]
	s_and_b32 s5, s2, vcc_lo
	s_delay_alu instid0(VALU_DEP_1)
	v_lshl_add_u64 v[34:35], v[38:39], 3, s[18:19]
	s_and_saveexec_b32 s4, s5
	s_cbranch_execz .LBB57_52
; %bb.51:                               ;   in Loop: Header=BB57_7 Depth=2
	s_delay_alu instid0(VALU_DEP_1)
	v_lshl_add_u64 v[38:39], v[6:7], 3, v[34:35]
	global_load_b64 v[40:41], v[38:39], off
	s_wait_loadcnt 0x0
	v_fmac_f64_e32 v[40:41], s[36:37], v[36:37]
	global_store_b64 v[38:39], v[40:41], off
.LBB57_52:                              ;   in Loop: Header=BB57_7 Depth=2
	s_wait_xcnt 0x0
	s_or_b32 exec_lo, exec_lo, s4
	s_and_b32 s5, s3, vcc_lo
	s_delay_alu instid0(SALU_CYCLE_1)
	s_and_saveexec_b32 s4, s5
	s_cbranch_execz .LBB57_6
; %bb.53:                               ;   in Loop: Header=BB57_7 Depth=2
	v_lshl_add_u64 v[34:35], v[12:13], 3, v[34:35]
	global_load_b64 v[36:37], v[34:35], off
	s_wait_loadcnt 0x0
	v_fmac_f64_e32 v[36:37], s[36:37], v[32:33]
	global_store_b64 v[34:35], v[36:37], off
	s_branch .LBB57_6
.LBB57_54:
	s_sendmsg sendmsg(MSG_DEALLOC_VGPRS)
	s_endpgm
	.section	.rodata,"a",@progbits
	.p2align	6, 0x0
	.amdhsa_kernel _ZL30rocblas_trmm_outofplace_kernelIdLi32ELi2ELb0ELb0ELb1ELb1EdKddEv17rocblas_diagonal_iiT6_lPT7_lllS4_lllPT8_llli
		.amdhsa_group_segment_fixed_size 16384
		.amdhsa_private_segment_fixed_size 0
		.amdhsa_kernarg_size 392
		.amdhsa_user_sgpr_count 2
		.amdhsa_user_sgpr_dispatch_ptr 0
		.amdhsa_user_sgpr_queue_ptr 0
		.amdhsa_user_sgpr_kernarg_segment_ptr 1
		.amdhsa_user_sgpr_dispatch_id 0
		.amdhsa_user_sgpr_kernarg_preload_length 0
		.amdhsa_user_sgpr_kernarg_preload_offset 0
		.amdhsa_user_sgpr_private_segment_size 0
		.amdhsa_wavefront_size32 1
		.amdhsa_uses_dynamic_stack 0
		.amdhsa_enable_private_segment 0
		.amdhsa_system_sgpr_workgroup_id_x 1
		.amdhsa_system_sgpr_workgroup_id_y 1
		.amdhsa_system_sgpr_workgroup_id_z 1
		.amdhsa_system_sgpr_workgroup_info 0
		.amdhsa_system_vgpr_workitem_id 1
		.amdhsa_next_free_vgpr 82
		.amdhsa_next_free_sgpr 51
		.amdhsa_named_barrier_count 0
		.amdhsa_reserve_vcc 1
		.amdhsa_float_round_mode_32 0
		.amdhsa_float_round_mode_16_64 0
		.amdhsa_float_denorm_mode_32 3
		.amdhsa_float_denorm_mode_16_64 3
		.amdhsa_fp16_overflow 0
		.amdhsa_memory_ordered 1
		.amdhsa_forward_progress 1
		.amdhsa_inst_pref_size 25
		.amdhsa_round_robin_scheduling 0
		.amdhsa_exception_fp_ieee_invalid_op 0
		.amdhsa_exception_fp_denorm_src 0
		.amdhsa_exception_fp_ieee_div_zero 0
		.amdhsa_exception_fp_ieee_overflow 0
		.amdhsa_exception_fp_ieee_underflow 0
		.amdhsa_exception_fp_ieee_inexact 0
		.amdhsa_exception_int_div_zero 0
	.end_amdhsa_kernel
	.section	.text._ZL30rocblas_trmm_outofplace_kernelIdLi32ELi2ELb0ELb0ELb1ELb1EdKddEv17rocblas_diagonal_iiT6_lPT7_lllS4_lllPT8_llli,"axG",@progbits,_ZL30rocblas_trmm_outofplace_kernelIdLi32ELi2ELb0ELb0ELb1ELb1EdKddEv17rocblas_diagonal_iiT6_lPT7_lllS4_lllPT8_llli,comdat
.Lfunc_end57:
	.size	_ZL30rocblas_trmm_outofplace_kernelIdLi32ELi2ELb0ELb0ELb1ELb1EdKddEv17rocblas_diagonal_iiT6_lPT7_lllS4_lllPT8_llli, .Lfunc_end57-_ZL30rocblas_trmm_outofplace_kernelIdLi32ELi2ELb0ELb0ELb1ELb1EdKddEv17rocblas_diagonal_iiT6_lPT7_lllS4_lllPT8_llli
                                        ; -- End function
	.set _ZL30rocblas_trmm_outofplace_kernelIdLi32ELi2ELb0ELb0ELb1ELb1EdKddEv17rocblas_diagonal_iiT6_lPT7_lllS4_lllPT8_llli.num_vgpr, 82
	.set _ZL30rocblas_trmm_outofplace_kernelIdLi32ELi2ELb0ELb0ELb1ELb1EdKddEv17rocblas_diagonal_iiT6_lPT7_lllS4_lllPT8_llli.num_agpr, 0
	.set _ZL30rocblas_trmm_outofplace_kernelIdLi32ELi2ELb0ELb0ELb1ELb1EdKddEv17rocblas_diagonal_iiT6_lPT7_lllS4_lllPT8_llli.numbered_sgpr, 51
	.set _ZL30rocblas_trmm_outofplace_kernelIdLi32ELi2ELb0ELb0ELb1ELb1EdKddEv17rocblas_diagonal_iiT6_lPT7_lllS4_lllPT8_llli.num_named_barrier, 0
	.set _ZL30rocblas_trmm_outofplace_kernelIdLi32ELi2ELb0ELb0ELb1ELb1EdKddEv17rocblas_diagonal_iiT6_lPT7_lllS4_lllPT8_llli.private_seg_size, 0
	.set _ZL30rocblas_trmm_outofplace_kernelIdLi32ELi2ELb0ELb0ELb1ELb1EdKddEv17rocblas_diagonal_iiT6_lPT7_lllS4_lllPT8_llli.uses_vcc, 1
	.set _ZL30rocblas_trmm_outofplace_kernelIdLi32ELi2ELb0ELb0ELb1ELb1EdKddEv17rocblas_diagonal_iiT6_lPT7_lllS4_lllPT8_llli.uses_flat_scratch, 0
	.set _ZL30rocblas_trmm_outofplace_kernelIdLi32ELi2ELb0ELb0ELb1ELb1EdKddEv17rocblas_diagonal_iiT6_lPT7_lllS4_lllPT8_llli.has_dyn_sized_stack, 0
	.set _ZL30rocblas_trmm_outofplace_kernelIdLi32ELi2ELb0ELb0ELb1ELb1EdKddEv17rocblas_diagonal_iiT6_lPT7_lllS4_lllPT8_llli.has_recursion, 0
	.set _ZL30rocblas_trmm_outofplace_kernelIdLi32ELi2ELb0ELb0ELb1ELb1EdKddEv17rocblas_diagonal_iiT6_lPT7_lllS4_lllPT8_llli.has_indirect_call, 0
	.section	.AMDGPU.csdata,"",@progbits
; Kernel info:
; codeLenInByte = 3144
; TotalNumSgprs: 53
; NumVgprs: 82
; ScratchSize: 0
; MemoryBound: 0
; FloatMode: 240
; IeeeMode: 1
; LDSByteSize: 16384 bytes/workgroup (compile time only)
; SGPRBlocks: 0
; VGPRBlocks: 5
; NumSGPRsForWavesPerEU: 53
; NumVGPRsForWavesPerEU: 82
; NamedBarCnt: 0
; Occupancy: 10
; WaveLimiterHint : 0
; COMPUTE_PGM_RSRC2:SCRATCH_EN: 0
; COMPUTE_PGM_RSRC2:USER_SGPR: 2
; COMPUTE_PGM_RSRC2:TRAP_HANDLER: 0
; COMPUTE_PGM_RSRC2:TGID_X_EN: 1
; COMPUTE_PGM_RSRC2:TGID_Y_EN: 1
; COMPUTE_PGM_RSRC2:TGID_Z_EN: 1
; COMPUTE_PGM_RSRC2:TIDIG_COMP_CNT: 1
	.section	.text._ZL30rocblas_trmm_outofplace_kernelIdLi32ELi2ELb0ELb1ELb1ELb1EPKdS0_dEv17rocblas_diagonal_iiT6_lPT7_lllS5_lllPT8_llli,"axG",@progbits,_ZL30rocblas_trmm_outofplace_kernelIdLi32ELi2ELb0ELb1ELb1ELb1EPKdS0_dEv17rocblas_diagonal_iiT6_lPT7_lllS5_lllPT8_llli,comdat
	.globl	_ZL30rocblas_trmm_outofplace_kernelIdLi32ELi2ELb0ELb1ELb1ELb1EPKdS0_dEv17rocblas_diagonal_iiT6_lPT7_lllS5_lllPT8_llli ; -- Begin function _ZL30rocblas_trmm_outofplace_kernelIdLi32ELi2ELb0ELb1ELb1ELb1EPKdS0_dEv17rocblas_diagonal_iiT6_lPT7_lllS5_lllPT8_llli
	.p2align	8
	.type	_ZL30rocblas_trmm_outofplace_kernelIdLi32ELi2ELb0ELb1ELb1ELb1EPKdS0_dEv17rocblas_diagonal_iiT6_lPT7_lllS5_lllPT8_llli,@function
_ZL30rocblas_trmm_outofplace_kernelIdLi32ELi2ELb0ELb1ELb1ELb1EPKdS0_dEv17rocblas_diagonal_iiT6_lPT7_lllS5_lllPT8_llli: ; @_ZL30rocblas_trmm_outofplace_kernelIdLi32ELi2ELb0ELb1ELb1ELb1EPKdS0_dEv17rocblas_diagonal_iiT6_lPT7_lllS5_lllPT8_llli
; %bb.0:
	s_load_b32 s11, s[0:1], 0x80
	s_bfe_u32 s2, ttmp6, 0x40014
	s_lshr_b32 s3, ttmp7, 16
	s_add_co_i32 s2, s2, 1
	s_bfe_u32 s5, ttmp6, 0x40008
	s_mul_i32 s4, s3, s2
	s_getreg_b32 s2, hwreg(HW_REG_IB_STS2, 6, 4)
	s_add_co_i32 s5, s5, s4
	s_cmp_eq_u32 s2, 0
	s_mov_b32 s35, 0
	s_cselect_b32 s34, s3, s5
	s_wait_kmcnt 0x0
	s_cmp_ge_u32 s34, s11
	s_cbranch_scc1 .LBB58_56
; %bb.1:
	s_clause 0x3
	s_load_b96 s[8:10], s[0:1], 0x0
	s_load_b512 s[12:27], s[0:1], 0x10
	s_load_b128 s[28:31], s[0:1], 0x70
	s_load_b256 s[36:43], s[0:1], 0x50
	s_bfe_u32 s4, ttmp6, 0x4000c
	s_bfe_u32 s6, ttmp6, 0x40010
	s_add_co_i32 s4, s4, 1
	s_and_b32 s3, ttmp6, 15
	s_and_b32 s5, ttmp7, 0xffff
	s_add_nc_u64 s[44:45], s[0:1], 0x88
	s_add_co_i32 s6, s6, 1
	s_wait_xcnt 0x0
	s_mul_i32 s0, ttmp9, s4
	s_bfe_u32 s7, ttmp6, 0x40004
	s_mul_i32 s1, s5, s6
	s_add_co_i32 s3, s3, s0
	s_add_co_i32 s7, s7, s1
	v_bfe_u32 v58, v0, 10, 10
	v_and_b32_e32 v6, 0x3ff, v0
	v_mov_b64_e32 v[8:9], 0
	v_mov_b64_e32 v[10:11], 1.0
	s_wait_kmcnt 0x0
	s_add_co_i32 s0, s10, -1
	v_lshlrev_b32_e32 v59, 8, v58
	s_ashr_i32 s1, s0, 31
	v_lshlrev_b32_e32 v0, 3, v6
	s_lshr_b32 s1, s1, 27
	s_delay_alu instid0(SALU_CYCLE_1)
	s_add_co_i32 s4, s0, s1
	s_lshl_b64 s[0:1], s[42:43], 3
	s_ashr_i32 s33, s4, 5
	s_cmp_eq_u32 s2, 0
	v_add_nc_u32_e32 v60, v59, v0
	s_cselect_b32 s2, ttmp9, s3
	v_or_b32_e32 v61, 0x2000, v0
	v_lshl_add_u32 v0, s2, 5, v6
	s_cselect_b32 s56, s5, s7
	s_mov_b32 s2, s9
	s_cmp_le_i32 s56, s33
	s_add_nc_u64 s[40:41], s[40:41], s[0:1]
	v_ashrrev_i32_e32 v1, 31, v0
	s_cselect_b32 s57, -1, 0
	s_cmp_eq_u32 s8, 0x84
	v_add_nc_u32_e32 v2, 16, v0
	s_cselect_b32 s58, -1, 0
	s_ashr_i32 s3, s9, 31
	s_lshl_b64 s[4:5], s[26:27], 3
	v_sub_nc_u64_e32 v[4:5], s[2:3], v[0:1]
	s_lshl_b32 s6, s56, 5
	s_add_nc_u64 s[4:5], s[24:25], s[4:5]
	v_add_nc_u32_e32 v62, v61, v59
	v_cmp_gt_i32_e64 s0, s9, v0
	v_cmp_gt_i32_e64 s3, s9, v2
	v_ashrrev_i32_e32 v3, 31, v2
	v_cmp_gt_i64_e64 s1, 1, v[4:5]
	v_cmp_gt_i64_e64 s2, 17, v[4:5]
	v_add_nc_u32_e32 v63, s6, v6
	v_add_nc_u32_e32 v64, s6, v58
	v_lshl_add_u64 v[4:5], v[0:1], 3, s[4:5]
	v_dual_mov_b32 v6, 0 :: v_dual_add_nc_u32 v65, 0x800, v61
	v_add_nc_u32_e32 v66, 0x1000, v61
	v_add_nc_u32_e32 v67, 0x1800, v61
	s_mov_b32 s42, s10
	s_ashr_i32 s43, s10, 31
	s_lshl_b64 s[4:5], s[18:19], 3
	s_lshl_b64 s[46:47], s[20:21], 8
	;; [unrolled: 1-line block ×3, first 2 shown]
	s_add_nc_u64 s[50:51], s[42:43], -16
	s_lshl_b64 s[24:25], s[36:37], 3
	s_lshl_b64 s[26:27], s[38:39], 3
	s_add_nc_u64 s[16:17], s[16:17], s[4:5]
	s_lshl_b64 s[18:19], s[22:23], 3
	s_lshl_b64 s[22:23], s[20:21], 3
	s_branch .LBB58_4
.LBB58_2:                               ;   in Loop: Header=BB58_4 Depth=1
	s_add_co_i32 s34, s34, 0x10000
	s_delay_alu instid0(SALU_CYCLE_1)
	s_cmp_ge_u32 s34, s11
	s_cselect_b32 s4, -1, 0
.LBB58_3:                               ;   in Loop: Header=BB58_4 Depth=1
	s_delay_alu instid0(SALU_CYCLE_1)
	s_and_b32 vcc_lo, exec_lo, s4
	s_cbranch_vccnz .LBB58_56
.LBB58_4:                               ; =>This Loop Header: Depth=1
                                        ;     Child Loop BB58_8 Depth 2
                                        ;       Child Loop BB58_11 Depth 3
	s_mul_u64 s[4:5], s[14:15], s[34:35]
	s_delay_alu instid0(SALU_CYCLE_1) | instskip(NEXT) | instid1(SALU_CYCLE_1)
	s_lshl_b64 s[4:5], s[4:5], 3
	s_add_nc_u64 s[4:5], s[12:13], s[4:5]
	global_load_b64 v[12:13], v6, s[4:5]
	s_wait_xcnt 0x0
	s_mov_b32 s4, -1
	s_wait_loadcnt 0x0
	v_cmp_eq_f64_e32 vcc_lo, 0, v[12:13]
	s_cbranch_vccnz .LBB58_3
; %bb.5:                                ;   in Loop: Header=BB58_4 Depth=1
	s_and_not1_b32 vcc_lo, exec_lo, s57
	s_cbranch_vccnz .LBB58_2
; %bb.6:                                ;   in Loop: Header=BB58_4 Depth=1
	s_load_b32 s59, s[44:45], 0x4
	v_mad_nc_u64_u32 v[14:15], s26, s34, v[4:5]
	s_mul_u64 s[6:7], s[30:31], s[34:35]
	v_dual_mov_b32 v16, v64 :: v_dual_mov_b32 v18, v63
	s_mul_u64 s[4:5], s[18:19], s[34:35]
	s_lshl_b64 s[6:7], s[6:7], 3
	s_add_nc_u64 s[38:39], s[16:17], s[4:5]
	s_add_nc_u64 s[52:53], s[40:41], s[6:7]
	s_mov_b32 s61, s56
	s_delay_alu instid0(VALU_DEP_2)
	v_mad_u32 v15, s27, s34, v15
	s_wait_kmcnt 0x0
	s_lshl_b32 s60, s59, 5
	s_branch .LBB58_8
.LBB58_7:                               ;   in Loop: Header=BB58_8 Depth=2
	s_wait_xcnt 0x0
	s_or_b32 exec_lo, exec_lo, s4
	v_dual_add_nc_u32 v18, s60, v18 :: v_dual_add_nc_u32 v16, s60, v16
	s_add_co_i32 s61, s59, s61
	s_delay_alu instid0(SALU_CYCLE_1)
	s_cmp_gt_i32 s61, s33
	s_cbranch_scc1 .LBB58_2
.LBB58_8:                               ;   Parent Loop BB58_4 Depth=1
                                        ; =>  This Loop Header: Depth=2
                                        ;       Child Loop BB58_11 Depth 3
	s_lshl_b32 s4, s61, 5
	s_delay_alu instid0(SALU_CYCLE_1) | instskip(SKIP_2) | instid1(SALU_CYCLE_1)
	v_dual_ashrrev_i32 v17, 31, v16 :: v_dual_add_nc_u32 v20, s4, v58
	v_ashrrev_i32_e32 v19, 31, v18
	s_sub_co_i32 s62, s10, s4
	s_cmp_lt_i32 s62, 1
	s_delay_alu instid0(VALU_DEP_2)
	v_ashrrev_i32_e32 v21, 31, v20
	s_cbranch_scc1 .LBB58_47
; %bb.9:                                ;   in Loop: Header=BB58_8 Depth=2
	v_lshlrev_b64_e32 v[26:27], 3, v[16:17]
	v_lshl_add_u64 v[24:25], v[18:19], 3, 0x80
	v_mad_nc_u64_u32 v[30:31], s24, v16, 0x80
	v_mad_nc_u64_u32 v[34:35], s22, v18, s[38:39]
	v_sub_nc_u64_e32 v[42:43], v[16:17], v[18:19]
	v_add_nc_u64_e32 v[40:41], 16, v[20:21]
	v_mad_nc_u64_u32 v[36:37], s20, v24, s[38:39]
	v_add_nc_u64_e32 v[22:23], 0x80, v[26:27]
	v_mov_b64_e32 v[32:33], 0
	v_mov_b64_e32 v[48:49], v[14:15]
	v_cmp_le_i32_e64 s4, s10, v20
	v_add_nc_u64_e32 v[44:45], 16, v[42:43]
	v_add_nc_u64_e32 v[46:47], -16, v[42:43]
	v_mad_u32 v7, s25, v16, v31
	v_mad_nc_u64_u32 v[38:39], s36, v22, 0x80
	v_mad_u32 v28, s23, v18, v35
	s_mov_b64 s[54:55], 0
	v_mad_u32 v24, s21, v24, v37
	v_cmp_le_i64_e32 vcc_lo, s[42:43], v[40:41]
	v_mad_u32 v31, s24, v17, v7
	v_mad_u32 v22, s37, v22, v39
	;; [unrolled: 1-line block ×3, first 2 shown]
	v_mov_b64_e32 v[28:29], 0
	v_mad_u32 v37, s20, v25, v24
	v_mov_b64_e32 v[24:25], 0
	v_mad_u32 v39, s36, v23, v22
	v_mov_b64_e32 v[22:23], 0
	s_branch .LBB58_11
.LBB58_10:                              ;   in Loop: Header=BB58_11 Depth=3
	s_or_b32 exec_lo, exec_lo, s5
	s_wait_dscnt 0x0
	s_barrier_signal -1
	s_barrier_wait -1
	ds_load_b128 v[50:53], v59
	ds_load_2addr_b64 v[54:57], v61 offset1:16
	ds_load_b128 v[68:71], v59 offset:4096
	ds_load_b128 v[72:75], v59 offset:16
	;; [unrolled: 1-line block ×3, first 2 shown]
	v_add_nc_u64_e32 v[48:49], s[48:49], v[48:49]
	v_add_nc_u64_e32 v[36:37], s[46:47], v[36:37]
	v_add_nc_u64_e32 v[34:35], s[46:47], v[34:35]
	s_add_nc_u64 s[54:55], s[54:55], 32
	s_delay_alu instid0(SALU_CYCLE_1)
	s_cmp_ge_i32 s54, s62
	s_wait_dscnt 0x3
	v_fmac_f64_e32 v[32:33], v[54:55], v[50:51]
	v_fmac_f64_e32 v[28:29], v[56:57], v[50:51]
	s_wait_dscnt 0x2
	v_fmac_f64_e32 v[24:25], v[54:55], v[68:69]
	v_fmac_f64_e32 v[22:23], v[56:57], v[68:69]
	ds_load_2addr_b64 v[54:57], v61 offset0:32 offset1:48
	s_wait_dscnt 0x0
	v_fmac_f64_e32 v[32:33], v[54:55], v[52:53]
	v_fmac_f64_e32 v[28:29], v[56:57], v[52:53]
	v_fmac_f64_e32 v[24:25], v[54:55], v[70:71]
	v_fmac_f64_e32 v[22:23], v[56:57], v[70:71]
	ds_load_2addr_b64 v[50:53], v61 offset0:64 offset1:80
	s_wait_dscnt 0x0
	v_fmac_f64_e32 v[32:33], v[50:51], v[72:73]
	v_fmac_f64_e32 v[28:29], v[52:53], v[72:73]
	v_fmac_f64_e32 v[24:25], v[50:51], v[76:77]
	v_fmac_f64_e32 v[22:23], v[52:53], v[76:77]
	ds_load_2addr_b64 v[50:53], v61 offset0:96 offset1:112
	s_wait_dscnt 0x0
	v_fmac_f64_e32 v[32:33], v[50:51], v[74:75]
	v_fmac_f64_e32 v[28:29], v[52:53], v[74:75]
	v_fmac_f64_e32 v[24:25], v[50:51], v[78:79]
	v_fmac_f64_e32 v[22:23], v[52:53], v[78:79]
	ds_load_b128 v[50:53], v59 offset:32
	ds_load_2addr_b64 v[54:57], v61 offset0:128 offset1:144
	ds_load_b128 v[68:71], v59 offset:4128
	ds_load_b128 v[72:75], v59 offset:48
	ds_load_b128 v[76:79], v59 offset:4144
	s_wait_dscnt 0x3
	v_fmac_f64_e32 v[32:33], v[54:55], v[50:51]
	v_fmac_f64_e32 v[28:29], v[56:57], v[50:51]
	s_wait_dscnt 0x2
	v_fmac_f64_e32 v[24:25], v[54:55], v[68:69]
	v_fmac_f64_e32 v[22:23], v[56:57], v[68:69]
	ds_load_2addr_b64 v[54:57], v61 offset0:160 offset1:176
	s_wait_dscnt 0x0
	v_fmac_f64_e32 v[32:33], v[54:55], v[52:53]
	v_fmac_f64_e32 v[28:29], v[56:57], v[52:53]
	v_fmac_f64_e32 v[24:25], v[54:55], v[70:71]
	v_fmac_f64_e32 v[22:23], v[56:57], v[70:71]
	ds_load_2addr_b64 v[50:53], v61 offset0:192 offset1:208
	s_wait_dscnt 0x0
	v_fmac_f64_e32 v[32:33], v[50:51], v[72:73]
	v_fmac_f64_e32 v[28:29], v[52:53], v[72:73]
	v_fmac_f64_e32 v[24:25], v[50:51], v[76:77]
	v_fmac_f64_e32 v[22:23], v[52:53], v[76:77]
	ds_load_2addr_b64 v[50:53], v61 offset0:224 offset1:240
	s_wait_dscnt 0x0
	v_fmac_f64_e32 v[32:33], v[50:51], v[74:75]
	v_fmac_f64_e32 v[28:29], v[52:53], v[74:75]
	v_fmac_f64_e32 v[24:25], v[50:51], v[78:79]
	v_fmac_f64_e32 v[22:23], v[52:53], v[78:79]
	ds_load_b128 v[50:53], v59 offset:64
	ds_load_2addr_b64 v[54:57], v65 offset1:16
	ds_load_b128 v[68:71], v59 offset:4160
	ds_load_b128 v[72:75], v59 offset:80
	ds_load_b128 v[76:79], v59 offset:4176
	s_wait_dscnt 0x3
	v_fmac_f64_e32 v[32:33], v[54:55], v[50:51]
	v_fmac_f64_e32 v[28:29], v[56:57], v[50:51]
	s_wait_dscnt 0x2
	v_fmac_f64_e32 v[24:25], v[54:55], v[68:69]
	v_fmac_f64_e32 v[22:23], v[56:57], v[68:69]
	ds_load_2addr_b64 v[54:57], v65 offset0:32 offset1:48
	s_wait_dscnt 0x0
	v_fmac_f64_e32 v[32:33], v[54:55], v[52:53]
	v_fmac_f64_e32 v[28:29], v[56:57], v[52:53]
	v_fmac_f64_e32 v[24:25], v[54:55], v[70:71]
	v_fmac_f64_e32 v[22:23], v[56:57], v[70:71]
	ds_load_2addr_b64 v[50:53], v65 offset0:64 offset1:80
	s_wait_dscnt 0x0
	v_fmac_f64_e32 v[32:33], v[50:51], v[72:73]
	v_fmac_f64_e32 v[28:29], v[52:53], v[72:73]
	v_fmac_f64_e32 v[24:25], v[50:51], v[76:77]
	v_fmac_f64_e32 v[22:23], v[52:53], v[76:77]
	ds_load_2addr_b64 v[50:53], v65 offset0:96 offset1:112
	s_wait_dscnt 0x0
	v_fmac_f64_e32 v[32:33], v[50:51], v[74:75]
	v_fmac_f64_e32 v[28:29], v[52:53], v[74:75]
	v_fmac_f64_e32 v[24:25], v[50:51], v[78:79]
	v_fmac_f64_e32 v[22:23], v[52:53], v[78:79]
	ds_load_b128 v[50:53], v59 offset:96
	ds_load_2addr_b64 v[54:57], v65 offset0:128 offset1:144
	ds_load_b128 v[68:71], v59 offset:4192
	ds_load_b128 v[72:75], v59 offset:112
	ds_load_b128 v[76:79], v59 offset:4208
	s_wait_dscnt 0x3
	v_fmac_f64_e32 v[32:33], v[54:55], v[50:51]
	v_fmac_f64_e32 v[28:29], v[56:57], v[50:51]
	s_wait_dscnt 0x2
	v_fmac_f64_e32 v[24:25], v[54:55], v[68:69]
	v_fmac_f64_e32 v[22:23], v[56:57], v[68:69]
	ds_load_2addr_b64 v[54:57], v65 offset0:160 offset1:176
	s_wait_dscnt 0x0
	v_fmac_f64_e32 v[32:33], v[54:55], v[52:53]
	v_fmac_f64_e32 v[28:29], v[56:57], v[52:53]
	v_fmac_f64_e32 v[24:25], v[54:55], v[70:71]
	v_fmac_f64_e32 v[22:23], v[56:57], v[70:71]
	ds_load_2addr_b64 v[50:53], v65 offset0:192 offset1:208
	s_wait_dscnt 0x0
	v_fmac_f64_e32 v[32:33], v[50:51], v[72:73]
	v_fmac_f64_e32 v[28:29], v[52:53], v[72:73]
	v_fmac_f64_e32 v[24:25], v[50:51], v[76:77]
	v_fmac_f64_e32 v[22:23], v[52:53], v[76:77]
	ds_load_2addr_b64 v[50:53], v65 offset0:224 offset1:240
	s_wait_dscnt 0x0
	v_fmac_f64_e32 v[32:33], v[50:51], v[74:75]
	v_fmac_f64_e32 v[28:29], v[52:53], v[74:75]
	v_fmac_f64_e32 v[24:25], v[50:51], v[78:79]
	v_fmac_f64_e32 v[22:23], v[52:53], v[78:79]
	ds_load_b128 v[50:53], v59 offset:128
	ds_load_2addr_b64 v[54:57], v66 offset1:16
	ds_load_b128 v[68:71], v59 offset:4224
	ds_load_b128 v[72:75], v59 offset:144
	ds_load_b128 v[76:79], v59 offset:4240
	;; [unrolled: 58-line block ×3, first 2 shown]
	s_wait_dscnt 0x3
	v_fmac_f64_e32 v[32:33], v[54:55], v[50:51]
	v_fmac_f64_e32 v[28:29], v[56:57], v[50:51]
	s_wait_dscnt 0x2
	v_fmac_f64_e32 v[24:25], v[54:55], v[68:69]
	v_fmac_f64_e32 v[22:23], v[56:57], v[68:69]
	ds_load_2addr_b64 v[54:57], v67 offset0:32 offset1:48
	s_wait_dscnt 0x0
	v_fmac_f64_e32 v[32:33], v[54:55], v[52:53]
	v_fmac_f64_e32 v[28:29], v[56:57], v[52:53]
	v_fmac_f64_e32 v[24:25], v[54:55], v[70:71]
	v_fmac_f64_e32 v[22:23], v[56:57], v[70:71]
	ds_load_2addr_b64 v[50:53], v67 offset0:64 offset1:80
	s_wait_dscnt 0x0
	v_fmac_f64_e32 v[32:33], v[50:51], v[72:73]
	v_fmac_f64_e32 v[28:29], v[52:53], v[72:73]
	;; [unrolled: 6-line block ×3, first 2 shown]
	v_fmac_f64_e32 v[24:25], v[50:51], v[78:79]
	v_fmac_f64_e32 v[22:23], v[52:53], v[78:79]
	ds_load_b128 v[50:53], v59 offset:224
	ds_load_2addr_b64 v[54:57], v67 offset0:128 offset1:144
	ds_load_b128 v[68:71], v59 offset:4320
	ds_load_b128 v[72:75], v59 offset:240
	;; [unrolled: 1-line block ×3, first 2 shown]
	s_wait_dscnt 0x3
	v_fmac_f64_e32 v[32:33], v[54:55], v[50:51]
	v_fmac_f64_e32 v[28:29], v[56:57], v[50:51]
	s_wait_dscnt 0x2
	v_fmac_f64_e32 v[24:25], v[54:55], v[68:69]
	v_fmac_f64_e32 v[22:23], v[56:57], v[68:69]
	ds_load_2addr_b64 v[54:57], v67 offset0:160 offset1:176
	s_wait_dscnt 0x0
	v_fmac_f64_e32 v[32:33], v[54:55], v[52:53]
	v_fmac_f64_e32 v[28:29], v[56:57], v[52:53]
	;; [unrolled: 1-line block ×4, first 2 shown]
	ds_load_2addr_b64 v[50:53], v67 offset0:192 offset1:208
	s_wait_dscnt 0x0
	v_fmac_f64_e32 v[32:33], v[50:51], v[72:73]
	v_fmac_f64_e32 v[28:29], v[52:53], v[72:73]
	;; [unrolled: 1-line block ×4, first 2 shown]
	ds_load_2addr_b64 v[50:53], v67 offset0:224 offset1:240
	s_wait_dscnt 0x0
	s_barrier_signal -1
	s_barrier_wait -1
	v_fmac_f64_e32 v[32:33], v[50:51], v[74:75]
	v_fmac_f64_e32 v[28:29], v[52:53], v[74:75]
	;; [unrolled: 1-line block ×4, first 2 shown]
	s_cbranch_scc1 .LBB58_48
.LBB58_11:                              ;   Parent Loop BB58_4 Depth=1
                                        ;     Parent Loop BB58_8 Depth=2
                                        ; =>    This Inner Loop Header: Depth=3
	v_add_nc_u64_e32 v[52:53], s[54:55], v[18:19]
	v_cmp_eq_u64_e64 s7, s[54:55], v[42:43]
	v_add_nc_u64_e32 v[50:51], v[34:35], v[26:27]
                                        ; implicit-def: $vgpr56_vgpr57
	s_delay_alu instid0(VALU_DEP_3) | instskip(SKIP_3) | instid1(SALU_CYCLE_1)
	v_cmp_lt_i64_e64 s5, v[52:53], v[20:21]
	v_cmp_le_i64_e64 s6, s[42:43], v[52:53]
	s_and_b32 s63, s58, s7
	s_or_b32 s8, s4, s5
	s_or_b32 s7, s6, s8
	s_delay_alu instid0(SALU_CYCLE_1) | instskip(NEXT) | instid1(SALU_CYCLE_1)
	s_nor_b32 s7, s7, s63
	s_and_saveexec_b32 s8, s7
	s_delay_alu instid0(SALU_CYCLE_1)
	s_xor_b32 s7, exec_lo, s8
	s_cbranch_execz .LBB58_13
; %bb.12:                               ;   in Loop: Header=BB58_11 Depth=3
	global_load_b64 v[56:57], v[50:51], off
.LBB58_13:                              ;   in Loop: Header=BB58_11 Depth=3
	s_wait_xcnt 0x0
	s_and_not1_saveexec_b32 s7, s7
	s_cbranch_execz .LBB58_15
; %bb.14:                               ;   in Loop: Header=BB58_11 Depth=3
	v_cndmask_b32_e64 v7, 0, 0x3ff00000, s63
	s_wait_loadcnt 0x0
	s_delay_alu instid0(VALU_DEP_1)
	v_mov_b64_e32 v[56:57], v[6:7]
.LBB58_15:                              ;   in Loop: Header=BB58_11 Depth=3
	s_or_b32 exec_lo, exec_lo, s7
	v_add_nc_u64_e32 v[54:55], 16, v[52:53]
	v_cmp_eq_u64_e64 s9, s[54:55], v[46:47]
	s_wait_loadcnt 0x0
	ds_store_b64 v60, v[56:57]
	v_cmp_lt_i64_e64 s8, v[54:55], v[20:21]
	v_cmp_le_i64_e64 s7, s[42:43], v[54:55]
	v_add_nc_u64_e32 v[54:55], v[36:37], v[26:27]
	s_and_b32 s9, s58, s9
	s_or_b32 s8, s4, s8
	s_delay_alu instid0(SALU_CYCLE_1) | instskip(NEXT) | instid1(SALU_CYCLE_1)
	s_or_b32 s8, s7, s8
	s_nor_b32 s8, s8, s9
	s_delay_alu instid0(SALU_CYCLE_1) | instskip(NEXT) | instid1(SALU_CYCLE_1)
	s_and_saveexec_b32 s64, s8
	s_xor_b32 s8, exec_lo, s64
	s_cbranch_execz .LBB58_17
; %bb.16:                               ;   in Loop: Header=BB58_11 Depth=3
	global_load_b64 v[56:57], v[54:55], off
	s_wait_loadcnt 0x0
	ds_store_b64 v60, v[56:57] offset:128
.LBB58_17:                              ;   in Loop: Header=BB58_11 Depth=3
	s_wait_xcnt 0x0
	s_and_not1_saveexec_b32 s8, s8
	s_cbranch_execz .LBB58_23
; %bb.18:                               ;   in Loop: Header=BB58_11 Depth=3
	s_xor_b32 s9, s9, -1
	s_delay_alu instid0(SALU_CYCLE_1) | instskip(NEXT) | instid1(SALU_CYCLE_1)
	s_and_saveexec_b32 s64, s9
	s_xor_b32 s9, exec_lo, s64
; %bb.19:                               ;   in Loop: Header=BB58_11 Depth=3
	ds_store_b64 v60, v[8:9] offset:128
; %bb.20:                               ;   in Loop: Header=BB58_11 Depth=3
	s_and_not1_saveexec_b32 s9, s9
; %bb.21:                               ;   in Loop: Header=BB58_11 Depth=3
	ds_store_b64 v60, v[10:11] offset:128
; %bb.22:                               ;   in Loop: Header=BB58_11 Depth=3
	s_or_b32 exec_lo, exec_lo, s9
.LBB58_23:                              ;   in Loop: Header=BB58_11 Depth=3
	s_delay_alu instid0(SALU_CYCLE_1) | instskip(SKIP_4) | instid1(SALU_CYCLE_1)
	s_or_b32 exec_lo, exec_lo, s8
	v_cmp_eq_u64_e64 s8, s[54:55], v[44:45]
	v_cmp_lt_i64_e64 s9, v[52:53], v[40:41]
                                        ; implicit-def: $vgpr52_vgpr53
	s_and_b32 s8, s58, s8
	s_or_b32 s9, vcc_lo, s9
	s_or_b32 s9, s9, s8
	s_delay_alu instid0(SALU_CYCLE_1) | instskip(NEXT) | instid1(SALU_CYCLE_1)
	s_nor_b32 s6, s6, s9
	s_and_saveexec_b32 s9, s6
	s_delay_alu instid0(SALU_CYCLE_1)
	s_xor_b32 s6, exec_lo, s9
	s_cbranch_execz .LBB58_25
; %bb.24:                               ;   in Loop: Header=BB58_11 Depth=3
	global_load_b64 v[52:53], v[50:51], off offset:128
.LBB58_25:                              ;   in Loop: Header=BB58_11 Depth=3
	s_wait_xcnt 0x0
	s_and_not1_saveexec_b32 s6, s6
	s_cbranch_execz .LBB58_27
; %bb.26:                               ;   in Loop: Header=BB58_11 Depth=3
	v_cndmask_b32_e64 v7, 0, 0x3ff00000, s8
	s_wait_loadcnt 0x0
	s_delay_alu instid0(VALU_DEP_1)
	v_mov_b64_e32 v[52:53], v[6:7]
.LBB58_27:                              ;   in Loop: Header=BB58_11 Depth=3
	s_or_b32 exec_lo, exec_lo, s6
	s_or_b32 s5, vcc_lo, s5
	s_wait_loadcnt 0x0
	ds_store_b64 v60, v[52:53] offset:4096
	s_or_b32 s5, s7, s5
	s_delay_alu instid0(SALU_CYCLE_1) | instskip(NEXT) | instid1(SALU_CYCLE_1)
	s_nor_b32 s5, s5, s63
	s_and_saveexec_b32 s6, s5
	s_delay_alu instid0(SALU_CYCLE_1)
	s_xor_b32 s5, exec_lo, s6
	s_cbranch_execz .LBB58_29
; %bb.28:                               ;   in Loop: Header=BB58_11 Depth=3
	global_load_b64 v[50:51], v[54:55], off offset:128
	s_wait_loadcnt 0x0
	ds_store_b64 v60, v[50:51] offset:4224
.LBB58_29:                              ;   in Loop: Header=BB58_11 Depth=3
	s_wait_xcnt 0x0
	s_and_not1_saveexec_b32 s5, s5
	s_cbranch_execz .LBB58_35
; %bb.30:                               ;   in Loop: Header=BB58_11 Depth=3
	s_xor_b32 s6, s63, -1
	s_delay_alu instid0(SALU_CYCLE_1) | instskip(NEXT) | instid1(SALU_CYCLE_1)
	s_and_saveexec_b32 s7, s6
	s_xor_b32 s6, exec_lo, s7
; %bb.31:                               ;   in Loop: Header=BB58_11 Depth=3
	ds_store_b64 v60, v[8:9] offset:4224
; %bb.32:                               ;   in Loop: Header=BB58_11 Depth=3
	s_and_not1_saveexec_b32 s6, s6
; %bb.33:                               ;   in Loop: Header=BB58_11 Depth=3
	ds_store_b64 v60, v[10:11] offset:4224
; %bb.34:                               ;   in Loop: Header=BB58_11 Depth=3
	s_or_b32 exec_lo, exec_lo, s6
.LBB58_35:                              ;   in Loop: Header=BB58_11 Depth=3
	s_delay_alu instid0(SALU_CYCLE_1) | instskip(SKIP_3) | instid1(VALU_DEP_3)
	s_or_b32 exec_lo, exec_lo, s5
	v_add_nc_u64_e32 v[50:51], s[54:55], v[16:17]
	v_add_nc_u64_e32 v[52:53], v[48:49], v[30:31]
	v_mov_b64_e32 v[54:55], 0
	v_cmp_le_i64_e64 s5, s[42:43], v[50:51]
	s_nor_b32 s7, s5, s1
	s_delay_alu instid0(SALU_CYCLE_1)
	s_and_saveexec_b32 s6, s7
	s_cbranch_execz .LBB58_37
; %bb.36:                               ;   in Loop: Header=BB58_11 Depth=3
	global_load_b64 v[54:55], v[52:53], off offset:-128
.LBB58_37:                              ;   in Loop: Header=BB58_11 Depth=3
	s_wait_xcnt 0x0
	s_or_b32 exec_lo, exec_lo, s6
	s_nor_b32 s5, s5, s2
	s_wait_loadcnt 0x0
	ds_store_b64 v62, v[54:55]
	s_and_saveexec_b32 s6, s5
	s_delay_alu instid0(SALU_CYCLE_1)
	s_xor_b32 s5, exec_lo, s6
	s_cbranch_execz .LBB58_39
; %bb.38:                               ;   in Loop: Header=BB58_11 Depth=3
	global_load_b64 v[52:53], v[52:53], off
	s_wait_loadcnt 0x0
	ds_store_b64 v62, v[52:53] offset:128
.LBB58_39:                              ;   in Loop: Header=BB58_11 Depth=3
	s_wait_xcnt 0x0
	s_and_not1_saveexec_b32 s5, s5
; %bb.40:                               ;   in Loop: Header=BB58_11 Depth=3
	ds_store_b64 v62, v[8:9] offset:128
; %bb.41:                               ;   in Loop: Header=BB58_11 Depth=3
	s_or_b32 exec_lo, exec_lo, s5
	v_cmp_le_i64_e64 s5, s[50:51], v[50:51]
	v_add_nc_u64_e32 v[50:51], v[48:49], v[38:39]
	v_mov_b64_e32 v[52:53], 0
	s_nor_b32 s7, s5, s1
	s_delay_alu instid0(SALU_CYCLE_1)
	s_and_saveexec_b32 s6, s7
	s_cbranch_execz .LBB58_43
; %bb.42:                               ;   in Loop: Header=BB58_11 Depth=3
	global_load_b64 v[52:53], v[50:51], off offset:-128
.LBB58_43:                              ;   in Loop: Header=BB58_11 Depth=3
	s_wait_xcnt 0x0
	s_or_b32 exec_lo, exec_lo, s6
	s_nor_b32 s5, s5, s2
	s_wait_loadcnt 0x0
	ds_store_b64 v62, v[52:53] offset:4096
	s_and_saveexec_b32 s6, s5
	s_delay_alu instid0(SALU_CYCLE_1)
	s_xor_b32 s5, exec_lo, s6
	s_cbranch_execz .LBB58_45
; %bb.44:                               ;   in Loop: Header=BB58_11 Depth=3
	global_load_b64 v[50:51], v[50:51], off
	s_wait_loadcnt 0x0
	ds_store_b64 v62, v[50:51] offset:4224
.LBB58_45:                              ;   in Loop: Header=BB58_11 Depth=3
	s_wait_xcnt 0x0
	s_and_not1_saveexec_b32 s5, s5
	s_cbranch_execz .LBB58_10
; %bb.46:                               ;   in Loop: Header=BB58_11 Depth=3
	ds_store_b64 v62, v[8:9] offset:4224
	s_branch .LBB58_10
.LBB58_47:                              ;   in Loop: Header=BB58_8 Depth=2
	v_mov_b64_e32 v[32:33], 0
	v_mov_b64_e32 v[28:29], 0
	;; [unrolled: 1-line block ×4, first 2 shown]
.LBB58_48:                              ;   in Loop: Header=BB58_8 Depth=2
	v_mul_u64_e32 v[26:27], s[28:29], v[20:21]
	v_cmp_gt_i32_e32 vcc_lo, s10, v20
	s_and_b32 s5, s0, vcc_lo
	s_delay_alu instid0(VALU_DEP_2)
	v_lshl_add_u64 v[26:27], v[26:27], 3, s[52:53]
	s_and_saveexec_b32 s4, s5
	s_cbranch_execz .LBB58_50
; %bb.49:                               ;   in Loop: Header=BB58_8 Depth=2
	s_delay_alu instid0(VALU_DEP_1)
	v_lshl_add_u64 v[30:31], v[0:1], 3, v[26:27]
	global_load_b64 v[34:35], v[30:31], off
	s_wait_loadcnt 0x0
	v_fmac_f64_e32 v[34:35], v[12:13], v[32:33]
	global_store_b64 v[30:31], v[34:35], off
.LBB58_50:                              ;   in Loop: Header=BB58_8 Depth=2
	s_wait_xcnt 0x0
	s_or_b32 exec_lo, exec_lo, s4
	s_and_b32 s5, s3, vcc_lo
	s_delay_alu instid0(SALU_CYCLE_1)
	s_and_saveexec_b32 s4, s5
	s_cbranch_execz .LBB58_52
; %bb.51:                               ;   in Loop: Header=BB58_8 Depth=2
	v_lshl_add_u64 v[26:27], v[2:3], 3, v[26:27]
	global_load_b64 v[30:31], v[26:27], off
	s_wait_loadcnt 0x0
	v_fmac_f64_e32 v[30:31], v[12:13], v[28:29]
	global_store_b64 v[26:27], v[30:31], off
.LBB58_52:                              ;   in Loop: Header=BB58_8 Depth=2
	s_wait_xcnt 0x0
	s_or_b32 exec_lo, exec_lo, s4
	v_add_nc_u32_e32 v20, 16, v20
	s_delay_alu instid0(VALU_DEP_1) | instskip(SKIP_1) | instid1(VALU_DEP_2)
	v_ashrrev_i32_e32 v21, 31, v20
	v_cmp_gt_i32_e32 vcc_lo, s10, v20
	v_mul_u64_e32 v[26:27], s[28:29], v[20:21]
	s_and_b32 s5, s0, vcc_lo
	s_delay_alu instid0(VALU_DEP_1)
	v_lshl_add_u64 v[20:21], v[26:27], 3, s[52:53]
	s_and_saveexec_b32 s4, s5
	s_cbranch_execz .LBB58_54
; %bb.53:                               ;   in Loop: Header=BB58_8 Depth=2
	s_delay_alu instid0(VALU_DEP_1)
	v_lshl_add_u64 v[26:27], v[0:1], 3, v[20:21]
	global_load_b64 v[28:29], v[26:27], off
	s_wait_loadcnt 0x0
	v_fmac_f64_e32 v[28:29], v[12:13], v[24:25]
	global_store_b64 v[26:27], v[28:29], off
.LBB58_54:                              ;   in Loop: Header=BB58_8 Depth=2
	s_wait_xcnt 0x0
	s_or_b32 exec_lo, exec_lo, s4
	s_and_b32 s5, s3, vcc_lo
	s_delay_alu instid0(SALU_CYCLE_1)
	s_and_saveexec_b32 s4, s5
	s_cbranch_execz .LBB58_7
; %bb.55:                               ;   in Loop: Header=BB58_8 Depth=2
	v_lshl_add_u64 v[20:21], v[2:3], 3, v[20:21]
	global_load_b64 v[24:25], v[20:21], off
	s_wait_loadcnt 0x0
	v_fmac_f64_e32 v[24:25], v[12:13], v[22:23]
	global_store_b64 v[20:21], v[24:25], off
	s_branch .LBB58_7
.LBB58_56:
	s_sendmsg sendmsg(MSG_DEALLOC_VGPRS)
	s_endpgm
	.section	.rodata,"a",@progbits
	.p2align	6, 0x0
	.amdhsa_kernel _ZL30rocblas_trmm_outofplace_kernelIdLi32ELi2ELb0ELb1ELb1ELb1EPKdS0_dEv17rocblas_diagonal_iiT6_lPT7_lllS5_lllPT8_llli
		.amdhsa_group_segment_fixed_size 16384
		.amdhsa_private_segment_fixed_size 0
		.amdhsa_kernarg_size 392
		.amdhsa_user_sgpr_count 2
		.amdhsa_user_sgpr_dispatch_ptr 0
		.amdhsa_user_sgpr_queue_ptr 0
		.amdhsa_user_sgpr_kernarg_segment_ptr 1
		.amdhsa_user_sgpr_dispatch_id 0
		.amdhsa_user_sgpr_kernarg_preload_length 0
		.amdhsa_user_sgpr_kernarg_preload_offset 0
		.amdhsa_user_sgpr_private_segment_size 0
		.amdhsa_wavefront_size32 1
		.amdhsa_uses_dynamic_stack 0
		.amdhsa_enable_private_segment 0
		.amdhsa_system_sgpr_workgroup_id_x 1
		.amdhsa_system_sgpr_workgroup_id_y 1
		.amdhsa_system_sgpr_workgroup_id_z 1
		.amdhsa_system_sgpr_workgroup_info 0
		.amdhsa_system_vgpr_workitem_id 1
		.amdhsa_next_free_vgpr 80
		.amdhsa_next_free_sgpr 65
		.amdhsa_named_barrier_count 0
		.amdhsa_reserve_vcc 1
		.amdhsa_float_round_mode_32 0
		.amdhsa_float_round_mode_16_64 0
		.amdhsa_float_denorm_mode_32 3
		.amdhsa_float_denorm_mode_16_64 3
		.amdhsa_fp16_overflow 0
		.amdhsa_memory_ordered 1
		.amdhsa_forward_progress 1
		.amdhsa_inst_pref_size 26
		.amdhsa_round_robin_scheduling 0
		.amdhsa_exception_fp_ieee_invalid_op 0
		.amdhsa_exception_fp_denorm_src 0
		.amdhsa_exception_fp_ieee_div_zero 0
		.amdhsa_exception_fp_ieee_overflow 0
		.amdhsa_exception_fp_ieee_underflow 0
		.amdhsa_exception_fp_ieee_inexact 0
		.amdhsa_exception_int_div_zero 0
	.end_amdhsa_kernel
	.section	.text._ZL30rocblas_trmm_outofplace_kernelIdLi32ELi2ELb0ELb1ELb1ELb1EPKdS0_dEv17rocblas_diagonal_iiT6_lPT7_lllS5_lllPT8_llli,"axG",@progbits,_ZL30rocblas_trmm_outofplace_kernelIdLi32ELi2ELb0ELb1ELb1ELb1EPKdS0_dEv17rocblas_diagonal_iiT6_lPT7_lllS5_lllPT8_llli,comdat
.Lfunc_end58:
	.size	_ZL30rocblas_trmm_outofplace_kernelIdLi32ELi2ELb0ELb1ELb1ELb1EPKdS0_dEv17rocblas_diagonal_iiT6_lPT7_lllS5_lllPT8_llli, .Lfunc_end58-_ZL30rocblas_trmm_outofplace_kernelIdLi32ELi2ELb0ELb1ELb1ELb1EPKdS0_dEv17rocblas_diagonal_iiT6_lPT7_lllS5_lllPT8_llli
                                        ; -- End function
	.set _ZL30rocblas_trmm_outofplace_kernelIdLi32ELi2ELb0ELb1ELb1ELb1EPKdS0_dEv17rocblas_diagonal_iiT6_lPT7_lllS5_lllPT8_llli.num_vgpr, 80
	.set _ZL30rocblas_trmm_outofplace_kernelIdLi32ELi2ELb0ELb1ELb1ELb1EPKdS0_dEv17rocblas_diagonal_iiT6_lPT7_lllS5_lllPT8_llli.num_agpr, 0
	.set _ZL30rocblas_trmm_outofplace_kernelIdLi32ELi2ELb0ELb1ELb1ELb1EPKdS0_dEv17rocblas_diagonal_iiT6_lPT7_lllS5_lllPT8_llli.numbered_sgpr, 65
	.set _ZL30rocblas_trmm_outofplace_kernelIdLi32ELi2ELb0ELb1ELb1ELb1EPKdS0_dEv17rocblas_diagonal_iiT6_lPT7_lllS5_lllPT8_llli.num_named_barrier, 0
	.set _ZL30rocblas_trmm_outofplace_kernelIdLi32ELi2ELb0ELb1ELb1ELb1EPKdS0_dEv17rocblas_diagonal_iiT6_lPT7_lllS5_lllPT8_llli.private_seg_size, 0
	.set _ZL30rocblas_trmm_outofplace_kernelIdLi32ELi2ELb0ELb1ELb1ELb1EPKdS0_dEv17rocblas_diagonal_iiT6_lPT7_lllS5_lllPT8_llli.uses_vcc, 1
	.set _ZL30rocblas_trmm_outofplace_kernelIdLi32ELi2ELb0ELb1ELb1ELb1EPKdS0_dEv17rocblas_diagonal_iiT6_lPT7_lllS5_lllPT8_llli.uses_flat_scratch, 0
	.set _ZL30rocblas_trmm_outofplace_kernelIdLi32ELi2ELb0ELb1ELb1ELb1EPKdS0_dEv17rocblas_diagonal_iiT6_lPT7_lllS5_lllPT8_llli.has_dyn_sized_stack, 0
	.set _ZL30rocblas_trmm_outofplace_kernelIdLi32ELi2ELb0ELb1ELb1ELb1EPKdS0_dEv17rocblas_diagonal_iiT6_lPT7_lllS5_lllPT8_llli.has_recursion, 0
	.set _ZL30rocblas_trmm_outofplace_kernelIdLi32ELi2ELb0ELb1ELb1ELb1EPKdS0_dEv17rocblas_diagonal_iiT6_lPT7_lllS5_lllPT8_llli.has_indirect_call, 0
	.section	.AMDGPU.csdata,"",@progbits
; Kernel info:
; codeLenInByte = 3236
; TotalNumSgprs: 67
; NumVgprs: 80
; ScratchSize: 0
; MemoryBound: 0
; FloatMode: 240
; IeeeMode: 1
; LDSByteSize: 16384 bytes/workgroup (compile time only)
; SGPRBlocks: 0
; VGPRBlocks: 4
; NumSGPRsForWavesPerEU: 67
; NumVGPRsForWavesPerEU: 80
; NamedBarCnt: 0
; Occupancy: 12
; WaveLimiterHint : 0
; COMPUTE_PGM_RSRC2:SCRATCH_EN: 0
; COMPUTE_PGM_RSRC2:USER_SGPR: 2
; COMPUTE_PGM_RSRC2:TRAP_HANDLER: 0
; COMPUTE_PGM_RSRC2:TGID_X_EN: 1
; COMPUTE_PGM_RSRC2:TGID_Y_EN: 1
; COMPUTE_PGM_RSRC2:TGID_Z_EN: 1
; COMPUTE_PGM_RSRC2:TIDIG_COMP_CNT: 1
	.section	.text._ZL30rocblas_trmm_outofplace_kernelIdLi32ELi2ELb0ELb1ELb1ELb1EdKddEv17rocblas_diagonal_iiT6_lPT7_lllS4_lllPT8_llli,"axG",@progbits,_ZL30rocblas_trmm_outofplace_kernelIdLi32ELi2ELb0ELb1ELb1ELb1EdKddEv17rocblas_diagonal_iiT6_lPT7_lllS4_lllPT8_llli,comdat
	.globl	_ZL30rocblas_trmm_outofplace_kernelIdLi32ELi2ELb0ELb1ELb1ELb1EdKddEv17rocblas_diagonal_iiT6_lPT7_lllS4_lllPT8_llli ; -- Begin function _ZL30rocblas_trmm_outofplace_kernelIdLi32ELi2ELb0ELb1ELb1ELb1EdKddEv17rocblas_diagonal_iiT6_lPT7_lllS4_lllPT8_llli
	.p2align	8
	.type	_ZL30rocblas_trmm_outofplace_kernelIdLi32ELi2ELb0ELb1ELb1ELb1EdKddEv17rocblas_diagonal_iiT6_lPT7_lllS4_lllPT8_llli,@function
_ZL30rocblas_trmm_outofplace_kernelIdLi32ELi2ELb0ELb1ELb1ELb1EdKddEv17rocblas_diagonal_iiT6_lPT7_lllS4_lllPT8_llli: ; @_ZL30rocblas_trmm_outofplace_kernelIdLi32ELi2ELb0ELb1ELb1ELb1EdKddEv17rocblas_diagonal_iiT6_lPT7_lllS4_lllPT8_llli
; %bb.0:
	s_load_b32 s33, s[0:1], 0x80
	s_bfe_u32 s2, ttmp6, 0x40014
	s_lshr_b32 s3, ttmp7, 16
	s_add_co_i32 s2, s2, 1
	s_bfe_u32 s5, ttmp6, 0x40008
	s_mul_i32 s4, s3, s2
	s_getreg_b32 s2, hwreg(HW_REG_IB_STS2, 6, 4)
	s_add_co_i32 s5, s5, s4
	s_cmp_eq_u32 s2, 0
	s_cselect_b32 s34, s3, s5
	s_wait_kmcnt 0x0
	s_cmp_ge_u32 s34, s33
	s_cbranch_scc1 .LBB59_55
; %bb.1:
	s_load_b64 s[40:41], s[0:1], 0x10
	s_wait_kmcnt 0x0
	v_cmp_eq_f64_e64 s3, s[40:41], 0
	s_and_b32 vcc_lo, exec_lo, s3
	s_cbranch_vccnz .LBB59_55
; %bb.2:
	s_clause 0x1
	s_load_b96 s[36:38], s[0:1], 0x0
	s_load_b512 s[8:23], s[0:1], 0x20
	s_bfe_u32 s4, ttmp6, 0x4000c
	s_and_b32 s3, ttmp6, 15
	s_add_co_i32 s4, s4, 1
	s_bfe_u32 s6, ttmp6, 0x40010
	s_add_nc_u64 s[42:43], s[0:1], 0x88
	s_load_b256 s[24:31], s[0:1], 0x60
	s_wait_xcnt 0x0
	s_mul_i32 s0, ttmp9, s4
	s_and_b32 s5, ttmp7, 0xffff
	s_add_co_i32 s6, s6, 1
	s_add_co_i32 s3, s3, s0
	s_bfe_u32 s7, ttmp6, 0x40004
	s_mul_i32 s1, s5, s6
	v_bfe_u32 v56, v0, 10, 10
	v_and_b32_e32 v6, 0x3ff, v0
	s_add_co_i32 s7, s7, s1
	v_mov_b64_e32 v[8:9], 0
	v_mov_b64_e32 v[10:11], 1.0
	s_delay_alu instid0(VALU_DEP_3)
	v_dual_lshlrev_b32 v57, 8, v56 :: v_dual_lshlrev_b32 v0, 3, v6
	s_wait_kmcnt 0x0
	s_add_co_i32 s0, s38, -1
	s_mov_b32 s44, s38
	s_ashr_i32 s4, s0, 31
	s_mov_b32 s35, 0
	s_lshr_b32 s1, s4, 27
	v_or_b32_e32 v58, 0x2000, v0
	s_add_co_i32 s0, s0, s1
	v_add_nc_u32_e32 v59, v57, v0
	s_ashr_i32 s39, s0, 5
	s_cmp_eq_u32 s2, 0
	v_add_nc_u32_e32 v60, v58, v57
	s_cselect_b32 s0, ttmp9, s3
	s_cselect_b32 s54, s5, s7
	v_lshl_add_u32 v0, s0, 5, v6
	s_cmp_le_i32 s54, s39
	s_mov_b32 s0, s37
	s_cselect_b32 s55, -1, 0
	s_cmp_eq_u32 s36, 0x84
	v_dual_ashrrev_i32 v1, 31, v0 :: v_dual_add_nc_u32 v2, 16, v0
	s_cselect_b32 s56, -1, 0
	s_ashr_i32 s1, s37, 31
	s_lshl_b64 s[2:3], s[26:27], 3
	s_delay_alu instid0(VALU_DEP_1)
	v_sub_nc_u64_e32 v[4:5], s[0:1], v[0:1]
	s_lshl_b64 s[4:5], s[18:19], 3
	s_add_nc_u64 s[24:25], s[24:25], s[2:3]
	s_lshl_b32 s6, s54, 5
	s_add_nc_u64 s[4:5], s[16:17], s[4:5]
	v_cmp_gt_i32_e64 s0, s37, v0
	v_cmp_gt_i32_e64 s3, s37, v2
	v_cmp_gt_i64_e64 s1, 1, v[4:5]
	v_cmp_gt_i64_e64 s2, 17, v[4:5]
	v_dual_ashrrev_i32 v3, 31, v2 :: v_dual_add_nc_u32 v62, s6, v56
	v_dual_mov_b32 v6, 0 :: v_dual_add_nc_u32 v61, s6, v6
	v_lshl_add_u64 v[4:5], v[0:1], 3, s[4:5]
	v_add_nc_u32_e32 v63, 0x800, v58
	v_add_nc_u32_e32 v64, 0x1000, v58
	v_add_nc_u32_e32 v65, 0x1800, v58
	s_ashr_i32 s45, s38, 31
	s_lshl_b64 s[4:5], s[10:11], 3
	s_lshl_b64 s[46:47], s[12:13], 8
	;; [unrolled: 1-line block ×3, first 2 shown]
	s_add_nc_u64 s[26:27], s[44:45], -16
	s_lshl_b64 s[16:17], s[20:21], 3
	s_lshl_b64 s[18:19], s[22:23], 3
	s_add_nc_u64 s[10:11], s[8:9], s[4:5]
	s_lshl_b64 s[14:15], s[14:15], 3
	s_lshl_b64 s[22:23], s[12:13], 3
	s_branch .LBB59_4
.LBB59_3:                               ;   in Loop: Header=BB59_4 Depth=1
	s_add_co_i32 s34, s34, 0x10000
	s_delay_alu instid0(SALU_CYCLE_1)
	s_cmp_ge_u32 s34, s33
	s_cbranch_scc1 .LBB59_55
.LBB59_4:                               ; =>This Loop Header: Depth=1
                                        ;     Child Loop BB59_7 Depth 2
                                        ;       Child Loop BB59_10 Depth 3
	s_and_not1_b32 vcc_lo, exec_lo, s55
	s_cbranch_vccnz .LBB59_3
; %bb.5:                                ;   in Loop: Header=BB59_4 Depth=1
	s_load_b32 s57, s[42:43], 0x4
	v_mad_nc_u64_u32 v[12:13], s18, s34, v[4:5]
	s_mul_u64 s[6:7], s[30:31], s[34:35]
	v_dual_mov_b32 v14, v62 :: v_dual_mov_b32 v16, v61
	s_mul_u64 s[4:5], s[14:15], s[34:35]
	s_lshl_b64 s[6:7], s[6:7], 3
	s_add_nc_u64 s[36:37], s[10:11], s[4:5]
	s_add_nc_u64 s[50:51], s[24:25], s[6:7]
	s_mov_b32 s59, s54
	s_delay_alu instid0(VALU_DEP_2)
	v_mad_u32 v13, s19, s34, v13
	s_wait_kmcnt 0x0
	s_lshl_b32 s58, s57, 5
	s_branch .LBB59_7
.LBB59_6:                               ;   in Loop: Header=BB59_7 Depth=2
	s_wait_xcnt 0x0
	s_or_b32 exec_lo, exec_lo, s4
	v_dual_add_nc_u32 v16, s58, v16 :: v_dual_add_nc_u32 v14, s58, v14
	s_add_co_i32 s59, s57, s59
	s_delay_alu instid0(SALU_CYCLE_1)
	s_cmp_gt_i32 s59, s39
	s_cbranch_scc1 .LBB59_3
.LBB59_7:                               ;   Parent Loop BB59_4 Depth=1
                                        ; =>  This Loop Header: Depth=2
                                        ;       Child Loop BB59_10 Depth 3
	s_lshl_b32 s4, s59, 5
	s_delay_alu instid0(SALU_CYCLE_1) | instskip(SKIP_2) | instid1(SALU_CYCLE_1)
	v_dual_ashrrev_i32 v15, 31, v14 :: v_dual_add_nc_u32 v18, s4, v56
	v_ashrrev_i32_e32 v17, 31, v16
	s_sub_co_i32 s60, s38, s4
	s_cmp_lt_i32 s60, 1
	s_delay_alu instid0(VALU_DEP_2)
	v_ashrrev_i32_e32 v19, 31, v18
	s_cbranch_scc1 .LBB59_46
; %bb.8:                                ;   in Loop: Header=BB59_7 Depth=2
	v_lshlrev_b64_e32 v[24:25], 3, v[14:15]
	v_lshl_add_u64 v[22:23], v[16:17], 3, 0x80
	v_mad_nc_u64_u32 v[28:29], s16, v14, 0x80
	v_mad_nc_u64_u32 v[32:33], s22, v16, s[36:37]
	v_sub_nc_u64_e32 v[40:41], v[14:15], v[16:17]
	v_add_nc_u64_e32 v[38:39], 16, v[18:19]
	v_mad_nc_u64_u32 v[34:35], s12, v22, s[36:37]
	v_add_nc_u64_e32 v[20:21], 0x80, v[24:25]
	v_mov_b64_e32 v[30:31], 0
	v_mov_b64_e32 v[46:47], v[12:13]
	v_cmp_le_i32_e64 s4, s38, v18
	v_add_nc_u64_e32 v[42:43], 16, v[40:41]
	v_add_nc_u64_e32 v[44:45], -16, v[40:41]
	v_mad_u32 v7, s17, v14, v29
	v_mad_nc_u64_u32 v[36:37], s20, v20, 0x80
	v_mad_u32 v26, s23, v16, v33
	s_mov_b64 s[52:53], 0
	v_mad_u32 v22, s13, v22, v35
	v_cmp_le_i64_e32 vcc_lo, s[44:45], v[38:39]
	v_mad_u32 v29, s16, v15, v7
	v_mad_u32 v20, s21, v20, v37
	;; [unrolled: 1-line block ×3, first 2 shown]
	v_mov_b64_e32 v[26:27], 0
	v_mad_u32 v35, s12, v23, v22
	v_mov_b64_e32 v[22:23], 0
	v_mad_u32 v37, s20, v21, v20
	v_mov_b64_e32 v[20:21], 0
	s_branch .LBB59_10
.LBB59_9:                               ;   in Loop: Header=BB59_10 Depth=3
	s_or_b32 exec_lo, exec_lo, s5
	s_wait_dscnt 0x0
	s_barrier_signal -1
	s_barrier_wait -1
	ds_load_b128 v[48:51], v57
	ds_load_2addr_b64 v[52:55], v58 offset1:16
	ds_load_b128 v[66:69], v57 offset:4096
	ds_load_b128 v[70:73], v57 offset:16
	ds_load_b128 v[74:77], v57 offset:4112
	v_add_nc_u64_e32 v[46:47], s[48:49], v[46:47]
	v_add_nc_u64_e32 v[34:35], s[46:47], v[34:35]
	;; [unrolled: 1-line block ×3, first 2 shown]
	s_add_nc_u64 s[52:53], s[52:53], 32
	s_delay_alu instid0(SALU_CYCLE_1)
	s_cmp_ge_i32 s52, s60
	s_wait_dscnt 0x3
	v_fmac_f64_e32 v[30:31], v[52:53], v[48:49]
	v_fmac_f64_e32 v[26:27], v[54:55], v[48:49]
	s_wait_dscnt 0x2
	v_fmac_f64_e32 v[22:23], v[52:53], v[66:67]
	v_fmac_f64_e32 v[20:21], v[54:55], v[66:67]
	ds_load_2addr_b64 v[52:55], v58 offset0:32 offset1:48
	s_wait_dscnt 0x0
	v_fmac_f64_e32 v[30:31], v[52:53], v[50:51]
	v_fmac_f64_e32 v[26:27], v[54:55], v[50:51]
	v_fmac_f64_e32 v[22:23], v[52:53], v[68:69]
	v_fmac_f64_e32 v[20:21], v[54:55], v[68:69]
	ds_load_2addr_b64 v[48:51], v58 offset0:64 offset1:80
	s_wait_dscnt 0x0
	v_fmac_f64_e32 v[30:31], v[48:49], v[70:71]
	v_fmac_f64_e32 v[26:27], v[50:51], v[70:71]
	v_fmac_f64_e32 v[22:23], v[48:49], v[74:75]
	v_fmac_f64_e32 v[20:21], v[50:51], v[74:75]
	ds_load_2addr_b64 v[48:51], v58 offset0:96 offset1:112
	s_wait_dscnt 0x0
	v_fmac_f64_e32 v[30:31], v[48:49], v[72:73]
	v_fmac_f64_e32 v[26:27], v[50:51], v[72:73]
	v_fmac_f64_e32 v[22:23], v[48:49], v[76:77]
	v_fmac_f64_e32 v[20:21], v[50:51], v[76:77]
	ds_load_b128 v[48:51], v57 offset:32
	ds_load_2addr_b64 v[52:55], v58 offset0:128 offset1:144
	ds_load_b128 v[66:69], v57 offset:4128
	ds_load_b128 v[70:73], v57 offset:48
	ds_load_b128 v[74:77], v57 offset:4144
	s_wait_dscnt 0x3
	v_fmac_f64_e32 v[30:31], v[52:53], v[48:49]
	v_fmac_f64_e32 v[26:27], v[54:55], v[48:49]
	s_wait_dscnt 0x2
	v_fmac_f64_e32 v[22:23], v[52:53], v[66:67]
	v_fmac_f64_e32 v[20:21], v[54:55], v[66:67]
	ds_load_2addr_b64 v[52:55], v58 offset0:160 offset1:176
	s_wait_dscnt 0x0
	v_fmac_f64_e32 v[30:31], v[52:53], v[50:51]
	v_fmac_f64_e32 v[26:27], v[54:55], v[50:51]
	v_fmac_f64_e32 v[22:23], v[52:53], v[68:69]
	v_fmac_f64_e32 v[20:21], v[54:55], v[68:69]
	ds_load_2addr_b64 v[48:51], v58 offset0:192 offset1:208
	s_wait_dscnt 0x0
	v_fmac_f64_e32 v[30:31], v[48:49], v[70:71]
	v_fmac_f64_e32 v[26:27], v[50:51], v[70:71]
	v_fmac_f64_e32 v[22:23], v[48:49], v[74:75]
	v_fmac_f64_e32 v[20:21], v[50:51], v[74:75]
	ds_load_2addr_b64 v[48:51], v58 offset0:224 offset1:240
	s_wait_dscnt 0x0
	v_fmac_f64_e32 v[30:31], v[48:49], v[72:73]
	v_fmac_f64_e32 v[26:27], v[50:51], v[72:73]
	v_fmac_f64_e32 v[22:23], v[48:49], v[76:77]
	v_fmac_f64_e32 v[20:21], v[50:51], v[76:77]
	ds_load_b128 v[48:51], v57 offset:64
	ds_load_2addr_b64 v[52:55], v63 offset1:16
	ds_load_b128 v[66:69], v57 offset:4160
	ds_load_b128 v[70:73], v57 offset:80
	ds_load_b128 v[74:77], v57 offset:4176
	s_wait_dscnt 0x3
	v_fmac_f64_e32 v[30:31], v[52:53], v[48:49]
	v_fmac_f64_e32 v[26:27], v[54:55], v[48:49]
	s_wait_dscnt 0x2
	v_fmac_f64_e32 v[22:23], v[52:53], v[66:67]
	v_fmac_f64_e32 v[20:21], v[54:55], v[66:67]
	ds_load_2addr_b64 v[52:55], v63 offset0:32 offset1:48
	s_wait_dscnt 0x0
	v_fmac_f64_e32 v[30:31], v[52:53], v[50:51]
	v_fmac_f64_e32 v[26:27], v[54:55], v[50:51]
	v_fmac_f64_e32 v[22:23], v[52:53], v[68:69]
	v_fmac_f64_e32 v[20:21], v[54:55], v[68:69]
	ds_load_2addr_b64 v[48:51], v63 offset0:64 offset1:80
	s_wait_dscnt 0x0
	v_fmac_f64_e32 v[30:31], v[48:49], v[70:71]
	v_fmac_f64_e32 v[26:27], v[50:51], v[70:71]
	v_fmac_f64_e32 v[22:23], v[48:49], v[74:75]
	v_fmac_f64_e32 v[20:21], v[50:51], v[74:75]
	ds_load_2addr_b64 v[48:51], v63 offset0:96 offset1:112
	s_wait_dscnt 0x0
	v_fmac_f64_e32 v[30:31], v[48:49], v[72:73]
	v_fmac_f64_e32 v[26:27], v[50:51], v[72:73]
	v_fmac_f64_e32 v[22:23], v[48:49], v[76:77]
	v_fmac_f64_e32 v[20:21], v[50:51], v[76:77]
	ds_load_b128 v[48:51], v57 offset:96
	ds_load_2addr_b64 v[52:55], v63 offset0:128 offset1:144
	ds_load_b128 v[66:69], v57 offset:4192
	ds_load_b128 v[70:73], v57 offset:112
	ds_load_b128 v[74:77], v57 offset:4208
	s_wait_dscnt 0x3
	v_fmac_f64_e32 v[30:31], v[52:53], v[48:49]
	v_fmac_f64_e32 v[26:27], v[54:55], v[48:49]
	s_wait_dscnt 0x2
	v_fmac_f64_e32 v[22:23], v[52:53], v[66:67]
	v_fmac_f64_e32 v[20:21], v[54:55], v[66:67]
	ds_load_2addr_b64 v[52:55], v63 offset0:160 offset1:176
	s_wait_dscnt 0x0
	v_fmac_f64_e32 v[30:31], v[52:53], v[50:51]
	v_fmac_f64_e32 v[26:27], v[54:55], v[50:51]
	v_fmac_f64_e32 v[22:23], v[52:53], v[68:69]
	v_fmac_f64_e32 v[20:21], v[54:55], v[68:69]
	ds_load_2addr_b64 v[48:51], v63 offset0:192 offset1:208
	s_wait_dscnt 0x0
	v_fmac_f64_e32 v[30:31], v[48:49], v[70:71]
	v_fmac_f64_e32 v[26:27], v[50:51], v[70:71]
	v_fmac_f64_e32 v[22:23], v[48:49], v[74:75]
	v_fmac_f64_e32 v[20:21], v[50:51], v[74:75]
	ds_load_2addr_b64 v[48:51], v63 offset0:224 offset1:240
	s_wait_dscnt 0x0
	v_fmac_f64_e32 v[30:31], v[48:49], v[72:73]
	v_fmac_f64_e32 v[26:27], v[50:51], v[72:73]
	v_fmac_f64_e32 v[22:23], v[48:49], v[76:77]
	v_fmac_f64_e32 v[20:21], v[50:51], v[76:77]
	ds_load_b128 v[48:51], v57 offset:128
	ds_load_2addr_b64 v[52:55], v64 offset1:16
	ds_load_b128 v[66:69], v57 offset:4224
	ds_load_b128 v[70:73], v57 offset:144
	ds_load_b128 v[74:77], v57 offset:4240
	;; [unrolled: 58-line block ×3, first 2 shown]
	s_wait_dscnt 0x3
	v_fmac_f64_e32 v[30:31], v[52:53], v[48:49]
	v_fmac_f64_e32 v[26:27], v[54:55], v[48:49]
	s_wait_dscnt 0x2
	v_fmac_f64_e32 v[22:23], v[52:53], v[66:67]
	v_fmac_f64_e32 v[20:21], v[54:55], v[66:67]
	ds_load_2addr_b64 v[52:55], v65 offset0:32 offset1:48
	s_wait_dscnt 0x0
	v_fmac_f64_e32 v[30:31], v[52:53], v[50:51]
	v_fmac_f64_e32 v[26:27], v[54:55], v[50:51]
	v_fmac_f64_e32 v[22:23], v[52:53], v[68:69]
	v_fmac_f64_e32 v[20:21], v[54:55], v[68:69]
	ds_load_2addr_b64 v[48:51], v65 offset0:64 offset1:80
	s_wait_dscnt 0x0
	v_fmac_f64_e32 v[30:31], v[48:49], v[70:71]
	v_fmac_f64_e32 v[26:27], v[50:51], v[70:71]
	;; [unrolled: 6-line block ×3, first 2 shown]
	v_fmac_f64_e32 v[22:23], v[48:49], v[76:77]
	v_fmac_f64_e32 v[20:21], v[50:51], v[76:77]
	ds_load_b128 v[48:51], v57 offset:224
	ds_load_2addr_b64 v[52:55], v65 offset0:128 offset1:144
	ds_load_b128 v[66:69], v57 offset:4320
	ds_load_b128 v[70:73], v57 offset:240
	;; [unrolled: 1-line block ×3, first 2 shown]
	s_wait_dscnt 0x3
	v_fmac_f64_e32 v[30:31], v[52:53], v[48:49]
	v_fmac_f64_e32 v[26:27], v[54:55], v[48:49]
	s_wait_dscnt 0x2
	v_fmac_f64_e32 v[22:23], v[52:53], v[66:67]
	v_fmac_f64_e32 v[20:21], v[54:55], v[66:67]
	ds_load_2addr_b64 v[52:55], v65 offset0:160 offset1:176
	s_wait_dscnt 0x0
	v_fmac_f64_e32 v[30:31], v[52:53], v[50:51]
	v_fmac_f64_e32 v[26:27], v[54:55], v[50:51]
	;; [unrolled: 1-line block ×4, first 2 shown]
	ds_load_2addr_b64 v[48:51], v65 offset0:192 offset1:208
	s_wait_dscnt 0x0
	v_fmac_f64_e32 v[30:31], v[48:49], v[70:71]
	v_fmac_f64_e32 v[26:27], v[50:51], v[70:71]
	;; [unrolled: 1-line block ×4, first 2 shown]
	ds_load_2addr_b64 v[48:51], v65 offset0:224 offset1:240
	s_wait_dscnt 0x0
	s_barrier_signal -1
	s_barrier_wait -1
	v_fmac_f64_e32 v[30:31], v[48:49], v[72:73]
	v_fmac_f64_e32 v[26:27], v[50:51], v[72:73]
	v_fmac_f64_e32 v[22:23], v[48:49], v[76:77]
	v_fmac_f64_e32 v[20:21], v[50:51], v[76:77]
	s_cbranch_scc1 .LBB59_47
.LBB59_10:                              ;   Parent Loop BB59_4 Depth=1
                                        ;     Parent Loop BB59_7 Depth=2
                                        ; =>    This Inner Loop Header: Depth=3
	v_add_nc_u64_e32 v[50:51], s[52:53], v[16:17]
	v_cmp_eq_u64_e64 s7, s[52:53], v[40:41]
	v_add_nc_u64_e32 v[48:49], v[32:33], v[24:25]
                                        ; implicit-def: $vgpr54_vgpr55
	s_delay_alu instid0(VALU_DEP_3) | instskip(SKIP_3) | instid1(SALU_CYCLE_1)
	v_cmp_lt_i64_e64 s5, v[50:51], v[18:19]
	v_cmp_le_i64_e64 s6, s[44:45], v[50:51]
	s_and_b32 s61, s56, s7
	s_or_b32 s8, s4, s5
	s_or_b32 s7, s6, s8
	s_delay_alu instid0(SALU_CYCLE_1) | instskip(NEXT) | instid1(SALU_CYCLE_1)
	s_nor_b32 s7, s7, s61
	s_and_saveexec_b32 s8, s7
	s_delay_alu instid0(SALU_CYCLE_1)
	s_xor_b32 s7, exec_lo, s8
	s_cbranch_execz .LBB59_12
; %bb.11:                               ;   in Loop: Header=BB59_10 Depth=3
	global_load_b64 v[54:55], v[48:49], off
.LBB59_12:                              ;   in Loop: Header=BB59_10 Depth=3
	s_wait_xcnt 0x0
	s_and_not1_saveexec_b32 s7, s7
	s_cbranch_execz .LBB59_14
; %bb.13:                               ;   in Loop: Header=BB59_10 Depth=3
	v_cndmask_b32_e64 v7, 0, 0x3ff00000, s61
	s_wait_loadcnt 0x0
	s_delay_alu instid0(VALU_DEP_1)
	v_mov_b64_e32 v[54:55], v[6:7]
.LBB59_14:                              ;   in Loop: Header=BB59_10 Depth=3
	s_or_b32 exec_lo, exec_lo, s7
	v_add_nc_u64_e32 v[52:53], 16, v[50:51]
	v_cmp_eq_u64_e64 s9, s[52:53], v[44:45]
	s_wait_loadcnt 0x0
	ds_store_b64 v59, v[54:55]
	v_cmp_lt_i64_e64 s8, v[52:53], v[18:19]
	v_cmp_le_i64_e64 s7, s[44:45], v[52:53]
	v_add_nc_u64_e32 v[52:53], v[34:35], v[24:25]
	s_and_b32 s9, s56, s9
	s_or_b32 s8, s4, s8
	s_delay_alu instid0(SALU_CYCLE_1) | instskip(NEXT) | instid1(SALU_CYCLE_1)
	s_or_b32 s8, s7, s8
	s_nor_b32 s8, s8, s9
	s_delay_alu instid0(SALU_CYCLE_1) | instskip(NEXT) | instid1(SALU_CYCLE_1)
	s_and_saveexec_b32 s62, s8
	s_xor_b32 s8, exec_lo, s62
	s_cbranch_execz .LBB59_16
; %bb.15:                               ;   in Loop: Header=BB59_10 Depth=3
	global_load_b64 v[54:55], v[52:53], off
	s_wait_loadcnt 0x0
	ds_store_b64 v59, v[54:55] offset:128
.LBB59_16:                              ;   in Loop: Header=BB59_10 Depth=3
	s_wait_xcnt 0x0
	s_and_not1_saveexec_b32 s8, s8
	s_cbranch_execz .LBB59_22
; %bb.17:                               ;   in Loop: Header=BB59_10 Depth=3
	s_xor_b32 s9, s9, -1
	s_delay_alu instid0(SALU_CYCLE_1) | instskip(NEXT) | instid1(SALU_CYCLE_1)
	s_and_saveexec_b32 s62, s9
	s_xor_b32 s9, exec_lo, s62
; %bb.18:                               ;   in Loop: Header=BB59_10 Depth=3
	ds_store_b64 v59, v[8:9] offset:128
; %bb.19:                               ;   in Loop: Header=BB59_10 Depth=3
	s_and_not1_saveexec_b32 s9, s9
; %bb.20:                               ;   in Loop: Header=BB59_10 Depth=3
	ds_store_b64 v59, v[10:11] offset:128
; %bb.21:                               ;   in Loop: Header=BB59_10 Depth=3
	s_or_b32 exec_lo, exec_lo, s9
.LBB59_22:                              ;   in Loop: Header=BB59_10 Depth=3
	s_delay_alu instid0(SALU_CYCLE_1) | instskip(SKIP_4) | instid1(SALU_CYCLE_1)
	s_or_b32 exec_lo, exec_lo, s8
	v_cmp_eq_u64_e64 s8, s[52:53], v[42:43]
	v_cmp_lt_i64_e64 s9, v[50:51], v[38:39]
                                        ; implicit-def: $vgpr50_vgpr51
	s_and_b32 s8, s56, s8
	s_or_b32 s9, vcc_lo, s9
	s_or_b32 s9, s9, s8
	s_delay_alu instid0(SALU_CYCLE_1) | instskip(NEXT) | instid1(SALU_CYCLE_1)
	s_nor_b32 s6, s6, s9
	s_and_saveexec_b32 s9, s6
	s_delay_alu instid0(SALU_CYCLE_1)
	s_xor_b32 s6, exec_lo, s9
	s_cbranch_execz .LBB59_24
; %bb.23:                               ;   in Loop: Header=BB59_10 Depth=3
	global_load_b64 v[50:51], v[48:49], off offset:128
.LBB59_24:                              ;   in Loop: Header=BB59_10 Depth=3
	s_wait_xcnt 0x0
	s_and_not1_saveexec_b32 s6, s6
	s_cbranch_execz .LBB59_26
; %bb.25:                               ;   in Loop: Header=BB59_10 Depth=3
	v_cndmask_b32_e64 v7, 0, 0x3ff00000, s8
	s_wait_loadcnt 0x0
	s_delay_alu instid0(VALU_DEP_1)
	v_mov_b64_e32 v[50:51], v[6:7]
.LBB59_26:                              ;   in Loop: Header=BB59_10 Depth=3
	s_or_b32 exec_lo, exec_lo, s6
	s_or_b32 s5, vcc_lo, s5
	s_wait_loadcnt 0x0
	ds_store_b64 v59, v[50:51] offset:4096
	s_or_b32 s5, s7, s5
	s_delay_alu instid0(SALU_CYCLE_1) | instskip(NEXT) | instid1(SALU_CYCLE_1)
	s_nor_b32 s5, s5, s61
	s_and_saveexec_b32 s6, s5
	s_delay_alu instid0(SALU_CYCLE_1)
	s_xor_b32 s5, exec_lo, s6
	s_cbranch_execz .LBB59_28
; %bb.27:                               ;   in Loop: Header=BB59_10 Depth=3
	global_load_b64 v[48:49], v[52:53], off offset:128
	s_wait_loadcnt 0x0
	ds_store_b64 v59, v[48:49] offset:4224
.LBB59_28:                              ;   in Loop: Header=BB59_10 Depth=3
	s_wait_xcnt 0x0
	s_and_not1_saveexec_b32 s5, s5
	s_cbranch_execz .LBB59_34
; %bb.29:                               ;   in Loop: Header=BB59_10 Depth=3
	s_xor_b32 s6, s61, -1
	s_delay_alu instid0(SALU_CYCLE_1) | instskip(NEXT) | instid1(SALU_CYCLE_1)
	s_and_saveexec_b32 s7, s6
	s_xor_b32 s6, exec_lo, s7
; %bb.30:                               ;   in Loop: Header=BB59_10 Depth=3
	ds_store_b64 v59, v[8:9] offset:4224
; %bb.31:                               ;   in Loop: Header=BB59_10 Depth=3
	s_and_not1_saveexec_b32 s6, s6
; %bb.32:                               ;   in Loop: Header=BB59_10 Depth=3
	ds_store_b64 v59, v[10:11] offset:4224
; %bb.33:                               ;   in Loop: Header=BB59_10 Depth=3
	s_or_b32 exec_lo, exec_lo, s6
.LBB59_34:                              ;   in Loop: Header=BB59_10 Depth=3
	s_delay_alu instid0(SALU_CYCLE_1) | instskip(SKIP_3) | instid1(VALU_DEP_3)
	s_or_b32 exec_lo, exec_lo, s5
	v_add_nc_u64_e32 v[48:49], s[52:53], v[14:15]
	v_add_nc_u64_e32 v[50:51], v[46:47], v[28:29]
	v_mov_b64_e32 v[52:53], 0
	v_cmp_le_i64_e64 s5, s[44:45], v[48:49]
	s_nor_b32 s7, s5, s1
	s_delay_alu instid0(SALU_CYCLE_1)
	s_and_saveexec_b32 s6, s7
	s_cbranch_execz .LBB59_36
; %bb.35:                               ;   in Loop: Header=BB59_10 Depth=3
	global_load_b64 v[52:53], v[50:51], off offset:-128
.LBB59_36:                              ;   in Loop: Header=BB59_10 Depth=3
	s_wait_xcnt 0x0
	s_or_b32 exec_lo, exec_lo, s6
	s_nor_b32 s5, s5, s2
	s_wait_loadcnt 0x0
	ds_store_b64 v60, v[52:53]
	s_and_saveexec_b32 s6, s5
	s_delay_alu instid0(SALU_CYCLE_1)
	s_xor_b32 s5, exec_lo, s6
	s_cbranch_execz .LBB59_38
; %bb.37:                               ;   in Loop: Header=BB59_10 Depth=3
	global_load_b64 v[50:51], v[50:51], off
	s_wait_loadcnt 0x0
	ds_store_b64 v60, v[50:51] offset:128
.LBB59_38:                              ;   in Loop: Header=BB59_10 Depth=3
	s_wait_xcnt 0x0
	s_and_not1_saveexec_b32 s5, s5
; %bb.39:                               ;   in Loop: Header=BB59_10 Depth=3
	ds_store_b64 v60, v[8:9] offset:128
; %bb.40:                               ;   in Loop: Header=BB59_10 Depth=3
	s_or_b32 exec_lo, exec_lo, s5
	v_cmp_le_i64_e64 s5, s[26:27], v[48:49]
	v_add_nc_u64_e32 v[48:49], v[46:47], v[36:37]
	v_mov_b64_e32 v[50:51], 0
	s_nor_b32 s7, s5, s1
	s_delay_alu instid0(SALU_CYCLE_1)
	s_and_saveexec_b32 s6, s7
	s_cbranch_execz .LBB59_42
; %bb.41:                               ;   in Loop: Header=BB59_10 Depth=3
	global_load_b64 v[50:51], v[48:49], off offset:-128
.LBB59_42:                              ;   in Loop: Header=BB59_10 Depth=3
	s_wait_xcnt 0x0
	s_or_b32 exec_lo, exec_lo, s6
	s_nor_b32 s5, s5, s2
	s_wait_loadcnt 0x0
	ds_store_b64 v60, v[50:51] offset:4096
	s_and_saveexec_b32 s6, s5
	s_delay_alu instid0(SALU_CYCLE_1)
	s_xor_b32 s5, exec_lo, s6
	s_cbranch_execz .LBB59_44
; %bb.43:                               ;   in Loop: Header=BB59_10 Depth=3
	global_load_b64 v[48:49], v[48:49], off
	s_wait_loadcnt 0x0
	ds_store_b64 v60, v[48:49] offset:4224
.LBB59_44:                              ;   in Loop: Header=BB59_10 Depth=3
	s_wait_xcnt 0x0
	s_and_not1_saveexec_b32 s5, s5
	s_cbranch_execz .LBB59_9
; %bb.45:                               ;   in Loop: Header=BB59_10 Depth=3
	ds_store_b64 v60, v[8:9] offset:4224
	s_branch .LBB59_9
.LBB59_46:                              ;   in Loop: Header=BB59_7 Depth=2
	v_mov_b64_e32 v[30:31], 0
	v_mov_b64_e32 v[26:27], 0
	;; [unrolled: 1-line block ×4, first 2 shown]
.LBB59_47:                              ;   in Loop: Header=BB59_7 Depth=2
	v_mul_u64_e32 v[24:25], s[28:29], v[18:19]
	v_cmp_gt_i32_e32 vcc_lo, s38, v18
	s_and_b32 s5, s0, vcc_lo
	s_delay_alu instid0(VALU_DEP_2)
	v_lshl_add_u64 v[24:25], v[24:25], 3, s[50:51]
	s_and_saveexec_b32 s4, s5
	s_cbranch_execz .LBB59_49
; %bb.48:                               ;   in Loop: Header=BB59_7 Depth=2
	s_delay_alu instid0(VALU_DEP_1)
	v_lshl_add_u64 v[28:29], v[0:1], 3, v[24:25]
	global_load_b64 v[32:33], v[28:29], off
	s_wait_loadcnt 0x0
	v_fmac_f64_e32 v[32:33], s[40:41], v[30:31]
	global_store_b64 v[28:29], v[32:33], off
.LBB59_49:                              ;   in Loop: Header=BB59_7 Depth=2
	s_wait_xcnt 0x0
	s_or_b32 exec_lo, exec_lo, s4
	s_and_b32 s5, s3, vcc_lo
	s_delay_alu instid0(SALU_CYCLE_1)
	s_and_saveexec_b32 s4, s5
	s_cbranch_execz .LBB59_51
; %bb.50:                               ;   in Loop: Header=BB59_7 Depth=2
	v_lshl_add_u64 v[24:25], v[2:3], 3, v[24:25]
	global_load_b64 v[28:29], v[24:25], off
	s_wait_loadcnt 0x0
	v_fmac_f64_e32 v[28:29], s[40:41], v[26:27]
	global_store_b64 v[24:25], v[28:29], off
.LBB59_51:                              ;   in Loop: Header=BB59_7 Depth=2
	s_wait_xcnt 0x0
	s_or_b32 exec_lo, exec_lo, s4
	v_add_nc_u32_e32 v18, 16, v18
	s_delay_alu instid0(VALU_DEP_1) | instskip(SKIP_1) | instid1(VALU_DEP_2)
	v_ashrrev_i32_e32 v19, 31, v18
	v_cmp_gt_i32_e32 vcc_lo, s38, v18
	v_mul_u64_e32 v[24:25], s[28:29], v[18:19]
	s_and_b32 s5, s0, vcc_lo
	s_delay_alu instid0(VALU_DEP_1)
	v_lshl_add_u64 v[18:19], v[24:25], 3, s[50:51]
	s_and_saveexec_b32 s4, s5
	s_cbranch_execz .LBB59_53
; %bb.52:                               ;   in Loop: Header=BB59_7 Depth=2
	s_delay_alu instid0(VALU_DEP_1)
	v_lshl_add_u64 v[24:25], v[0:1], 3, v[18:19]
	global_load_b64 v[26:27], v[24:25], off
	s_wait_loadcnt 0x0
	v_fmac_f64_e32 v[26:27], s[40:41], v[22:23]
	global_store_b64 v[24:25], v[26:27], off
.LBB59_53:                              ;   in Loop: Header=BB59_7 Depth=2
	s_wait_xcnt 0x0
	s_or_b32 exec_lo, exec_lo, s4
	s_and_b32 s5, s3, vcc_lo
	s_delay_alu instid0(SALU_CYCLE_1)
	s_and_saveexec_b32 s4, s5
	s_cbranch_execz .LBB59_6
; %bb.54:                               ;   in Loop: Header=BB59_7 Depth=2
	v_lshl_add_u64 v[18:19], v[2:3], 3, v[18:19]
	global_load_b64 v[22:23], v[18:19], off
	s_wait_loadcnt 0x0
	v_fmac_f64_e32 v[22:23], s[40:41], v[20:21]
	global_store_b64 v[18:19], v[22:23], off
	s_branch .LBB59_6
.LBB59_55:
	s_sendmsg sendmsg(MSG_DEALLOC_VGPRS)
	s_endpgm
	.section	.rodata,"a",@progbits
	.p2align	6, 0x0
	.amdhsa_kernel _ZL30rocblas_trmm_outofplace_kernelIdLi32ELi2ELb0ELb1ELb1ELb1EdKddEv17rocblas_diagonal_iiT6_lPT7_lllS4_lllPT8_llli
		.amdhsa_group_segment_fixed_size 16384
		.amdhsa_private_segment_fixed_size 0
		.amdhsa_kernarg_size 392
		.amdhsa_user_sgpr_count 2
		.amdhsa_user_sgpr_dispatch_ptr 0
		.amdhsa_user_sgpr_queue_ptr 0
		.amdhsa_user_sgpr_kernarg_segment_ptr 1
		.amdhsa_user_sgpr_dispatch_id 0
		.amdhsa_user_sgpr_kernarg_preload_length 0
		.amdhsa_user_sgpr_kernarg_preload_offset 0
		.amdhsa_user_sgpr_private_segment_size 0
		.amdhsa_wavefront_size32 1
		.amdhsa_uses_dynamic_stack 0
		.amdhsa_enable_private_segment 0
		.amdhsa_system_sgpr_workgroup_id_x 1
		.amdhsa_system_sgpr_workgroup_id_y 1
		.amdhsa_system_sgpr_workgroup_id_z 1
		.amdhsa_system_sgpr_workgroup_info 0
		.amdhsa_system_vgpr_workitem_id 1
		.amdhsa_next_free_vgpr 78
		.amdhsa_next_free_sgpr 63
		.amdhsa_named_barrier_count 0
		.amdhsa_reserve_vcc 1
		.amdhsa_float_round_mode_32 0
		.amdhsa_float_round_mode_16_64 0
		.amdhsa_float_denorm_mode_32 3
		.amdhsa_float_denorm_mode_16_64 3
		.amdhsa_fp16_overflow 0
		.amdhsa_memory_ordered 1
		.amdhsa_forward_progress 1
		.amdhsa_inst_pref_size 26
		.amdhsa_round_robin_scheduling 0
		.amdhsa_exception_fp_ieee_invalid_op 0
		.amdhsa_exception_fp_denorm_src 0
		.amdhsa_exception_fp_ieee_div_zero 0
		.amdhsa_exception_fp_ieee_overflow 0
		.amdhsa_exception_fp_ieee_underflow 0
		.amdhsa_exception_fp_ieee_inexact 0
		.amdhsa_exception_int_div_zero 0
	.end_amdhsa_kernel
	.section	.text._ZL30rocblas_trmm_outofplace_kernelIdLi32ELi2ELb0ELb1ELb1ELb1EdKddEv17rocblas_diagonal_iiT6_lPT7_lllS4_lllPT8_llli,"axG",@progbits,_ZL30rocblas_trmm_outofplace_kernelIdLi32ELi2ELb0ELb1ELb1ELb1EdKddEv17rocblas_diagonal_iiT6_lPT7_lllS4_lllPT8_llli,comdat
.Lfunc_end59:
	.size	_ZL30rocblas_trmm_outofplace_kernelIdLi32ELi2ELb0ELb1ELb1ELb1EdKddEv17rocblas_diagonal_iiT6_lPT7_lllS4_lllPT8_llli, .Lfunc_end59-_ZL30rocblas_trmm_outofplace_kernelIdLi32ELi2ELb0ELb1ELb1ELb1EdKddEv17rocblas_diagonal_iiT6_lPT7_lllS4_lllPT8_llli
                                        ; -- End function
	.set _ZL30rocblas_trmm_outofplace_kernelIdLi32ELi2ELb0ELb1ELb1ELb1EdKddEv17rocblas_diagonal_iiT6_lPT7_lllS4_lllPT8_llli.num_vgpr, 78
	.set _ZL30rocblas_trmm_outofplace_kernelIdLi32ELi2ELb0ELb1ELb1ELb1EdKddEv17rocblas_diagonal_iiT6_lPT7_lllS4_lllPT8_llli.num_agpr, 0
	.set _ZL30rocblas_trmm_outofplace_kernelIdLi32ELi2ELb0ELb1ELb1ELb1EdKddEv17rocblas_diagonal_iiT6_lPT7_lllS4_lllPT8_llli.numbered_sgpr, 63
	.set _ZL30rocblas_trmm_outofplace_kernelIdLi32ELi2ELb0ELb1ELb1ELb1EdKddEv17rocblas_diagonal_iiT6_lPT7_lllS4_lllPT8_llli.num_named_barrier, 0
	.set _ZL30rocblas_trmm_outofplace_kernelIdLi32ELi2ELb0ELb1ELb1ELb1EdKddEv17rocblas_diagonal_iiT6_lPT7_lllS4_lllPT8_llli.private_seg_size, 0
	.set _ZL30rocblas_trmm_outofplace_kernelIdLi32ELi2ELb0ELb1ELb1ELb1EdKddEv17rocblas_diagonal_iiT6_lPT7_lllS4_lllPT8_llli.uses_vcc, 1
	.set _ZL30rocblas_trmm_outofplace_kernelIdLi32ELi2ELb0ELb1ELb1ELb1EdKddEv17rocblas_diagonal_iiT6_lPT7_lllS4_lllPT8_llli.uses_flat_scratch, 0
	.set _ZL30rocblas_trmm_outofplace_kernelIdLi32ELi2ELb0ELb1ELb1ELb1EdKddEv17rocblas_diagonal_iiT6_lPT7_lllS4_lllPT8_llli.has_dyn_sized_stack, 0
	.set _ZL30rocblas_trmm_outofplace_kernelIdLi32ELi2ELb0ELb1ELb1ELb1EdKddEv17rocblas_diagonal_iiT6_lPT7_lllS4_lllPT8_llli.has_recursion, 0
	.set _ZL30rocblas_trmm_outofplace_kernelIdLi32ELi2ELb0ELb1ELb1ELb1EdKddEv17rocblas_diagonal_iiT6_lPT7_lllS4_lllPT8_llli.has_indirect_call, 0
	.section	.AMDGPU.csdata,"",@progbits
; Kernel info:
; codeLenInByte = 3212
; TotalNumSgprs: 65
; NumVgprs: 78
; ScratchSize: 0
; MemoryBound: 0
; FloatMode: 240
; IeeeMode: 1
; LDSByteSize: 16384 bytes/workgroup (compile time only)
; SGPRBlocks: 0
; VGPRBlocks: 4
; NumSGPRsForWavesPerEU: 65
; NumVGPRsForWavesPerEU: 78
; NamedBarCnt: 0
; Occupancy: 12
; WaveLimiterHint : 0
; COMPUTE_PGM_RSRC2:SCRATCH_EN: 0
; COMPUTE_PGM_RSRC2:USER_SGPR: 2
; COMPUTE_PGM_RSRC2:TRAP_HANDLER: 0
; COMPUTE_PGM_RSRC2:TGID_X_EN: 1
; COMPUTE_PGM_RSRC2:TGID_Y_EN: 1
; COMPUTE_PGM_RSRC2:TGID_Z_EN: 1
; COMPUTE_PGM_RSRC2:TIDIG_COMP_CNT: 1
	.section	.text._ZL23rocblas_trmm_lNx_kernelILi32EdPKdS0_dEv13rocblas_fill_17rocblas_diagonal_iiT1_lPT2_llS6_llPT3_lli,"axG",@progbits,_ZL23rocblas_trmm_lNx_kernelILi32EdPKdS0_dEv13rocblas_fill_17rocblas_diagonal_iiT1_lPT2_llS6_llPT3_lli,comdat
	.globl	_ZL23rocblas_trmm_lNx_kernelILi32EdPKdS0_dEv13rocblas_fill_17rocblas_diagonal_iiT1_lPT2_llS6_llPT3_lli ; -- Begin function _ZL23rocblas_trmm_lNx_kernelILi32EdPKdS0_dEv13rocblas_fill_17rocblas_diagonal_iiT1_lPT2_llS6_llPT3_lli
	.p2align	8
	.type	_ZL23rocblas_trmm_lNx_kernelILi32EdPKdS0_dEv13rocblas_fill_17rocblas_diagonal_iiT1_lPT2_llS6_llPT3_lli,@function
_ZL23rocblas_trmm_lNx_kernelILi32EdPKdS0_dEv13rocblas_fill_17rocblas_diagonal_iiT1_lPT2_llS6_llPT3_lli: ; @_ZL23rocblas_trmm_lNx_kernelILi32EdPKdS0_dEv13rocblas_fill_17rocblas_diagonal_iiT1_lPT2_llS6_llPT3_lli
; %bb.0:
	s_load_b32 s33, s[0:1], 0x68
	s_bfe_u32 s2, ttmp6, 0x40014
	s_lshr_b32 s3, ttmp7, 16
	s_add_co_i32 s2, s2, 1
	s_bfe_u32 s5, ttmp6, 0x40008
	s_mul_i32 s4, s3, s2
	s_getreg_b32 s2, hwreg(HW_REG_IB_STS2, 6, 4)
	s_add_co_i32 s5, s5, s4
	s_cmp_eq_u32 s2, 0
	s_mov_b32 s29, 0
	s_cselect_b32 s28, s3, s5
	s_wait_kmcnt 0x0
	s_cmp_ge_u32 s28, s33
	s_cbranch_scc1 .LBB60_19
; %bb.1:
	s_clause 0x3
	s_load_b128 s[20:23], s[0:1], 0x0
	s_load_b512 s[4:19], s[0:1], 0x10
	s_load_b128 s[24:27], s[0:1], 0x50
	s_load_b64 s[30:31], s[0:1], 0x60
	v_bfe_u32 v2, v0, 10, 10
	v_mov_b32_e32 v3, 0
	s_wait_xcnt 0x0
	s_bfe_u32 s0, ttmp6, 0x4000c
	s_and_b32 s3, ttmp6, 15
	s_add_co_i32 s0, s0, 1
	v_lshlrev_b32_e32 v13, 5, v2
	s_mul_i32 s34, ttmp9, s0
	v_and_b32_e32 v12, 0x3ff, v0
	s_add_co_i32 s3, s3, s34
	v_mov_b32_e32 v5, v3
	v_mov_b64_e32 v[0:1], 0
	v_lshl_add_u32 v18, v2, 8, 0x2000
	v_lshlrev_b32_e32 v4, 3, v12
	v_cmp_eq_u32_e32 vcc_lo, v2, v12
	v_add_lshl_u32 v19, v13, v12, 3
	v_cmp_lt_u32_e64 s0, v12, v2
	s_wait_kmcnt 0x0
	s_add_co_i32 s35, s23, -1
	v_mul_u64_e32 v[6:7], s[10:11], v[2:3]
	v_mul_u64_e32 v[8:9], s[16:17], v[2:3]
	;; [unrolled: 1-line block ×3, first 2 shown]
	s_ashr_i32 s10, s35, 31
	v_cmp_gt_u32_e64 s1, v12, v2
	s_lshr_b32 s10, s10, 27
	v_add_nc_u32_e32 v20, 0x1000, v4
	s_add_co_i32 s10, s35, s10
	v_add_nc_u32_e32 v21, 0x1800, v4
	s_and_b32 s11, s10, 0xffffffe0
	s_ashr_i32 s10, s10, 5
	s_sub_co_i32 s11, s23, s11
	s_cmp_eq_u32 s2, 0
	v_cmp_gt_i32_e64 s2, s22, v2
	s_cselect_b32 s23, ttmp9, s3
	v_cmp_gt_i32_e64 s3, s22, v12
	s_cmp_ge_i32 s23, s10
	v_mov_b64_e32 v[12:13], 1.0
	s_cselect_b32 s11, s11, 32
	s_lshl_b32 s22, s23, 5
	s_and_b32 s10, s2, s3
	s_ashr_i32 s23, s22, 31
	v_cmp_gt_i32_e64 s2, s11, v2
	s_mul_u64 s[16:17], s[16:17], s[22:23]
	s_mul_u64 s[22:23], s[26:27], s[22:23]
	s_lshl_b64 s[16:17], s[16:17], 3
	s_lshl_b64 s[22:23], s[22:23], 3
	s_add_nc_u64 s[14:15], s[14:15], s[16:17]
	s_add_nc_u64 s[16:17], s[24:25], s[22:23]
	s_and_b32 s2, s3, s2
	s_cmp_eq_u32 s21, 0x84
	v_add_nc_u32_e32 v2, 0x2000, v19
	v_lshl_add_u64 v[6:7], v[6:7], 3, s[8:9]
	v_lshl_add_u64 v[8:9], v[8:9], 3, s[14:15]
	;; [unrolled: 1-line block ×3, first 2 shown]
	s_cselect_b32 s3, -1, 0
	s_delay_alu instid0(SALU_CYCLE_1)
	s_and_b32 s3, vcc_lo, s3
	v_add_nc_u64_e32 v[6:7], v[6:7], v[4:5]
	v_add_nc_u64_e32 v[8:9], v[8:9], v[4:5]
	;; [unrolled: 1-line block ×3, first 2 shown]
	v_add_nc_u32_e32 v5, 0x800, v4
	s_cmp_lg_u32 s20, 0x79
	s_cselect_b32 s8, -1, 0
	s_branch .LBB60_4
.LBB60_2:                               ;   in Loop: Header=BB60_4 Depth=1
	s_wait_xcnt 0x0
	s_or_b32 exec_lo, exec_lo, s9
.LBB60_3:                               ;   in Loop: Header=BB60_4 Depth=1
	s_add_co_i32 s28, s28, 0x10000
	s_delay_alu instid0(SALU_CYCLE_1)
	s_cmp_lt_u32 s28, s33
	s_cbranch_scc0 .LBB60_19
.LBB60_4:                               ; =>This Inner Loop Header: Depth=1
	s_wait_xcnt 0x0
	s_mul_u64 s[14:15], s[6:7], s[28:29]
	s_delay_alu instid0(SALU_CYCLE_1) | instskip(NEXT) | instid1(SALU_CYCLE_1)
	s_lshl_b64 s[14:15], s[14:15], 3
	s_add_nc_u64 s[14:15], s[4:5], s[14:15]
	global_load_b64 v[14:15], v3, s[14:15]
	s_wait_loadcnt 0x0
	v_cmp_eq_f64_e32 vcc_lo, 0, v[14:15]
	s_cbranch_vccnz .LBB60_3
; %bb.5:                                ;   in Loop: Header=BB60_4 Depth=1
	ds_store_b64 v19, v[0:1]
	ds_store_b64 v2, v[0:1]
	s_wait_xcnt 0x0
	s_and_saveexec_b32 s9, s10
	s_cbranch_execnz .LBB60_10
; %bb.6:                                ;   in Loop: Header=BB60_4 Depth=1
	s_or_b32 exec_lo, exec_lo, s9
	s_and_saveexec_b32 s9, s2
	s_cbranch_execnz .LBB60_11
.LBB60_7:                               ;   in Loop: Header=BB60_4 Depth=1
	s_or_b32 exec_lo, exec_lo, s9
	s_and_saveexec_b32 s9, s3
	s_cbranch_execnz .LBB60_12
.LBB60_8:                               ;   in Loop: Header=BB60_4 Depth=1
	s_or_b32 exec_lo, exec_lo, s9
	s_delay_alu instid0(SALU_CYCLE_1)
	s_and_b32 vcc_lo, exec_lo, s8
	s_cbranch_vccz .LBB60_13
.LBB60_9:                               ;   in Loop: Header=BB60_4 Depth=1
	s_and_b32 s9, s0, exec_lo
	s_cbranch_execz .LBB60_14
	s_branch .LBB60_15
.LBB60_10:                              ;   in Loop: Header=BB60_4 Depth=1
	s_mul_u64 s[14:15], s[12:13], s[28:29]
	s_delay_alu instid0(SALU_CYCLE_1)
	v_lshl_add_u64 v[16:17], s[14:15], 3, v[6:7]
	global_load_b64 v[16:17], v[16:17], off
	s_wait_loadcnt 0x0
	ds_store_b64 v19, v[16:17]
	s_wait_xcnt 0x0
	s_or_b32 exec_lo, exec_lo, s9
	s_and_saveexec_b32 s9, s2
	s_cbranch_execz .LBB60_7
.LBB60_11:                              ;   in Loop: Header=BB60_4 Depth=1
	s_mul_u64 s[14:15], s[18:19], s[28:29]
	s_delay_alu instid0(SALU_CYCLE_1)
	v_lshl_add_u64 v[16:17], s[14:15], 3, v[8:9]
	global_load_b64 v[16:17], v[16:17], off
	s_wait_loadcnt 0x0
	ds_store_b64 v2, v[16:17]
	s_wait_xcnt 0x0
	s_or_b32 exec_lo, exec_lo, s9
	s_and_saveexec_b32 s9, s3
	s_cbranch_execz .LBB60_8
.LBB60_12:                              ;   in Loop: Header=BB60_4 Depth=1
	ds_store_b64 v19, v[12:13]
	s_or_b32 exec_lo, exec_lo, s9
	s_delay_alu instid0(SALU_CYCLE_1)
	s_and_b32 vcc_lo, exec_lo, s8
	s_cbranch_vccnz .LBB60_9
.LBB60_13:                              ;   in Loop: Header=BB60_4 Depth=1
	s_mov_b32 s9, 0
.LBB60_14:                              ;   in Loop: Header=BB60_4 Depth=1
	s_delay_alu instid0(SALU_CYCLE_1) | instskip(SKIP_1) | instid1(SALU_CYCLE_1)
	s_and_not1_b32 s9, s9, exec_lo
	s_and_b32 s11, s1, exec_lo
	s_or_b32 s9, s9, s11
.LBB60_15:                              ;   in Loop: Header=BB60_4 Depth=1
	s_delay_alu instid0(SALU_CYCLE_1)
	s_and_saveexec_b32 s11, s9
; %bb.16:                               ;   in Loop: Header=BB60_4 Depth=1
	ds_store_b64 v19, v[0:1]
; %bb.17:                               ;   in Loop: Header=BB60_4 Depth=1
	s_or_b32 exec_lo, exec_lo, s11
	s_wait_dscnt 0x0
	s_barrier_signal -1
	s_barrier_wait -1
	s_and_saveexec_b32 s9, s2
	s_cbranch_execz .LBB60_2
; %bb.18:                               ;   in Loop: Header=BB60_4 Depth=1
	ds_load_2addr_b64 v[22:25], v4 offset1:32
	ds_load_b128 v[26:29], v18
	ds_load_b128 v[30:33], v18 offset:16
	s_mul_u64 s[14:15], s[30:31], s[28:29]
	s_wait_dscnt 0x1
	v_fma_f64 v[16:17], v[22:23], v[26:27], 0
	s_delay_alu instid0(VALU_DEP_1) | instskip(SKIP_3) | instid1(VALU_DEP_1)
	v_fmac_f64_e32 v[16:17], v[24:25], v[28:29]
	ds_load_2addr_b64 v[22:25], v4 offset0:64 offset1:96
	s_wait_dscnt 0x0
	v_fmac_f64_e32 v[16:17], v[22:23], v[30:31]
	v_fmac_f64_e32 v[16:17], v[24:25], v[32:33]
	ds_load_2addr_b64 v[22:25], v4 offset0:128 offset1:160
	ds_load_b128 v[26:29], v18 offset:32
	ds_load_b128 v[30:33], v18 offset:48
	s_wait_dscnt 0x1
	v_fmac_f64_e32 v[16:17], v[22:23], v[26:27]
	s_delay_alu instid0(VALU_DEP_1) | instskip(SKIP_3) | instid1(VALU_DEP_1)
	v_fmac_f64_e32 v[16:17], v[24:25], v[28:29]
	ds_load_2addr_b64 v[22:25], v4 offset0:192 offset1:224
	s_wait_dscnt 0x0
	v_fmac_f64_e32 v[16:17], v[22:23], v[30:31]
	v_fmac_f64_e32 v[16:17], v[24:25], v[32:33]
	ds_load_2addr_b64 v[22:25], v5 offset1:32
	ds_load_b128 v[26:29], v18 offset:64
	ds_load_b128 v[30:33], v18 offset:80
	s_wait_dscnt 0x1
	v_fmac_f64_e32 v[16:17], v[22:23], v[26:27]
	s_delay_alu instid0(VALU_DEP_1) | instskip(SKIP_3) | instid1(VALU_DEP_1)
	v_fmac_f64_e32 v[16:17], v[24:25], v[28:29]
	ds_load_2addr_b64 v[22:25], v5 offset0:64 offset1:96
	s_wait_dscnt 0x0
	v_fmac_f64_e32 v[16:17], v[22:23], v[30:31]
	v_fmac_f64_e32 v[16:17], v[24:25], v[32:33]
	ds_load_2addr_b64 v[22:25], v5 offset0:128 offset1:160
	ds_load_b128 v[26:29], v18 offset:96
	ds_load_b128 v[30:33], v18 offset:112
	s_wait_dscnt 0x1
	v_fmac_f64_e32 v[16:17], v[22:23], v[26:27]
	s_delay_alu instid0(VALU_DEP_1) | instskip(SKIP_3) | instid1(VALU_DEP_1)
	v_fmac_f64_e32 v[16:17], v[24:25], v[28:29]
	ds_load_2addr_b64 v[22:25], v5 offset0:192 offset1:224
	s_wait_dscnt 0x0
	v_fmac_f64_e32 v[16:17], v[22:23], v[30:31]
	v_fmac_f64_e32 v[16:17], v[24:25], v[32:33]
	ds_load_2addr_b64 v[22:25], v20 offset1:32
	ds_load_b128 v[26:29], v18 offset:128
	ds_load_b128 v[30:33], v18 offset:144
	s_wait_dscnt 0x1
	v_fmac_f64_e32 v[16:17], v[22:23], v[26:27]
	;; [unrolled: 22-line block ×3, first 2 shown]
	s_delay_alu instid0(VALU_DEP_1) | instskip(SKIP_3) | instid1(VALU_DEP_1)
	v_fmac_f64_e32 v[16:17], v[24:25], v[28:29]
	ds_load_2addr_b64 v[22:25], v21 offset0:64 offset1:96
	s_wait_dscnt 0x0
	v_fmac_f64_e32 v[16:17], v[22:23], v[30:31]
	v_fmac_f64_e32 v[16:17], v[24:25], v[32:33]
	ds_load_2addr_b64 v[22:25], v21 offset0:128 offset1:160
	ds_load_b128 v[26:29], v18 offset:224
	ds_load_b128 v[30:33], v18 offset:240
	s_wait_dscnt 0x1
	v_fmac_f64_e32 v[16:17], v[22:23], v[26:27]
	s_delay_alu instid0(VALU_DEP_1) | instskip(SKIP_3) | instid1(VALU_DEP_1)
	v_fmac_f64_e32 v[16:17], v[24:25], v[28:29]
	ds_load_2addr_b64 v[22:25], v21 offset0:192 offset1:224
	s_wait_dscnt 0x0
	v_fmac_f64_e32 v[16:17], v[22:23], v[30:31]
	v_fmac_f64_e32 v[16:17], v[24:25], v[32:33]
	s_delay_alu instid0(VALU_DEP_1)
	v_mul_f64_e32 v[14:15], v[14:15], v[16:17]
	v_lshl_add_u64 v[16:17], s[14:15], 3, v[10:11]
	global_store_b64 v[16:17], v[14:15], off
	s_branch .LBB60_2
.LBB60_19:
	s_endpgm
	.section	.rodata,"a",@progbits
	.p2align	6, 0x0
	.amdhsa_kernel _ZL23rocblas_trmm_lNx_kernelILi32EdPKdS0_dEv13rocblas_fill_17rocblas_diagonal_iiT1_lPT2_llS6_llPT3_lli
		.amdhsa_group_segment_fixed_size 16384
		.amdhsa_private_segment_fixed_size 0
		.amdhsa_kernarg_size 108
		.amdhsa_user_sgpr_count 2
		.amdhsa_user_sgpr_dispatch_ptr 0
		.amdhsa_user_sgpr_queue_ptr 0
		.amdhsa_user_sgpr_kernarg_segment_ptr 1
		.amdhsa_user_sgpr_dispatch_id 0
		.amdhsa_user_sgpr_kernarg_preload_length 0
		.amdhsa_user_sgpr_kernarg_preload_offset 0
		.amdhsa_user_sgpr_private_segment_size 0
		.amdhsa_wavefront_size32 1
		.amdhsa_uses_dynamic_stack 0
		.amdhsa_enable_private_segment 0
		.amdhsa_system_sgpr_workgroup_id_x 1
		.amdhsa_system_sgpr_workgroup_id_y 0
		.amdhsa_system_sgpr_workgroup_id_z 1
		.amdhsa_system_sgpr_workgroup_info 0
		.amdhsa_system_vgpr_workitem_id 1
		.amdhsa_next_free_vgpr 34
		.amdhsa_next_free_sgpr 36
		.amdhsa_named_barrier_count 0
		.amdhsa_reserve_vcc 1
		.amdhsa_float_round_mode_32 0
		.amdhsa_float_round_mode_16_64 0
		.amdhsa_float_denorm_mode_32 3
		.amdhsa_float_denorm_mode_16_64 3
		.amdhsa_fp16_overflow 0
		.amdhsa_memory_ordered 1
		.amdhsa_forward_progress 1
		.amdhsa_inst_pref_size 11
		.amdhsa_round_robin_scheduling 0
		.amdhsa_exception_fp_ieee_invalid_op 0
		.amdhsa_exception_fp_denorm_src 0
		.amdhsa_exception_fp_ieee_div_zero 0
		.amdhsa_exception_fp_ieee_overflow 0
		.amdhsa_exception_fp_ieee_underflow 0
		.amdhsa_exception_fp_ieee_inexact 0
		.amdhsa_exception_int_div_zero 0
	.end_amdhsa_kernel
	.section	.text._ZL23rocblas_trmm_lNx_kernelILi32EdPKdS0_dEv13rocblas_fill_17rocblas_diagonal_iiT1_lPT2_llS6_llPT3_lli,"axG",@progbits,_ZL23rocblas_trmm_lNx_kernelILi32EdPKdS0_dEv13rocblas_fill_17rocblas_diagonal_iiT1_lPT2_llS6_llPT3_lli,comdat
.Lfunc_end60:
	.size	_ZL23rocblas_trmm_lNx_kernelILi32EdPKdS0_dEv13rocblas_fill_17rocblas_diagonal_iiT1_lPT2_llS6_llPT3_lli, .Lfunc_end60-_ZL23rocblas_trmm_lNx_kernelILi32EdPKdS0_dEv13rocblas_fill_17rocblas_diagonal_iiT1_lPT2_llS6_llPT3_lli
                                        ; -- End function
	.set _ZL23rocblas_trmm_lNx_kernelILi32EdPKdS0_dEv13rocblas_fill_17rocblas_diagonal_iiT1_lPT2_llS6_llPT3_lli.num_vgpr, 34
	.set _ZL23rocblas_trmm_lNx_kernelILi32EdPKdS0_dEv13rocblas_fill_17rocblas_diagonal_iiT1_lPT2_llS6_llPT3_lli.num_agpr, 0
	.set _ZL23rocblas_trmm_lNx_kernelILi32EdPKdS0_dEv13rocblas_fill_17rocblas_diagonal_iiT1_lPT2_llS6_llPT3_lli.numbered_sgpr, 36
	.set _ZL23rocblas_trmm_lNx_kernelILi32EdPKdS0_dEv13rocblas_fill_17rocblas_diagonal_iiT1_lPT2_llS6_llPT3_lli.num_named_barrier, 0
	.set _ZL23rocblas_trmm_lNx_kernelILi32EdPKdS0_dEv13rocblas_fill_17rocblas_diagonal_iiT1_lPT2_llS6_llPT3_lli.private_seg_size, 0
	.set _ZL23rocblas_trmm_lNx_kernelILi32EdPKdS0_dEv13rocblas_fill_17rocblas_diagonal_iiT1_lPT2_llS6_llPT3_lli.uses_vcc, 1
	.set _ZL23rocblas_trmm_lNx_kernelILi32EdPKdS0_dEv13rocblas_fill_17rocblas_diagonal_iiT1_lPT2_llS6_llPT3_lli.uses_flat_scratch, 0
	.set _ZL23rocblas_trmm_lNx_kernelILi32EdPKdS0_dEv13rocblas_fill_17rocblas_diagonal_iiT1_lPT2_llS6_llPT3_lli.has_dyn_sized_stack, 0
	.set _ZL23rocblas_trmm_lNx_kernelILi32EdPKdS0_dEv13rocblas_fill_17rocblas_diagonal_iiT1_lPT2_llS6_llPT3_lli.has_recursion, 0
	.set _ZL23rocblas_trmm_lNx_kernelILi32EdPKdS0_dEv13rocblas_fill_17rocblas_diagonal_iiT1_lPT2_llS6_llPT3_lli.has_indirect_call, 0
	.section	.AMDGPU.csdata,"",@progbits
; Kernel info:
; codeLenInByte = 1316
; TotalNumSgprs: 38
; NumVgprs: 34
; ScratchSize: 0
; MemoryBound: 0
; FloatMode: 240
; IeeeMode: 1
; LDSByteSize: 16384 bytes/workgroup (compile time only)
; SGPRBlocks: 0
; VGPRBlocks: 2
; NumSGPRsForWavesPerEU: 38
; NumVGPRsForWavesPerEU: 34
; NamedBarCnt: 0
; Occupancy: 16
; WaveLimiterHint : 0
; COMPUTE_PGM_RSRC2:SCRATCH_EN: 0
; COMPUTE_PGM_RSRC2:USER_SGPR: 2
; COMPUTE_PGM_RSRC2:TRAP_HANDLER: 0
; COMPUTE_PGM_RSRC2:TGID_X_EN: 1
; COMPUTE_PGM_RSRC2:TGID_Y_EN: 0
; COMPUTE_PGM_RSRC2:TGID_Z_EN: 1
; COMPUTE_PGM_RSRC2:TIDIG_COMP_CNT: 1
	.section	.text._ZL23rocblas_trmm_lNx_kernelILi32EddKddEv13rocblas_fill_17rocblas_diagonal_iiT1_lPT2_llS5_llPT3_lli,"axG",@progbits,_ZL23rocblas_trmm_lNx_kernelILi32EddKddEv13rocblas_fill_17rocblas_diagonal_iiT1_lPT2_llS5_llPT3_lli,comdat
	.globl	_ZL23rocblas_trmm_lNx_kernelILi32EddKddEv13rocblas_fill_17rocblas_diagonal_iiT1_lPT2_llS5_llPT3_lli ; -- Begin function _ZL23rocblas_trmm_lNx_kernelILi32EddKddEv13rocblas_fill_17rocblas_diagonal_iiT1_lPT2_llS5_llPT3_lli
	.p2align	8
	.type	_ZL23rocblas_trmm_lNx_kernelILi32EddKddEv13rocblas_fill_17rocblas_diagonal_iiT1_lPT2_llS5_llPT3_lli,@function
_ZL23rocblas_trmm_lNx_kernelILi32EddKddEv13rocblas_fill_17rocblas_diagonal_iiT1_lPT2_llS5_llPT3_lli: ; @_ZL23rocblas_trmm_lNx_kernelILi32EddKddEv13rocblas_fill_17rocblas_diagonal_iiT1_lPT2_llS5_llPT3_lli
; %bb.0:
	s_load_b32 s30, s[0:1], 0x68
	s_bfe_u32 s2, ttmp6, 0x40014
	s_lshr_b32 s3, ttmp7, 16
	s_add_co_i32 s2, s2, 1
	s_bfe_u32 s5, ttmp6, 0x40008
	s_mul_i32 s4, s3, s2
	s_getreg_b32 s2, hwreg(HW_REG_IB_STS2, 6, 4)
	s_add_co_i32 s5, s5, s4
	s_cmp_eq_u32 s2, 0
	s_mov_b32 s25, 0
	s_cselect_b32 s24, s3, s5
	s_wait_kmcnt 0x0
	s_cmp_ge_u32 s24, s30
	s_cbranch_scc1 .LBB61_19
; %bb.1:
	s_clause 0x3
	s_load_b128 s[20:23], s[0:1], 0x0
	s_load_b512 s[4:19], s[0:1], 0x20
	s_load_b64 s[26:27], s[0:1], 0x10
	s_load_b64 s[28:29], s[0:1], 0x60
	v_bfe_u32 v2, v0, 10, 10
	v_mov_b32_e32 v3, 0
	s_wait_xcnt 0x0
	s_bfe_u32 s0, ttmp6, 0x4000c
	s_and_b32 s3, ttmp6, 15
	s_add_co_i32 s0, s0, 1
	v_lshlrev_b32_e32 v11, 5, v2
	s_mul_i32 s31, ttmp9, s0
	v_and_b32_e32 v10, 0x3ff, v0
	s_add_co_i32 s3, s3, s31
	v_mov_b32_e32 v1, v3
	v_lshl_add_u32 v14, v2, 8, 0x2000
	s_delay_alu instid0(VALU_DEP_3)
	v_lshlrev_b32_e32 v0, 3, v10
	v_cmp_eq_u32_e32 vcc_lo, v2, v10
	v_cmp_lt_u32_e64 s0, v10, v2
	v_cmp_gt_u32_e64 s1, v10, v2
	s_wait_kmcnt 0x0
	s_add_co_i32 s33, s23, -1
	v_mul_u64_e32 v[4:5], s[6:7], v[2:3]
	s_ashr_i32 s6, s33, 31
	v_mul_u64_e32 v[6:7], s[12:13], v[2:3]
	s_lshr_b32 s6, s6, 27
	v_mul_u64_e32 v[8:9], s[18:19], v[2:3]
	s_add_co_i32 s6, s33, s6
	v_add_lshl_u32 v15, v11, v10, 3
	s_and_b32 s7, s6, 0xffffffe0
	s_ashr_i32 s6, s6, 5
	s_sub_co_i32 s7, s23, s7
	s_cmp_eq_u32 s2, 0
	v_cmp_gt_i32_e64 s2, s22, v2
	s_cselect_b32 s23, ttmp9, s3
	v_cmp_gt_i32_e64 s3, s22, v10
	s_cmp_ge_i32 s23, s6
	v_mov_b64_e32 v[10:11], 1.0
	s_cselect_b32 s7, s7, 32
	s_lshl_b32 s22, s23, 5
	s_and_b32 s6, s2, s3
	v_cmp_gt_i32_e64 s2, s7, v2
	s_ashr_i32 s23, s22, 31
	v_add_nc_u32_e32 v16, 0x2000, v15
	s_mul_u64 s[12:13], s[12:13], s[22:23]
	s_mul_u64 s[18:19], s[18:19], s[22:23]
	s_lshl_b64 s[12:13], s[12:13], 3
	s_lshl_b64 s[18:19], s[18:19], 3
	s_add_nc_u64 s[10:11], s[10:11], s[12:13]
	s_add_nc_u64 s[12:13], s[16:17], s[18:19]
	s_and_b32 s2, s3, s2
	s_cmp_eq_u32 s21, 0x84
	v_add_nc_u32_e32 v17, 0x1000, v0
	s_cselect_b32 s3, -1, 0
	v_lshl_add_u64 v[2:3], v[4:5], 3, s[4:5]
	v_cmp_neq_f64_e64 s4, s[26:27], 0
	v_lshl_add_u64 v[4:5], v[6:7], 3, s[10:11]
	s_and_b32 s3, vcc_lo, s3
	v_lshl_add_u64 v[6:7], v[8:9], 3, s[12:13]
	v_add_nc_u64_e32 v[2:3], v[2:3], v[0:1]
	v_mov_b64_e32 v[8:9], 0
	v_add_nc_u64_e32 v[4:5], v[4:5], v[0:1]
	v_add_nc_u32_e32 v18, 0x1800, v0
	v_add_nc_u64_e32 v[6:7], v[6:7], v[0:1]
	v_add_nc_u32_e32 v1, 0x800, v0
	s_cmp_lg_u32 s20, 0x79
	s_cselect_b32 s5, -1, 0
	s_branch .LBB61_4
.LBB61_2:                               ;   in Loop: Header=BB61_4 Depth=1
	s_wait_xcnt 0x0
	s_or_b32 exec_lo, exec_lo, s7
.LBB61_3:                               ;   in Loop: Header=BB61_4 Depth=1
	s_add_co_i32 s24, s24, 0x10000
	s_delay_alu instid0(SALU_CYCLE_1)
	s_cmp_lt_u32 s24, s30
	s_cbranch_scc0 .LBB61_19
.LBB61_4:                               ; =>This Inner Loop Header: Depth=1
	s_and_not1_b32 vcc_lo, exec_lo, s4
	s_cbranch_vccnz .LBB61_3
; %bb.5:                                ;   in Loop: Header=BB61_4 Depth=1
	ds_store_b64 v15, v[8:9]
	ds_store_b64 v16, v[8:9]
	s_and_saveexec_b32 s7, s6
	s_cbranch_execnz .LBB61_10
; %bb.6:                                ;   in Loop: Header=BB61_4 Depth=1
	s_or_b32 exec_lo, exec_lo, s7
	s_and_saveexec_b32 s7, s2
	s_cbranch_execnz .LBB61_11
.LBB61_7:                               ;   in Loop: Header=BB61_4 Depth=1
	s_or_b32 exec_lo, exec_lo, s7
	s_and_saveexec_b32 s7, s3
	s_cbranch_execnz .LBB61_12
.LBB61_8:                               ;   in Loop: Header=BB61_4 Depth=1
	s_or_b32 exec_lo, exec_lo, s7
	s_delay_alu instid0(SALU_CYCLE_1)
	s_and_b32 vcc_lo, exec_lo, s5
	s_cbranch_vccz .LBB61_13
.LBB61_9:                               ;   in Loop: Header=BB61_4 Depth=1
	s_and_b32 s7, s0, exec_lo
	s_cbranch_execz .LBB61_14
	s_branch .LBB61_15
.LBB61_10:                              ;   in Loop: Header=BB61_4 Depth=1
	s_mul_u64 s[10:11], s[8:9], s[24:25]
	s_delay_alu instid0(SALU_CYCLE_1)
	v_lshl_add_u64 v[12:13], s[10:11], 3, v[2:3]
	global_load_b64 v[12:13], v[12:13], off
	s_wait_loadcnt 0x0
	ds_store_b64 v15, v[12:13]
	s_wait_xcnt 0x0
	s_or_b32 exec_lo, exec_lo, s7
	s_and_saveexec_b32 s7, s2
	s_cbranch_execz .LBB61_7
.LBB61_11:                              ;   in Loop: Header=BB61_4 Depth=1
	s_mul_u64 s[10:11], s[14:15], s[24:25]
	s_delay_alu instid0(SALU_CYCLE_1)
	v_lshl_add_u64 v[12:13], s[10:11], 3, v[4:5]
	global_load_b64 v[12:13], v[12:13], off
	s_wait_loadcnt 0x0
	ds_store_b64 v16, v[12:13]
	s_wait_xcnt 0x0
	s_or_b32 exec_lo, exec_lo, s7
	s_and_saveexec_b32 s7, s3
	s_cbranch_execz .LBB61_8
.LBB61_12:                              ;   in Loop: Header=BB61_4 Depth=1
	ds_store_b64 v15, v[10:11]
	s_or_b32 exec_lo, exec_lo, s7
	s_delay_alu instid0(SALU_CYCLE_1)
	s_and_b32 vcc_lo, exec_lo, s5
	s_cbranch_vccnz .LBB61_9
.LBB61_13:                              ;   in Loop: Header=BB61_4 Depth=1
	s_mov_b32 s7, 0
.LBB61_14:                              ;   in Loop: Header=BB61_4 Depth=1
	s_delay_alu instid0(SALU_CYCLE_1) | instskip(SKIP_1) | instid1(SALU_CYCLE_1)
	s_and_not1_b32 s7, s7, exec_lo
	s_and_b32 s10, s1, exec_lo
	s_or_b32 s7, s7, s10
.LBB61_15:                              ;   in Loop: Header=BB61_4 Depth=1
	s_delay_alu instid0(SALU_CYCLE_1)
	s_and_saveexec_b32 s10, s7
; %bb.16:                               ;   in Loop: Header=BB61_4 Depth=1
	ds_store_b64 v15, v[8:9]
; %bb.17:                               ;   in Loop: Header=BB61_4 Depth=1
	s_or_b32 exec_lo, exec_lo, s10
	s_wait_dscnt 0x0
	s_barrier_signal -1
	s_barrier_wait -1
	s_and_saveexec_b32 s7, s2
	s_cbranch_execz .LBB61_2
; %bb.18:                               ;   in Loop: Header=BB61_4 Depth=1
	ds_load_2addr_b64 v[20:23], v0 offset1:32
	ds_load_b128 v[24:27], v14
	ds_load_b128 v[28:31], v14 offset:16
	s_mul_u64 s[10:11], s[28:29], s[24:25]
	s_wait_dscnt 0x1
	v_fma_f64 v[12:13], v[20:21], v[24:25], 0
	s_delay_alu instid0(VALU_DEP_1) | instskip(SKIP_3) | instid1(VALU_DEP_1)
	v_fmac_f64_e32 v[12:13], v[22:23], v[26:27]
	ds_load_2addr_b64 v[20:23], v0 offset0:64 offset1:96
	s_wait_dscnt 0x0
	v_fmac_f64_e32 v[12:13], v[20:21], v[28:29]
	v_fmac_f64_e32 v[12:13], v[22:23], v[30:31]
	ds_load_2addr_b64 v[20:23], v0 offset0:128 offset1:160
	ds_load_b128 v[24:27], v14 offset:32
	ds_load_b128 v[28:31], v14 offset:48
	s_wait_dscnt 0x1
	v_fmac_f64_e32 v[12:13], v[20:21], v[24:25]
	s_delay_alu instid0(VALU_DEP_1) | instskip(SKIP_3) | instid1(VALU_DEP_1)
	v_fmac_f64_e32 v[12:13], v[22:23], v[26:27]
	ds_load_2addr_b64 v[20:23], v0 offset0:192 offset1:224
	s_wait_dscnt 0x0
	v_fmac_f64_e32 v[12:13], v[20:21], v[28:29]
	v_fmac_f64_e32 v[12:13], v[22:23], v[30:31]
	ds_load_2addr_b64 v[20:23], v1 offset1:32
	ds_load_b128 v[24:27], v14 offset:64
	ds_load_b128 v[28:31], v14 offset:80
	s_wait_dscnt 0x1
	v_fmac_f64_e32 v[12:13], v[20:21], v[24:25]
	s_delay_alu instid0(VALU_DEP_1) | instskip(SKIP_3) | instid1(VALU_DEP_1)
	v_fmac_f64_e32 v[12:13], v[22:23], v[26:27]
	ds_load_2addr_b64 v[20:23], v1 offset0:64 offset1:96
	s_wait_dscnt 0x0
	v_fmac_f64_e32 v[12:13], v[20:21], v[28:29]
	v_fmac_f64_e32 v[12:13], v[22:23], v[30:31]
	ds_load_2addr_b64 v[20:23], v1 offset0:128 offset1:160
	ds_load_b128 v[24:27], v14 offset:96
	ds_load_b128 v[28:31], v14 offset:112
	s_wait_dscnt 0x1
	v_fmac_f64_e32 v[12:13], v[20:21], v[24:25]
	s_delay_alu instid0(VALU_DEP_1) | instskip(SKIP_3) | instid1(VALU_DEP_1)
	v_fmac_f64_e32 v[12:13], v[22:23], v[26:27]
	ds_load_2addr_b64 v[20:23], v1 offset0:192 offset1:224
	s_wait_dscnt 0x0
	v_fmac_f64_e32 v[12:13], v[20:21], v[28:29]
	v_fmac_f64_e32 v[12:13], v[22:23], v[30:31]
	ds_load_2addr_b64 v[20:23], v17 offset1:32
	ds_load_b128 v[24:27], v14 offset:128
	ds_load_b128 v[28:31], v14 offset:144
	s_wait_dscnt 0x1
	v_fmac_f64_e32 v[12:13], v[20:21], v[24:25]
	;; [unrolled: 22-line block ×3, first 2 shown]
	s_delay_alu instid0(VALU_DEP_1) | instskip(SKIP_3) | instid1(VALU_DEP_1)
	v_fmac_f64_e32 v[12:13], v[22:23], v[26:27]
	ds_load_2addr_b64 v[20:23], v18 offset0:64 offset1:96
	s_wait_dscnt 0x0
	v_fmac_f64_e32 v[12:13], v[20:21], v[28:29]
	v_fmac_f64_e32 v[12:13], v[22:23], v[30:31]
	ds_load_2addr_b64 v[20:23], v18 offset0:128 offset1:160
	ds_load_b128 v[24:27], v14 offset:224
	ds_load_b128 v[28:31], v14 offset:240
	s_wait_dscnt 0x1
	v_fmac_f64_e32 v[12:13], v[20:21], v[24:25]
	s_delay_alu instid0(VALU_DEP_1) | instskip(SKIP_4) | instid1(VALU_DEP_2)
	v_fmac_f64_e32 v[12:13], v[22:23], v[26:27]
	ds_load_2addr_b64 v[20:23], v18 offset0:192 offset1:224
	s_wait_dscnt 0x0
	v_fmac_f64_e32 v[12:13], v[20:21], v[28:29]
	v_lshl_add_u64 v[20:21], s[10:11], 3, v[6:7]
	v_fmac_f64_e32 v[12:13], v[22:23], v[30:31]
	s_delay_alu instid0(VALU_DEP_1)
	v_mul_f64_e32 v[12:13], s[26:27], v[12:13]
	global_store_b64 v[20:21], v[12:13], off
	s_branch .LBB61_2
.LBB61_19:
	s_endpgm
	.section	.rodata,"a",@progbits
	.p2align	6, 0x0
	.amdhsa_kernel _ZL23rocblas_trmm_lNx_kernelILi32EddKddEv13rocblas_fill_17rocblas_diagonal_iiT1_lPT2_llS5_llPT3_lli
		.amdhsa_group_segment_fixed_size 16384
		.amdhsa_private_segment_fixed_size 0
		.amdhsa_kernarg_size 108
		.amdhsa_user_sgpr_count 2
		.amdhsa_user_sgpr_dispatch_ptr 0
		.amdhsa_user_sgpr_queue_ptr 0
		.amdhsa_user_sgpr_kernarg_segment_ptr 1
		.amdhsa_user_sgpr_dispatch_id 0
		.amdhsa_user_sgpr_kernarg_preload_length 0
		.amdhsa_user_sgpr_kernarg_preload_offset 0
		.amdhsa_user_sgpr_private_segment_size 0
		.amdhsa_wavefront_size32 1
		.amdhsa_uses_dynamic_stack 0
		.amdhsa_enable_private_segment 0
		.amdhsa_system_sgpr_workgroup_id_x 1
		.amdhsa_system_sgpr_workgroup_id_y 0
		.amdhsa_system_sgpr_workgroup_id_z 1
		.amdhsa_system_sgpr_workgroup_info 0
		.amdhsa_system_vgpr_workitem_id 1
		.amdhsa_next_free_vgpr 32
		.amdhsa_next_free_sgpr 34
		.amdhsa_named_barrier_count 0
		.amdhsa_reserve_vcc 1
		.amdhsa_float_round_mode_32 0
		.amdhsa_float_round_mode_16_64 0
		.amdhsa_float_denorm_mode_32 3
		.amdhsa_float_denorm_mode_16_64 3
		.amdhsa_fp16_overflow 0
		.amdhsa_memory_ordered 1
		.amdhsa_forward_progress 1
		.amdhsa_inst_pref_size 11
		.amdhsa_round_robin_scheduling 0
		.amdhsa_exception_fp_ieee_invalid_op 0
		.amdhsa_exception_fp_denorm_src 0
		.amdhsa_exception_fp_ieee_div_zero 0
		.amdhsa_exception_fp_ieee_overflow 0
		.amdhsa_exception_fp_ieee_underflow 0
		.amdhsa_exception_fp_ieee_inexact 0
		.amdhsa_exception_int_div_zero 0
	.end_amdhsa_kernel
	.section	.text._ZL23rocblas_trmm_lNx_kernelILi32EddKddEv13rocblas_fill_17rocblas_diagonal_iiT1_lPT2_llS5_llPT3_lli,"axG",@progbits,_ZL23rocblas_trmm_lNx_kernelILi32EddKddEv13rocblas_fill_17rocblas_diagonal_iiT1_lPT2_llS5_llPT3_lli,comdat
.Lfunc_end61:
	.size	_ZL23rocblas_trmm_lNx_kernelILi32EddKddEv13rocblas_fill_17rocblas_diagonal_iiT1_lPT2_llS5_llPT3_lli, .Lfunc_end61-_ZL23rocblas_trmm_lNx_kernelILi32EddKddEv13rocblas_fill_17rocblas_diagonal_iiT1_lPT2_llS5_llPT3_lli
                                        ; -- End function
	.set _ZL23rocblas_trmm_lNx_kernelILi32EddKddEv13rocblas_fill_17rocblas_diagonal_iiT1_lPT2_llS5_llPT3_lli.num_vgpr, 32
	.set _ZL23rocblas_trmm_lNx_kernelILi32EddKddEv13rocblas_fill_17rocblas_diagonal_iiT1_lPT2_llS5_llPT3_lli.num_agpr, 0
	.set _ZL23rocblas_trmm_lNx_kernelILi32EddKddEv13rocblas_fill_17rocblas_diagonal_iiT1_lPT2_llS5_llPT3_lli.numbered_sgpr, 34
	.set _ZL23rocblas_trmm_lNx_kernelILi32EddKddEv13rocblas_fill_17rocblas_diagonal_iiT1_lPT2_llS5_llPT3_lli.num_named_barrier, 0
	.set _ZL23rocblas_trmm_lNx_kernelILi32EddKddEv13rocblas_fill_17rocblas_diagonal_iiT1_lPT2_llS5_llPT3_lli.private_seg_size, 0
	.set _ZL23rocblas_trmm_lNx_kernelILi32EddKddEv13rocblas_fill_17rocblas_diagonal_iiT1_lPT2_llS5_llPT3_lli.uses_vcc, 1
	.set _ZL23rocblas_trmm_lNx_kernelILi32EddKddEv13rocblas_fill_17rocblas_diagonal_iiT1_lPT2_llS5_llPT3_lli.uses_flat_scratch, 0
	.set _ZL23rocblas_trmm_lNx_kernelILi32EddKddEv13rocblas_fill_17rocblas_diagonal_iiT1_lPT2_llS5_llPT3_lli.has_dyn_sized_stack, 0
	.set _ZL23rocblas_trmm_lNx_kernelILi32EddKddEv13rocblas_fill_17rocblas_diagonal_iiT1_lPT2_llS5_llPT3_lli.has_recursion, 0
	.set _ZL23rocblas_trmm_lNx_kernelILi32EddKddEv13rocblas_fill_17rocblas_diagonal_iiT1_lPT2_llS5_llPT3_lli.has_indirect_call, 0
	.section	.AMDGPU.csdata,"",@progbits
; Kernel info:
; codeLenInByte = 1284
; TotalNumSgprs: 36
; NumVgprs: 32
; ScratchSize: 0
; MemoryBound: 0
; FloatMode: 240
; IeeeMode: 1
; LDSByteSize: 16384 bytes/workgroup (compile time only)
; SGPRBlocks: 0
; VGPRBlocks: 1
; NumSGPRsForWavesPerEU: 36
; NumVGPRsForWavesPerEU: 32
; NamedBarCnt: 0
; Occupancy: 16
; WaveLimiterHint : 0
; COMPUTE_PGM_RSRC2:SCRATCH_EN: 0
; COMPUTE_PGM_RSRC2:USER_SGPR: 2
; COMPUTE_PGM_RSRC2:TRAP_HANDLER: 0
; COMPUTE_PGM_RSRC2:TGID_X_EN: 1
; COMPUTE_PGM_RSRC2:TGID_Y_EN: 0
; COMPUTE_PGM_RSRC2:TGID_Z_EN: 1
; COMPUTE_PGM_RSRC2:TIDIG_COMP_CNT: 1
	.section	.text._ZL23rocblas_trmm_lTx_kernelILi32ELb0EdPKdS0_dEv13rocblas_fill_17rocblas_diagonal_iiT2_lPT3_llS6_llPT4_lli,"axG",@progbits,_ZL23rocblas_trmm_lTx_kernelILi32ELb0EdPKdS0_dEv13rocblas_fill_17rocblas_diagonal_iiT2_lPT3_llS6_llPT4_lli,comdat
	.globl	_ZL23rocblas_trmm_lTx_kernelILi32ELb0EdPKdS0_dEv13rocblas_fill_17rocblas_diagonal_iiT2_lPT3_llS6_llPT4_lli ; -- Begin function _ZL23rocblas_trmm_lTx_kernelILi32ELb0EdPKdS0_dEv13rocblas_fill_17rocblas_diagonal_iiT2_lPT3_llS6_llPT4_lli
	.p2align	8
	.type	_ZL23rocblas_trmm_lTx_kernelILi32ELb0EdPKdS0_dEv13rocblas_fill_17rocblas_diagonal_iiT2_lPT3_llS6_llPT4_lli,@function
_ZL23rocblas_trmm_lTx_kernelILi32ELb0EdPKdS0_dEv13rocblas_fill_17rocblas_diagonal_iiT2_lPT3_llS6_llPT4_lli: ; @_ZL23rocblas_trmm_lTx_kernelILi32ELb0EdPKdS0_dEv13rocblas_fill_17rocblas_diagonal_iiT2_lPT3_llS6_llPT4_lli
; %bb.0:
	s_load_b32 s33, s[0:1], 0x68
	s_bfe_u32 s2, ttmp6, 0x40014
	s_lshr_b32 s3, ttmp7, 16
	s_add_co_i32 s2, s2, 1
	s_bfe_u32 s5, ttmp6, 0x40008
	s_mul_i32 s4, s3, s2
	s_getreg_b32 s2, hwreg(HW_REG_IB_STS2, 6, 4)
	s_add_co_i32 s5, s5, s4
	s_cmp_eq_u32 s2, 0
	s_mov_b32 s29, 0
	s_cselect_b32 s28, s3, s5
	s_wait_kmcnt 0x0
	s_cmp_ge_u32 s28, s33
	s_cbranch_scc1 .LBB62_19
; %bb.1:
	s_clause 0x3
	s_load_b128 s[20:23], s[0:1], 0x0
	s_load_b512 s[4:19], s[0:1], 0x10
	s_load_b128 s[24:27], s[0:1], 0x50
	s_load_b64 s[30:31], s[0:1], 0x60
	v_bfe_u32 v2, v0, 10, 10
	v_mov_b32_e32 v3, 0
	s_wait_xcnt 0x0
	s_bfe_u32 s0, ttmp6, 0x4000c
	s_and_b32 s3, ttmp6, 15
	s_add_co_i32 s0, s0, 1
	v_lshlrev_b32_e32 v11, 3, v2
	s_mul_i32 s34, ttmp9, s0
	v_and_b32_e32 v10, 0x3ff, v0
	s_add_co_i32 s3, s3, s34
	v_dual_mov_b32 v1, v3 :: v_dual_lshlrev_b32 v12, 5, v2
	v_lshl_add_u32 v18, v2, 8, 0x2000
	s_delay_alu instid0(VALU_DEP_3) | instskip(SKIP_1) | instid1(VALU_DEP_4)
	v_dual_lshlrev_b32 v0, 3, v10 :: v_dual_lshlrev_b32 v13, 8, v10
	v_cmp_eq_u32_e32 vcc_lo, v2, v10
	v_add_lshl_u32 v19, v12, v10, 3
	s_wait_kmcnt 0x0
	s_add_co_i32 s35, s23, -1
	v_mul_u64_e32 v[4:5], s[10:11], v[2:3]
	v_mul_u64_e32 v[6:7], s[16:17], v[2:3]
	;; [unrolled: 1-line block ×3, first 2 shown]
	s_ashr_i32 s10, s35, 31
	v_cmp_lt_u32_e64 s0, v10, v2
	s_lshr_b32 s10, s10, 27
	v_cmp_gt_u32_e64 s1, v10, v2
	s_add_co_i32 s10, s35, s10
	v_add_nc_u32_e32 v20, 0x800, v0
	s_and_b32 s11, s10, 0xffffffe0
	s_ashr_i32 s10, s10, 5
	s_sub_co_i32 s11, s23, s11
	s_cmp_eq_u32 s2, 0
	v_cmp_gt_i32_e64 s2, s22, v2
	s_cselect_b32 s23, ttmp9, s3
	v_cmp_gt_i32_e64 s3, s22, v10
	s_cmp_ge_i32 s23, s10
	v_add_nc_u32_e32 v21, 0x1000, v0
	s_cselect_b32 s11, s11, 32
	s_lshl_b32 s22, s23, 5
	s_and_b32 s10, s2, s3
	s_ashr_i32 s23, s22, 31
	v_cmp_gt_i32_e64 s2, s11, v2
	s_mul_u64 s[16:17], s[16:17], s[22:23]
	s_mul_u64 s[22:23], s[26:27], s[22:23]
	s_lshl_b64 s[16:17], s[16:17], 3
	s_lshl_b64 s[22:23], s[22:23], 3
	s_add_nc_u64 s[14:15], s[14:15], s[16:17]
	s_add_nc_u64 s[16:17], s[24:25], s[22:23]
	s_and_b32 s2, s3, s2
	s_cmp_eq_u32 s21, 0x84
	v_add_nc_u32_e32 v2, 0x2000, v19
	v_lshl_add_u64 v[4:5], v[4:5], 3, s[8:9]
	v_lshl_add_u64 v[6:7], v[6:7], 3, s[14:15]
	;; [unrolled: 1-line block ×3, first 2 shown]
	s_cselect_b32 s3, -1, 0
	v_add_nc_u32_e32 v22, 0x1800, v0
	v_add_nc_u64_e32 v[4:5], v[4:5], v[0:1]
	v_add_nc_u64_e32 v[6:7], v[6:7], v[0:1]
	;; [unrolled: 1-line block ×3, first 2 shown]
	v_add_nc_u32_e32 v1, v11, v13
	v_mov_b64_e32 v[10:11], 0
	v_mov_b64_e32 v[12:13], 1.0
	s_and_b32 s3, vcc_lo, s3
	s_cmp_lg_u32 s20, 0x7a
	s_cselect_b32 s8, -1, 0
	s_branch .LBB62_4
.LBB62_2:                               ;   in Loop: Header=BB62_4 Depth=1
	s_wait_xcnt 0x0
	s_or_b32 exec_lo, exec_lo, s9
.LBB62_3:                               ;   in Loop: Header=BB62_4 Depth=1
	s_add_co_i32 s28, s28, 0x10000
	s_delay_alu instid0(SALU_CYCLE_1)
	s_cmp_lt_u32 s28, s33
	s_cbranch_scc0 .LBB62_19
.LBB62_4:                               ; =>This Inner Loop Header: Depth=1
	s_wait_xcnt 0x0
	s_mul_u64 s[14:15], s[6:7], s[28:29]
	s_delay_alu instid0(SALU_CYCLE_1) | instskip(NEXT) | instid1(SALU_CYCLE_1)
	s_lshl_b64 s[14:15], s[14:15], 3
	s_add_nc_u64 s[14:15], s[4:5], s[14:15]
	global_load_b64 v[14:15], v3, s[14:15]
	s_wait_loadcnt 0x0
	v_cmp_eq_f64_e32 vcc_lo, 0, v[14:15]
	s_cbranch_vccnz .LBB62_3
; %bb.5:                                ;   in Loop: Header=BB62_4 Depth=1
	ds_store_b64 v19, v[10:11]
	ds_store_b64 v2, v[10:11]
	s_wait_dscnt 0x0
	s_barrier_signal -1
	s_barrier_wait -1
	s_wait_xcnt 0x0
	s_and_saveexec_b32 s9, s10
	s_cbranch_execnz .LBB62_11
; %bb.6:                                ;   in Loop: Header=BB62_4 Depth=1
	s_or_b32 exec_lo, exec_lo, s9
	s_and_saveexec_b32 s9, s2
	s_cbranch_execnz .LBB62_12
.LBB62_7:                               ;   in Loop: Header=BB62_4 Depth=1
	s_or_b32 exec_lo, exec_lo, s9
	s_and_saveexec_b32 s9, s3
.LBB62_8:                               ;   in Loop: Header=BB62_4 Depth=1
	ds_store_b64 v19, v[12:13]
.LBB62_9:                               ;   in Loop: Header=BB62_4 Depth=1
	s_or_b32 exec_lo, exec_lo, s9
	s_delay_alu instid0(SALU_CYCLE_1)
	s_and_b32 vcc_lo, exec_lo, s8
	s_wait_dscnt 0x0
	s_barrier_signal -1
	s_barrier_wait -1
	s_cbranch_vccz .LBB62_13
; %bb.10:                               ;   in Loop: Header=BB62_4 Depth=1
	s_and_b32 s9, s0, exec_lo
	s_cbranch_execz .LBB62_14
	s_branch .LBB62_15
.LBB62_11:                              ;   in Loop: Header=BB62_4 Depth=1
	s_mul_u64 s[14:15], s[12:13], s[28:29]
	s_delay_alu instid0(SALU_CYCLE_1)
	v_lshl_add_u64 v[16:17], s[14:15], 3, v[4:5]
	global_load_b64 v[16:17], v[16:17], off
	s_wait_loadcnt 0x0
	ds_store_b64 v1, v[16:17]
	s_wait_xcnt 0x0
	s_or_b32 exec_lo, exec_lo, s9
	s_and_saveexec_b32 s9, s2
	s_cbranch_execz .LBB62_7
.LBB62_12:                              ;   in Loop: Header=BB62_4 Depth=1
	s_mul_u64 s[14:15], s[18:19], s[28:29]
	s_delay_alu instid0(SALU_CYCLE_1)
	v_lshl_add_u64 v[16:17], s[14:15], 3, v[6:7]
	global_load_b64 v[16:17], v[16:17], off
	s_wait_loadcnt 0x0
	ds_store_b64 v2, v[16:17]
	s_wait_xcnt 0x0
	s_or_b32 exec_lo, exec_lo, s9
	s_and_saveexec_b32 s9, s3
	s_cbranch_execnz .LBB62_8
	s_branch .LBB62_9
.LBB62_13:                              ;   in Loop: Header=BB62_4 Depth=1
	s_mov_b32 s9, 0
.LBB62_14:                              ;   in Loop: Header=BB62_4 Depth=1
	s_delay_alu instid0(SALU_CYCLE_1) | instskip(SKIP_1) | instid1(SALU_CYCLE_1)
	s_and_not1_b32 s9, s9, exec_lo
	s_and_b32 s11, s1, exec_lo
	s_or_b32 s9, s9, s11
.LBB62_15:                              ;   in Loop: Header=BB62_4 Depth=1
	s_delay_alu instid0(SALU_CYCLE_1)
	s_and_saveexec_b32 s11, s9
; %bb.16:                               ;   in Loop: Header=BB62_4 Depth=1
	ds_store_b64 v19, v[10:11]
; %bb.17:                               ;   in Loop: Header=BB62_4 Depth=1
	s_or_b32 exec_lo, exec_lo, s11
	s_wait_dscnt 0x0
	s_barrier_signal -1
	s_barrier_wait -1
	s_and_saveexec_b32 s9, s2
	s_cbranch_execz .LBB62_2
; %bb.18:                               ;   in Loop: Header=BB62_4 Depth=1
	ds_load_2addr_b64 v[24:27], v0 offset1:32
	ds_load_b128 v[28:31], v18
	ds_load_b128 v[32:35], v18 offset:16
	s_mul_u64 s[14:15], s[30:31], s[28:29]
	s_wait_dscnt 0x1
	v_fma_f64 v[16:17], v[24:25], v[28:29], 0
	s_delay_alu instid0(VALU_DEP_1) | instskip(SKIP_3) | instid1(VALU_DEP_1)
	v_fmac_f64_e32 v[16:17], v[26:27], v[30:31]
	ds_load_2addr_b64 v[24:27], v0 offset0:64 offset1:96
	s_wait_dscnt 0x0
	v_fmac_f64_e32 v[16:17], v[24:25], v[32:33]
	v_fmac_f64_e32 v[16:17], v[26:27], v[34:35]
	ds_load_2addr_b64 v[24:27], v0 offset0:128 offset1:160
	ds_load_b128 v[28:31], v18 offset:32
	ds_load_b128 v[32:35], v18 offset:48
	s_wait_dscnt 0x1
	v_fmac_f64_e32 v[16:17], v[24:25], v[28:29]
	s_delay_alu instid0(VALU_DEP_1) | instskip(SKIP_3) | instid1(VALU_DEP_1)
	v_fmac_f64_e32 v[16:17], v[26:27], v[30:31]
	ds_load_2addr_b64 v[24:27], v0 offset0:192 offset1:224
	s_wait_dscnt 0x0
	v_fmac_f64_e32 v[16:17], v[24:25], v[32:33]
	v_fmac_f64_e32 v[16:17], v[26:27], v[34:35]
	ds_load_2addr_b64 v[24:27], v20 offset1:32
	ds_load_b128 v[28:31], v18 offset:64
	ds_load_b128 v[32:35], v18 offset:80
	s_wait_dscnt 0x1
	v_fmac_f64_e32 v[16:17], v[24:25], v[28:29]
	s_delay_alu instid0(VALU_DEP_1) | instskip(SKIP_3) | instid1(VALU_DEP_1)
	v_fmac_f64_e32 v[16:17], v[26:27], v[30:31]
	ds_load_2addr_b64 v[24:27], v20 offset0:64 offset1:96
	s_wait_dscnt 0x0
	v_fmac_f64_e32 v[16:17], v[24:25], v[32:33]
	v_fmac_f64_e32 v[16:17], v[26:27], v[34:35]
	ds_load_2addr_b64 v[24:27], v20 offset0:128 offset1:160
	ds_load_b128 v[28:31], v18 offset:96
	ds_load_b128 v[32:35], v18 offset:112
	s_wait_dscnt 0x1
	v_fmac_f64_e32 v[16:17], v[24:25], v[28:29]
	s_delay_alu instid0(VALU_DEP_1) | instskip(SKIP_3) | instid1(VALU_DEP_1)
	v_fmac_f64_e32 v[16:17], v[26:27], v[30:31]
	ds_load_2addr_b64 v[24:27], v20 offset0:192 offset1:224
	s_wait_dscnt 0x0
	v_fmac_f64_e32 v[16:17], v[24:25], v[32:33]
	v_fmac_f64_e32 v[16:17], v[26:27], v[34:35]
	ds_load_2addr_b64 v[24:27], v21 offset1:32
	ds_load_b128 v[28:31], v18 offset:128
	ds_load_b128 v[32:35], v18 offset:144
	s_wait_dscnt 0x1
	v_fmac_f64_e32 v[16:17], v[24:25], v[28:29]
	;; [unrolled: 22-line block ×3, first 2 shown]
	s_delay_alu instid0(VALU_DEP_1) | instskip(SKIP_3) | instid1(VALU_DEP_1)
	v_fmac_f64_e32 v[16:17], v[26:27], v[30:31]
	ds_load_2addr_b64 v[24:27], v22 offset0:64 offset1:96
	s_wait_dscnt 0x0
	v_fmac_f64_e32 v[16:17], v[24:25], v[32:33]
	v_fmac_f64_e32 v[16:17], v[26:27], v[34:35]
	ds_load_2addr_b64 v[24:27], v22 offset0:128 offset1:160
	ds_load_b128 v[28:31], v18 offset:224
	ds_load_b128 v[32:35], v18 offset:240
	s_wait_dscnt 0x1
	v_fmac_f64_e32 v[16:17], v[24:25], v[28:29]
	s_delay_alu instid0(VALU_DEP_1) | instskip(SKIP_3) | instid1(VALU_DEP_1)
	v_fmac_f64_e32 v[16:17], v[26:27], v[30:31]
	ds_load_2addr_b64 v[24:27], v22 offset0:192 offset1:224
	s_wait_dscnt 0x0
	v_fmac_f64_e32 v[16:17], v[24:25], v[32:33]
	v_fmac_f64_e32 v[16:17], v[26:27], v[34:35]
	s_delay_alu instid0(VALU_DEP_1)
	v_mul_f64_e32 v[14:15], v[14:15], v[16:17]
	v_lshl_add_u64 v[16:17], s[14:15], 3, v[8:9]
	global_store_b64 v[16:17], v[14:15], off
	s_branch .LBB62_2
.LBB62_19:
	s_endpgm
	.section	.rodata,"a",@progbits
	.p2align	6, 0x0
	.amdhsa_kernel _ZL23rocblas_trmm_lTx_kernelILi32ELb0EdPKdS0_dEv13rocblas_fill_17rocblas_diagonal_iiT2_lPT3_llS6_llPT4_lli
		.amdhsa_group_segment_fixed_size 16384
		.amdhsa_private_segment_fixed_size 0
		.amdhsa_kernarg_size 108
		.amdhsa_user_sgpr_count 2
		.amdhsa_user_sgpr_dispatch_ptr 0
		.amdhsa_user_sgpr_queue_ptr 0
		.amdhsa_user_sgpr_kernarg_segment_ptr 1
		.amdhsa_user_sgpr_dispatch_id 0
		.amdhsa_user_sgpr_kernarg_preload_length 0
		.amdhsa_user_sgpr_kernarg_preload_offset 0
		.amdhsa_user_sgpr_private_segment_size 0
		.amdhsa_wavefront_size32 1
		.amdhsa_uses_dynamic_stack 0
		.amdhsa_enable_private_segment 0
		.amdhsa_system_sgpr_workgroup_id_x 1
		.amdhsa_system_sgpr_workgroup_id_y 0
		.amdhsa_system_sgpr_workgroup_id_z 1
		.amdhsa_system_sgpr_workgroup_info 0
		.amdhsa_system_vgpr_workitem_id 1
		.amdhsa_next_free_vgpr 36
		.amdhsa_next_free_sgpr 36
		.amdhsa_named_barrier_count 0
		.amdhsa_reserve_vcc 1
		.amdhsa_float_round_mode_32 0
		.amdhsa_float_round_mode_16_64 0
		.amdhsa_float_denorm_mode_32 3
		.amdhsa_float_denorm_mode_16_64 3
		.amdhsa_fp16_overflow 0
		.amdhsa_memory_ordered 1
		.amdhsa_forward_progress 1
		.amdhsa_inst_pref_size 11
		.amdhsa_round_robin_scheduling 0
		.amdhsa_exception_fp_ieee_invalid_op 0
		.amdhsa_exception_fp_denorm_src 0
		.amdhsa_exception_fp_ieee_div_zero 0
		.amdhsa_exception_fp_ieee_overflow 0
		.amdhsa_exception_fp_ieee_underflow 0
		.amdhsa_exception_fp_ieee_inexact 0
		.amdhsa_exception_int_div_zero 0
	.end_amdhsa_kernel
	.section	.text._ZL23rocblas_trmm_lTx_kernelILi32ELb0EdPKdS0_dEv13rocblas_fill_17rocblas_diagonal_iiT2_lPT3_llS6_llPT4_lli,"axG",@progbits,_ZL23rocblas_trmm_lTx_kernelILi32ELb0EdPKdS0_dEv13rocblas_fill_17rocblas_diagonal_iiT2_lPT3_llS6_llPT4_lli,comdat
.Lfunc_end62:
	.size	_ZL23rocblas_trmm_lTx_kernelILi32ELb0EdPKdS0_dEv13rocblas_fill_17rocblas_diagonal_iiT2_lPT3_llS6_llPT4_lli, .Lfunc_end62-_ZL23rocblas_trmm_lTx_kernelILi32ELb0EdPKdS0_dEv13rocblas_fill_17rocblas_diagonal_iiT2_lPT3_llS6_llPT4_lli
                                        ; -- End function
	.set _ZL23rocblas_trmm_lTx_kernelILi32ELb0EdPKdS0_dEv13rocblas_fill_17rocblas_diagonal_iiT2_lPT3_llS6_llPT4_lli.num_vgpr, 36
	.set _ZL23rocblas_trmm_lTx_kernelILi32ELb0EdPKdS0_dEv13rocblas_fill_17rocblas_diagonal_iiT2_lPT3_llS6_llPT4_lli.num_agpr, 0
	.set _ZL23rocblas_trmm_lTx_kernelILi32ELb0EdPKdS0_dEv13rocblas_fill_17rocblas_diagonal_iiT2_lPT3_llS6_llPT4_lli.numbered_sgpr, 36
	.set _ZL23rocblas_trmm_lTx_kernelILi32ELb0EdPKdS0_dEv13rocblas_fill_17rocblas_diagonal_iiT2_lPT3_llS6_llPT4_lli.num_named_barrier, 0
	.set _ZL23rocblas_trmm_lTx_kernelILi32ELb0EdPKdS0_dEv13rocblas_fill_17rocblas_diagonal_iiT2_lPT3_llS6_llPT4_lli.private_seg_size, 0
	.set _ZL23rocblas_trmm_lTx_kernelILi32ELb0EdPKdS0_dEv13rocblas_fill_17rocblas_diagonal_iiT2_lPT3_llS6_llPT4_lli.uses_vcc, 1
	.set _ZL23rocblas_trmm_lTx_kernelILi32ELb0EdPKdS0_dEv13rocblas_fill_17rocblas_diagonal_iiT2_lPT3_llS6_llPT4_lli.uses_flat_scratch, 0
	.set _ZL23rocblas_trmm_lTx_kernelILi32ELb0EdPKdS0_dEv13rocblas_fill_17rocblas_diagonal_iiT2_lPT3_llS6_llPT4_lli.has_dyn_sized_stack, 0
	.set _ZL23rocblas_trmm_lTx_kernelILi32ELb0EdPKdS0_dEv13rocblas_fill_17rocblas_diagonal_iiT2_lPT3_llS6_llPT4_lli.has_recursion, 0
	.set _ZL23rocblas_trmm_lTx_kernelILi32ELb0EdPKdS0_dEv13rocblas_fill_17rocblas_diagonal_iiT2_lPT3_llS6_llPT4_lli.has_indirect_call, 0
	.section	.AMDGPU.csdata,"",@progbits
; Kernel info:
; codeLenInByte = 1340
; TotalNumSgprs: 38
; NumVgprs: 36
; ScratchSize: 0
; MemoryBound: 0
; FloatMode: 240
; IeeeMode: 1
; LDSByteSize: 16384 bytes/workgroup (compile time only)
; SGPRBlocks: 0
; VGPRBlocks: 2
; NumSGPRsForWavesPerEU: 38
; NumVGPRsForWavesPerEU: 36
; NamedBarCnt: 0
; Occupancy: 16
; WaveLimiterHint : 0
; COMPUTE_PGM_RSRC2:SCRATCH_EN: 0
; COMPUTE_PGM_RSRC2:USER_SGPR: 2
; COMPUTE_PGM_RSRC2:TRAP_HANDLER: 0
; COMPUTE_PGM_RSRC2:TGID_X_EN: 1
; COMPUTE_PGM_RSRC2:TGID_Y_EN: 0
; COMPUTE_PGM_RSRC2:TGID_Z_EN: 1
; COMPUTE_PGM_RSRC2:TIDIG_COMP_CNT: 1
	.section	.text._ZL23rocblas_trmm_lTx_kernelILi32ELb0EddKddEv13rocblas_fill_17rocblas_diagonal_iiT2_lPT3_llS5_llPT4_lli,"axG",@progbits,_ZL23rocblas_trmm_lTx_kernelILi32ELb0EddKddEv13rocblas_fill_17rocblas_diagonal_iiT2_lPT3_llS5_llPT4_lli,comdat
	.globl	_ZL23rocblas_trmm_lTx_kernelILi32ELb0EddKddEv13rocblas_fill_17rocblas_diagonal_iiT2_lPT3_llS5_llPT4_lli ; -- Begin function _ZL23rocblas_trmm_lTx_kernelILi32ELb0EddKddEv13rocblas_fill_17rocblas_diagonal_iiT2_lPT3_llS5_llPT4_lli
	.p2align	8
	.type	_ZL23rocblas_trmm_lTx_kernelILi32ELb0EddKddEv13rocblas_fill_17rocblas_diagonal_iiT2_lPT3_llS5_llPT4_lli,@function
_ZL23rocblas_trmm_lTx_kernelILi32ELb0EddKddEv13rocblas_fill_17rocblas_diagonal_iiT2_lPT3_llS5_llPT4_lli: ; @_ZL23rocblas_trmm_lTx_kernelILi32ELb0EddKddEv13rocblas_fill_17rocblas_diagonal_iiT2_lPT3_llS5_llPT4_lli
; %bb.0:
	s_load_b32 s30, s[0:1], 0x68
	s_bfe_u32 s2, ttmp6, 0x40014
	s_lshr_b32 s3, ttmp7, 16
	s_add_co_i32 s2, s2, 1
	s_bfe_u32 s5, ttmp6, 0x40008
	s_mul_i32 s4, s3, s2
	s_getreg_b32 s2, hwreg(HW_REG_IB_STS2, 6, 4)
	s_add_co_i32 s5, s5, s4
	s_cmp_eq_u32 s2, 0
	s_mov_b32 s25, 0
	s_cselect_b32 s24, s3, s5
	s_wait_kmcnt 0x0
	s_cmp_ge_u32 s24, s30
	s_cbranch_scc1 .LBB63_19
; %bb.1:
	s_clause 0x3
	s_load_b128 s[20:23], s[0:1], 0x0
	s_load_b512 s[4:19], s[0:1], 0x20
	s_load_b64 s[26:27], s[0:1], 0x10
	s_load_b64 s[28:29], s[0:1], 0x60
	v_bfe_u32 v2, v0, 10, 10
	v_mov_b32_e32 v3, 0
	s_wait_xcnt 0x0
	s_bfe_u32 s0, ttmp6, 0x4000c
	s_and_b32 s3, ttmp6, 15
	s_add_co_i32 s0, s0, 1
	v_lshlrev_b32_e32 v11, 3, v2
	s_mul_i32 s31, ttmp9, s0
	v_and_b32_e32 v10, 0x3ff, v0
	s_add_co_i32 s3, s3, s31
	v_dual_mov_b32 v1, v3 :: v_dual_lshlrev_b32 v12, 5, v2
	v_lshl_add_u32 v14, v2, 8, 0x2000
	s_delay_alu instid0(VALU_DEP_3)
	v_cmp_eq_u32_e32 vcc_lo, v2, v10
	v_cmp_lt_u32_e64 s0, v10, v2
	v_cmp_gt_u32_e64 s1, v10, v2
	v_dual_lshlrev_b32 v0, 3, v10 :: v_dual_lshlrev_b32 v13, 8, v10
	s_wait_kmcnt 0x0
	v_mul_u64_e32 v[4:5], s[6:7], v[2:3]
	s_add_co_i32 s33, s23, -1
	v_mul_u64_e32 v[6:7], s[12:13], v[2:3]
	s_ashr_i32 s6, s33, 31
	v_mul_u64_e32 v[8:9], s[18:19], v[2:3]
	s_lshr_b32 s6, s6, 27
	v_add_lshl_u32 v15, v12, v10, 3
	s_add_co_i32 s6, s33, s6
	v_add_nc_u32_e32 v17, 0x800, v0
	s_and_b32 s7, s6, 0xffffffe0
	s_ashr_i32 s6, s6, 5
	s_sub_co_i32 s7, s23, s7
	s_cmp_eq_u32 s2, 0
	v_cmp_gt_i32_e64 s2, s22, v2
	s_cselect_b32 s23, ttmp9, s3
	v_cmp_gt_i32_e64 s3, s22, v10
	s_cmp_ge_i32 s23, s6
	v_add_nc_u32_e32 v16, 0x2000, v15
	s_cselect_b32 s7, s7, 32
	s_lshl_b32 s22, s23, 5
	s_and_b32 s6, s2, s3
	v_cmp_gt_i32_e64 s2, s7, v2
	s_ashr_i32 s23, s22, 31
	v_add_nc_u32_e32 v18, 0x1000, v0
	s_mul_u64 s[12:13], s[12:13], s[22:23]
	s_mul_u64 s[18:19], s[18:19], s[22:23]
	s_lshl_b64 s[12:13], s[12:13], 3
	s_lshl_b64 s[18:19], s[18:19], 3
	s_add_nc_u64 s[10:11], s[10:11], s[12:13]
	s_add_nc_u64 s[12:13], s[16:17], s[18:19]
	s_and_b32 s2, s3, s2
	s_cmp_eq_u32 s21, 0x84
	v_lshl_add_u64 v[2:3], v[4:5], 3, s[4:5]
	v_cmp_neq_f64_e64 s4, s[26:27], 0
	v_lshl_add_u64 v[4:5], v[6:7], 3, s[10:11]
	s_cselect_b32 s3, -1, 0
	v_lshl_add_u64 v[6:7], v[8:9], 3, s[12:13]
	v_add_nc_u64_e32 v[2:3], v[2:3], v[0:1]
	v_mov_b64_e32 v[8:9], 0
	v_add_nc_u64_e32 v[4:5], v[4:5], v[0:1]
	s_and_b32 s3, vcc_lo, s3
	v_add_nc_u64_e32 v[6:7], v[6:7], v[0:1]
	v_add_nc_u32_e32 v1, v11, v13
	v_mov_b64_e32 v[10:11], 1.0
	v_add_nc_u32_e32 v19, 0x1800, v0
	s_cmp_lg_u32 s20, 0x7a
	s_cselect_b32 s5, -1, 0
	s_branch .LBB63_4
.LBB63_2:                               ;   in Loop: Header=BB63_4 Depth=1
	s_wait_xcnt 0x0
	s_or_b32 exec_lo, exec_lo, s7
.LBB63_3:                               ;   in Loop: Header=BB63_4 Depth=1
	s_add_co_i32 s24, s24, 0x10000
	s_delay_alu instid0(SALU_CYCLE_1)
	s_cmp_lt_u32 s24, s30
	s_cbranch_scc0 .LBB63_19
.LBB63_4:                               ; =>This Inner Loop Header: Depth=1
	s_and_not1_b32 vcc_lo, exec_lo, s4
	s_cbranch_vccnz .LBB63_3
; %bb.5:                                ;   in Loop: Header=BB63_4 Depth=1
	ds_store_b64 v15, v[8:9]
	ds_store_b64 v16, v[8:9]
	s_wait_dscnt 0x0
	s_barrier_signal -1
	s_barrier_wait -1
	s_and_saveexec_b32 s7, s6
	s_cbranch_execnz .LBB63_11
; %bb.6:                                ;   in Loop: Header=BB63_4 Depth=1
	s_or_b32 exec_lo, exec_lo, s7
	s_and_saveexec_b32 s7, s2
	s_cbranch_execnz .LBB63_12
.LBB63_7:                               ;   in Loop: Header=BB63_4 Depth=1
	s_or_b32 exec_lo, exec_lo, s7
	s_and_saveexec_b32 s7, s3
.LBB63_8:                               ;   in Loop: Header=BB63_4 Depth=1
	ds_store_b64 v15, v[10:11]
.LBB63_9:                               ;   in Loop: Header=BB63_4 Depth=1
	s_or_b32 exec_lo, exec_lo, s7
	s_delay_alu instid0(SALU_CYCLE_1)
	s_and_b32 vcc_lo, exec_lo, s5
	s_wait_dscnt 0x0
	s_barrier_signal -1
	s_barrier_wait -1
	s_cbranch_vccz .LBB63_13
; %bb.10:                               ;   in Loop: Header=BB63_4 Depth=1
	s_and_b32 s7, s0, exec_lo
	s_cbranch_execz .LBB63_14
	s_branch .LBB63_15
.LBB63_11:                              ;   in Loop: Header=BB63_4 Depth=1
	s_mul_u64 s[10:11], s[8:9], s[24:25]
	s_delay_alu instid0(SALU_CYCLE_1)
	v_lshl_add_u64 v[12:13], s[10:11], 3, v[2:3]
	global_load_b64 v[12:13], v[12:13], off
	s_wait_loadcnt 0x0
	ds_store_b64 v1, v[12:13]
	s_wait_xcnt 0x0
	s_or_b32 exec_lo, exec_lo, s7
	s_and_saveexec_b32 s7, s2
	s_cbranch_execz .LBB63_7
.LBB63_12:                              ;   in Loop: Header=BB63_4 Depth=1
	s_mul_u64 s[10:11], s[14:15], s[24:25]
	s_delay_alu instid0(SALU_CYCLE_1)
	v_lshl_add_u64 v[12:13], s[10:11], 3, v[4:5]
	global_load_b64 v[12:13], v[12:13], off
	s_wait_loadcnt 0x0
	ds_store_b64 v16, v[12:13]
	s_wait_xcnt 0x0
	s_or_b32 exec_lo, exec_lo, s7
	s_and_saveexec_b32 s7, s3
	s_cbranch_execnz .LBB63_8
	s_branch .LBB63_9
.LBB63_13:                              ;   in Loop: Header=BB63_4 Depth=1
	s_mov_b32 s7, 0
.LBB63_14:                              ;   in Loop: Header=BB63_4 Depth=1
	s_delay_alu instid0(SALU_CYCLE_1) | instskip(SKIP_1) | instid1(SALU_CYCLE_1)
	s_and_not1_b32 s7, s7, exec_lo
	s_and_b32 s10, s1, exec_lo
	s_or_b32 s7, s7, s10
.LBB63_15:                              ;   in Loop: Header=BB63_4 Depth=1
	s_delay_alu instid0(SALU_CYCLE_1)
	s_and_saveexec_b32 s10, s7
; %bb.16:                               ;   in Loop: Header=BB63_4 Depth=1
	ds_store_b64 v15, v[8:9]
; %bb.17:                               ;   in Loop: Header=BB63_4 Depth=1
	s_or_b32 exec_lo, exec_lo, s10
	s_wait_dscnt 0x0
	s_barrier_signal -1
	s_barrier_wait -1
	s_and_saveexec_b32 s7, s2
	s_cbranch_execz .LBB63_2
; %bb.18:                               ;   in Loop: Header=BB63_4 Depth=1
	ds_load_2addr_b64 v[20:23], v0 offset1:32
	ds_load_b128 v[24:27], v14
	ds_load_b128 v[28:31], v14 offset:16
	s_mul_u64 s[10:11], s[28:29], s[24:25]
	s_wait_dscnt 0x1
	v_fma_f64 v[12:13], v[20:21], v[24:25], 0
	s_delay_alu instid0(VALU_DEP_1) | instskip(SKIP_3) | instid1(VALU_DEP_1)
	v_fmac_f64_e32 v[12:13], v[22:23], v[26:27]
	ds_load_2addr_b64 v[20:23], v0 offset0:64 offset1:96
	s_wait_dscnt 0x0
	v_fmac_f64_e32 v[12:13], v[20:21], v[28:29]
	v_fmac_f64_e32 v[12:13], v[22:23], v[30:31]
	ds_load_2addr_b64 v[20:23], v0 offset0:128 offset1:160
	ds_load_b128 v[24:27], v14 offset:32
	ds_load_b128 v[28:31], v14 offset:48
	s_wait_dscnt 0x1
	v_fmac_f64_e32 v[12:13], v[20:21], v[24:25]
	s_delay_alu instid0(VALU_DEP_1) | instskip(SKIP_3) | instid1(VALU_DEP_1)
	v_fmac_f64_e32 v[12:13], v[22:23], v[26:27]
	ds_load_2addr_b64 v[20:23], v0 offset0:192 offset1:224
	s_wait_dscnt 0x0
	v_fmac_f64_e32 v[12:13], v[20:21], v[28:29]
	v_fmac_f64_e32 v[12:13], v[22:23], v[30:31]
	ds_load_2addr_b64 v[20:23], v17 offset1:32
	ds_load_b128 v[24:27], v14 offset:64
	ds_load_b128 v[28:31], v14 offset:80
	s_wait_dscnt 0x1
	v_fmac_f64_e32 v[12:13], v[20:21], v[24:25]
	s_delay_alu instid0(VALU_DEP_1) | instskip(SKIP_3) | instid1(VALU_DEP_1)
	v_fmac_f64_e32 v[12:13], v[22:23], v[26:27]
	ds_load_2addr_b64 v[20:23], v17 offset0:64 offset1:96
	s_wait_dscnt 0x0
	v_fmac_f64_e32 v[12:13], v[20:21], v[28:29]
	v_fmac_f64_e32 v[12:13], v[22:23], v[30:31]
	ds_load_2addr_b64 v[20:23], v17 offset0:128 offset1:160
	ds_load_b128 v[24:27], v14 offset:96
	ds_load_b128 v[28:31], v14 offset:112
	s_wait_dscnt 0x1
	v_fmac_f64_e32 v[12:13], v[20:21], v[24:25]
	s_delay_alu instid0(VALU_DEP_1) | instskip(SKIP_3) | instid1(VALU_DEP_1)
	v_fmac_f64_e32 v[12:13], v[22:23], v[26:27]
	ds_load_2addr_b64 v[20:23], v17 offset0:192 offset1:224
	s_wait_dscnt 0x0
	v_fmac_f64_e32 v[12:13], v[20:21], v[28:29]
	v_fmac_f64_e32 v[12:13], v[22:23], v[30:31]
	ds_load_2addr_b64 v[20:23], v18 offset1:32
	ds_load_b128 v[24:27], v14 offset:128
	ds_load_b128 v[28:31], v14 offset:144
	s_wait_dscnt 0x1
	v_fmac_f64_e32 v[12:13], v[20:21], v[24:25]
	;; [unrolled: 22-line block ×3, first 2 shown]
	s_delay_alu instid0(VALU_DEP_1) | instskip(SKIP_3) | instid1(VALU_DEP_1)
	v_fmac_f64_e32 v[12:13], v[22:23], v[26:27]
	ds_load_2addr_b64 v[20:23], v19 offset0:64 offset1:96
	s_wait_dscnt 0x0
	v_fmac_f64_e32 v[12:13], v[20:21], v[28:29]
	v_fmac_f64_e32 v[12:13], v[22:23], v[30:31]
	ds_load_2addr_b64 v[20:23], v19 offset0:128 offset1:160
	ds_load_b128 v[24:27], v14 offset:224
	ds_load_b128 v[28:31], v14 offset:240
	s_wait_dscnt 0x1
	v_fmac_f64_e32 v[12:13], v[20:21], v[24:25]
	s_delay_alu instid0(VALU_DEP_1) | instskip(SKIP_4) | instid1(VALU_DEP_2)
	v_fmac_f64_e32 v[12:13], v[22:23], v[26:27]
	ds_load_2addr_b64 v[20:23], v19 offset0:192 offset1:224
	s_wait_dscnt 0x0
	v_fmac_f64_e32 v[12:13], v[20:21], v[28:29]
	v_lshl_add_u64 v[20:21], s[10:11], 3, v[6:7]
	v_fmac_f64_e32 v[12:13], v[22:23], v[30:31]
	s_delay_alu instid0(VALU_DEP_1)
	v_mul_f64_e32 v[12:13], s[26:27], v[12:13]
	global_store_b64 v[20:21], v[12:13], off
	s_branch .LBB63_2
.LBB63_19:
	s_endpgm
	.section	.rodata,"a",@progbits
	.p2align	6, 0x0
	.amdhsa_kernel _ZL23rocblas_trmm_lTx_kernelILi32ELb0EddKddEv13rocblas_fill_17rocblas_diagonal_iiT2_lPT3_llS5_llPT4_lli
		.amdhsa_group_segment_fixed_size 16384
		.amdhsa_private_segment_fixed_size 0
		.amdhsa_kernarg_size 108
		.amdhsa_user_sgpr_count 2
		.amdhsa_user_sgpr_dispatch_ptr 0
		.amdhsa_user_sgpr_queue_ptr 0
		.amdhsa_user_sgpr_kernarg_segment_ptr 1
		.amdhsa_user_sgpr_dispatch_id 0
		.amdhsa_user_sgpr_kernarg_preload_length 0
		.amdhsa_user_sgpr_kernarg_preload_offset 0
		.amdhsa_user_sgpr_private_segment_size 0
		.amdhsa_wavefront_size32 1
		.amdhsa_uses_dynamic_stack 0
		.amdhsa_enable_private_segment 0
		.amdhsa_system_sgpr_workgroup_id_x 1
		.amdhsa_system_sgpr_workgroup_id_y 0
		.amdhsa_system_sgpr_workgroup_id_z 1
		.amdhsa_system_sgpr_workgroup_info 0
		.amdhsa_system_vgpr_workitem_id 1
		.amdhsa_next_free_vgpr 32
		.amdhsa_next_free_sgpr 34
		.amdhsa_named_barrier_count 0
		.amdhsa_reserve_vcc 1
		.amdhsa_float_round_mode_32 0
		.amdhsa_float_round_mode_16_64 0
		.amdhsa_float_denorm_mode_32 3
		.amdhsa_float_denorm_mode_16_64 3
		.amdhsa_fp16_overflow 0
		.amdhsa_memory_ordered 1
		.amdhsa_forward_progress 1
		.amdhsa_inst_pref_size 11
		.amdhsa_round_robin_scheduling 0
		.amdhsa_exception_fp_ieee_invalid_op 0
		.amdhsa_exception_fp_denorm_src 0
		.amdhsa_exception_fp_ieee_div_zero 0
		.amdhsa_exception_fp_ieee_overflow 0
		.amdhsa_exception_fp_ieee_underflow 0
		.amdhsa_exception_fp_ieee_inexact 0
		.amdhsa_exception_int_div_zero 0
	.end_amdhsa_kernel
	.section	.text._ZL23rocblas_trmm_lTx_kernelILi32ELb0EddKddEv13rocblas_fill_17rocblas_diagonal_iiT2_lPT3_llS5_llPT4_lli,"axG",@progbits,_ZL23rocblas_trmm_lTx_kernelILi32ELb0EddKddEv13rocblas_fill_17rocblas_diagonal_iiT2_lPT3_llS5_llPT4_lli,comdat
.Lfunc_end63:
	.size	_ZL23rocblas_trmm_lTx_kernelILi32ELb0EddKddEv13rocblas_fill_17rocblas_diagonal_iiT2_lPT3_llS5_llPT4_lli, .Lfunc_end63-_ZL23rocblas_trmm_lTx_kernelILi32ELb0EddKddEv13rocblas_fill_17rocblas_diagonal_iiT2_lPT3_llS5_llPT4_lli
                                        ; -- End function
	.set _ZL23rocblas_trmm_lTx_kernelILi32ELb0EddKddEv13rocblas_fill_17rocblas_diagonal_iiT2_lPT3_llS5_llPT4_lli.num_vgpr, 32
	.set _ZL23rocblas_trmm_lTx_kernelILi32ELb0EddKddEv13rocblas_fill_17rocblas_diagonal_iiT2_lPT3_llS5_llPT4_lli.num_agpr, 0
	.set _ZL23rocblas_trmm_lTx_kernelILi32ELb0EddKddEv13rocblas_fill_17rocblas_diagonal_iiT2_lPT3_llS5_llPT4_lli.numbered_sgpr, 34
	.set _ZL23rocblas_trmm_lTx_kernelILi32ELb0EddKddEv13rocblas_fill_17rocblas_diagonal_iiT2_lPT3_llS5_llPT4_lli.num_named_barrier, 0
	.set _ZL23rocblas_trmm_lTx_kernelILi32ELb0EddKddEv13rocblas_fill_17rocblas_diagonal_iiT2_lPT3_llS5_llPT4_lli.private_seg_size, 0
	.set _ZL23rocblas_trmm_lTx_kernelILi32ELb0EddKddEv13rocblas_fill_17rocblas_diagonal_iiT2_lPT3_llS5_llPT4_lli.uses_vcc, 1
	.set _ZL23rocblas_trmm_lTx_kernelILi32ELb0EddKddEv13rocblas_fill_17rocblas_diagonal_iiT2_lPT3_llS5_llPT4_lli.uses_flat_scratch, 0
	.set _ZL23rocblas_trmm_lTx_kernelILi32ELb0EddKddEv13rocblas_fill_17rocblas_diagonal_iiT2_lPT3_llS5_llPT4_lli.has_dyn_sized_stack, 0
	.set _ZL23rocblas_trmm_lTx_kernelILi32ELb0EddKddEv13rocblas_fill_17rocblas_diagonal_iiT2_lPT3_llS5_llPT4_lli.has_recursion, 0
	.set _ZL23rocblas_trmm_lTx_kernelILi32ELb0EddKddEv13rocblas_fill_17rocblas_diagonal_iiT2_lPT3_llS5_llPT4_lli.has_indirect_call, 0
	.section	.AMDGPU.csdata,"",@progbits
; Kernel info:
; codeLenInByte = 1308
; TotalNumSgprs: 36
; NumVgprs: 32
; ScratchSize: 0
; MemoryBound: 0
; FloatMode: 240
; IeeeMode: 1
; LDSByteSize: 16384 bytes/workgroup (compile time only)
; SGPRBlocks: 0
; VGPRBlocks: 1
; NumSGPRsForWavesPerEU: 36
; NumVGPRsForWavesPerEU: 32
; NamedBarCnt: 0
; Occupancy: 16
; WaveLimiterHint : 0
; COMPUTE_PGM_RSRC2:SCRATCH_EN: 0
; COMPUTE_PGM_RSRC2:USER_SGPR: 2
; COMPUTE_PGM_RSRC2:TRAP_HANDLER: 0
; COMPUTE_PGM_RSRC2:TGID_X_EN: 1
; COMPUTE_PGM_RSRC2:TGID_Y_EN: 0
; COMPUTE_PGM_RSRC2:TGID_Z_EN: 1
; COMPUTE_PGM_RSRC2:TIDIG_COMP_CNT: 1
	.section	.text._ZL23rocblas_trmm_lTx_kernelILi32ELb1EdPKdS0_dEv13rocblas_fill_17rocblas_diagonal_iiT2_lPT3_llS6_llPT4_lli,"axG",@progbits,_ZL23rocblas_trmm_lTx_kernelILi32ELb1EdPKdS0_dEv13rocblas_fill_17rocblas_diagonal_iiT2_lPT3_llS6_llPT4_lli,comdat
	.globl	_ZL23rocblas_trmm_lTx_kernelILi32ELb1EdPKdS0_dEv13rocblas_fill_17rocblas_diagonal_iiT2_lPT3_llS6_llPT4_lli ; -- Begin function _ZL23rocblas_trmm_lTx_kernelILi32ELb1EdPKdS0_dEv13rocblas_fill_17rocblas_diagonal_iiT2_lPT3_llS6_llPT4_lli
	.p2align	8
	.type	_ZL23rocblas_trmm_lTx_kernelILi32ELb1EdPKdS0_dEv13rocblas_fill_17rocblas_diagonal_iiT2_lPT3_llS6_llPT4_lli,@function
_ZL23rocblas_trmm_lTx_kernelILi32ELb1EdPKdS0_dEv13rocblas_fill_17rocblas_diagonal_iiT2_lPT3_llS6_llPT4_lli: ; @_ZL23rocblas_trmm_lTx_kernelILi32ELb1EdPKdS0_dEv13rocblas_fill_17rocblas_diagonal_iiT2_lPT3_llS6_llPT4_lli
; %bb.0:
	s_load_b32 s33, s[0:1], 0x68
	s_bfe_u32 s2, ttmp6, 0x40014
	s_lshr_b32 s3, ttmp7, 16
	s_add_co_i32 s2, s2, 1
	s_bfe_u32 s5, ttmp6, 0x40008
	s_mul_i32 s4, s3, s2
	s_getreg_b32 s2, hwreg(HW_REG_IB_STS2, 6, 4)
	s_add_co_i32 s5, s5, s4
	s_cmp_eq_u32 s2, 0
	s_mov_b32 s29, 0
	s_cselect_b32 s28, s3, s5
	s_wait_kmcnt 0x0
	s_cmp_ge_u32 s28, s33
	s_cbranch_scc1 .LBB64_19
; %bb.1:
	s_clause 0x3
	s_load_b128 s[20:23], s[0:1], 0x0
	s_load_b512 s[4:19], s[0:1], 0x10
	s_load_b128 s[24:27], s[0:1], 0x50
	s_load_b64 s[30:31], s[0:1], 0x60
	v_bfe_u32 v2, v0, 10, 10
	v_mov_b32_e32 v3, 0
	s_wait_xcnt 0x0
	s_bfe_u32 s0, ttmp6, 0x4000c
	s_and_b32 s3, ttmp6, 15
	s_add_co_i32 s0, s0, 1
	v_lshlrev_b32_e32 v11, 3, v2
	s_mul_i32 s34, ttmp9, s0
	v_and_b32_e32 v10, 0x3ff, v0
	s_add_co_i32 s3, s3, s34
	v_dual_mov_b32 v1, v3 :: v_dual_lshlrev_b32 v12, 5, v2
	v_lshl_add_u32 v18, v2, 8, 0x2000
	s_delay_alu instid0(VALU_DEP_3) | instskip(SKIP_1) | instid1(VALU_DEP_4)
	v_dual_lshlrev_b32 v0, 3, v10 :: v_dual_lshlrev_b32 v13, 8, v10
	v_cmp_eq_u32_e32 vcc_lo, v2, v10
	v_add_lshl_u32 v19, v12, v10, 3
	s_wait_kmcnt 0x0
	s_add_co_i32 s35, s23, -1
	v_mul_u64_e32 v[4:5], s[10:11], v[2:3]
	v_mul_u64_e32 v[6:7], s[16:17], v[2:3]
	;; [unrolled: 1-line block ×3, first 2 shown]
	s_ashr_i32 s10, s35, 31
	v_cmp_lt_u32_e64 s0, v10, v2
	s_lshr_b32 s10, s10, 27
	v_cmp_gt_u32_e64 s1, v10, v2
	s_add_co_i32 s10, s35, s10
	v_add_nc_u32_e32 v20, 0x800, v0
	s_and_b32 s11, s10, 0xffffffe0
	s_ashr_i32 s10, s10, 5
	s_sub_co_i32 s11, s23, s11
	s_cmp_eq_u32 s2, 0
	v_cmp_gt_i32_e64 s2, s22, v2
	s_cselect_b32 s23, ttmp9, s3
	v_cmp_gt_i32_e64 s3, s22, v10
	s_cmp_ge_i32 s23, s10
	v_add_nc_u32_e32 v21, 0x1000, v0
	s_cselect_b32 s11, s11, 32
	s_lshl_b32 s22, s23, 5
	s_and_b32 s10, s2, s3
	s_ashr_i32 s23, s22, 31
	v_cmp_gt_i32_e64 s2, s11, v2
	s_mul_u64 s[16:17], s[16:17], s[22:23]
	s_mul_u64 s[22:23], s[26:27], s[22:23]
	s_lshl_b64 s[16:17], s[16:17], 3
	s_lshl_b64 s[22:23], s[22:23], 3
	s_add_nc_u64 s[14:15], s[14:15], s[16:17]
	s_add_nc_u64 s[16:17], s[24:25], s[22:23]
	s_and_b32 s2, s3, s2
	s_cmp_eq_u32 s21, 0x84
	v_add_nc_u32_e32 v2, 0x2000, v19
	v_lshl_add_u64 v[4:5], v[4:5], 3, s[8:9]
	v_lshl_add_u64 v[6:7], v[6:7], 3, s[14:15]
	;; [unrolled: 1-line block ×3, first 2 shown]
	s_cselect_b32 s3, -1, 0
	v_add_nc_u32_e32 v22, 0x1800, v0
	v_add_nc_u64_e32 v[4:5], v[4:5], v[0:1]
	v_add_nc_u64_e32 v[6:7], v[6:7], v[0:1]
	;; [unrolled: 1-line block ×3, first 2 shown]
	v_add_nc_u32_e32 v1, v11, v13
	v_mov_b64_e32 v[10:11], 0
	v_mov_b64_e32 v[12:13], 1.0
	s_and_b32 s3, vcc_lo, s3
	s_cmp_lg_u32 s20, 0x7a
	s_cselect_b32 s8, -1, 0
	s_branch .LBB64_4
.LBB64_2:                               ;   in Loop: Header=BB64_4 Depth=1
	s_wait_xcnt 0x0
	s_or_b32 exec_lo, exec_lo, s9
.LBB64_3:                               ;   in Loop: Header=BB64_4 Depth=1
	s_add_co_i32 s28, s28, 0x10000
	s_delay_alu instid0(SALU_CYCLE_1)
	s_cmp_lt_u32 s28, s33
	s_cbranch_scc0 .LBB64_19
.LBB64_4:                               ; =>This Inner Loop Header: Depth=1
	s_wait_xcnt 0x0
	s_mul_u64 s[14:15], s[6:7], s[28:29]
	s_delay_alu instid0(SALU_CYCLE_1) | instskip(NEXT) | instid1(SALU_CYCLE_1)
	s_lshl_b64 s[14:15], s[14:15], 3
	s_add_nc_u64 s[14:15], s[4:5], s[14:15]
	global_load_b64 v[14:15], v3, s[14:15]
	s_wait_loadcnt 0x0
	v_cmp_eq_f64_e32 vcc_lo, 0, v[14:15]
	s_cbranch_vccnz .LBB64_3
; %bb.5:                                ;   in Loop: Header=BB64_4 Depth=1
	ds_store_b64 v19, v[10:11]
	ds_store_b64 v2, v[10:11]
	s_wait_dscnt 0x0
	s_barrier_signal -1
	s_barrier_wait -1
	s_wait_xcnt 0x0
	s_and_saveexec_b32 s9, s10
	s_cbranch_execnz .LBB64_11
; %bb.6:                                ;   in Loop: Header=BB64_4 Depth=1
	s_or_b32 exec_lo, exec_lo, s9
	s_and_saveexec_b32 s9, s2
	s_cbranch_execnz .LBB64_12
.LBB64_7:                               ;   in Loop: Header=BB64_4 Depth=1
	s_or_b32 exec_lo, exec_lo, s9
	s_and_saveexec_b32 s9, s3
.LBB64_8:                               ;   in Loop: Header=BB64_4 Depth=1
	ds_store_b64 v19, v[12:13]
.LBB64_9:                               ;   in Loop: Header=BB64_4 Depth=1
	s_or_b32 exec_lo, exec_lo, s9
	s_delay_alu instid0(SALU_CYCLE_1)
	s_and_b32 vcc_lo, exec_lo, s8
	s_wait_dscnt 0x0
	s_barrier_signal -1
	s_barrier_wait -1
	s_cbranch_vccz .LBB64_13
; %bb.10:                               ;   in Loop: Header=BB64_4 Depth=1
	s_and_b32 s9, s0, exec_lo
	s_cbranch_execz .LBB64_14
	s_branch .LBB64_15
.LBB64_11:                              ;   in Loop: Header=BB64_4 Depth=1
	s_mul_u64 s[14:15], s[12:13], s[28:29]
	s_delay_alu instid0(SALU_CYCLE_1)
	v_lshl_add_u64 v[16:17], s[14:15], 3, v[4:5]
	global_load_b64 v[16:17], v[16:17], off
	s_wait_loadcnt 0x0
	ds_store_b64 v1, v[16:17]
	s_wait_xcnt 0x0
	s_or_b32 exec_lo, exec_lo, s9
	s_and_saveexec_b32 s9, s2
	s_cbranch_execz .LBB64_7
.LBB64_12:                              ;   in Loop: Header=BB64_4 Depth=1
	s_mul_u64 s[14:15], s[18:19], s[28:29]
	s_delay_alu instid0(SALU_CYCLE_1)
	v_lshl_add_u64 v[16:17], s[14:15], 3, v[6:7]
	global_load_b64 v[16:17], v[16:17], off
	s_wait_loadcnt 0x0
	ds_store_b64 v2, v[16:17]
	s_wait_xcnt 0x0
	s_or_b32 exec_lo, exec_lo, s9
	s_and_saveexec_b32 s9, s3
	s_cbranch_execnz .LBB64_8
	s_branch .LBB64_9
.LBB64_13:                              ;   in Loop: Header=BB64_4 Depth=1
	s_mov_b32 s9, 0
.LBB64_14:                              ;   in Loop: Header=BB64_4 Depth=1
	s_delay_alu instid0(SALU_CYCLE_1) | instskip(SKIP_1) | instid1(SALU_CYCLE_1)
	s_and_not1_b32 s9, s9, exec_lo
	s_and_b32 s11, s1, exec_lo
	s_or_b32 s9, s9, s11
.LBB64_15:                              ;   in Loop: Header=BB64_4 Depth=1
	s_delay_alu instid0(SALU_CYCLE_1)
	s_and_saveexec_b32 s11, s9
; %bb.16:                               ;   in Loop: Header=BB64_4 Depth=1
	ds_store_b64 v19, v[10:11]
; %bb.17:                               ;   in Loop: Header=BB64_4 Depth=1
	s_or_b32 exec_lo, exec_lo, s11
	s_wait_dscnt 0x0
	s_barrier_signal -1
	s_barrier_wait -1
	s_and_saveexec_b32 s9, s2
	s_cbranch_execz .LBB64_2
; %bb.18:                               ;   in Loop: Header=BB64_4 Depth=1
	ds_load_2addr_b64 v[24:27], v0 offset1:32
	ds_load_b128 v[28:31], v18
	ds_load_b128 v[32:35], v18 offset:16
	s_mul_u64 s[14:15], s[30:31], s[28:29]
	s_wait_dscnt 0x1
	v_fma_f64 v[16:17], v[24:25], v[28:29], 0
	s_delay_alu instid0(VALU_DEP_1) | instskip(SKIP_3) | instid1(VALU_DEP_1)
	v_fmac_f64_e32 v[16:17], v[26:27], v[30:31]
	ds_load_2addr_b64 v[24:27], v0 offset0:64 offset1:96
	s_wait_dscnt 0x0
	v_fmac_f64_e32 v[16:17], v[24:25], v[32:33]
	v_fmac_f64_e32 v[16:17], v[26:27], v[34:35]
	ds_load_2addr_b64 v[24:27], v0 offset0:128 offset1:160
	ds_load_b128 v[28:31], v18 offset:32
	ds_load_b128 v[32:35], v18 offset:48
	s_wait_dscnt 0x1
	v_fmac_f64_e32 v[16:17], v[24:25], v[28:29]
	s_delay_alu instid0(VALU_DEP_1) | instskip(SKIP_3) | instid1(VALU_DEP_1)
	v_fmac_f64_e32 v[16:17], v[26:27], v[30:31]
	ds_load_2addr_b64 v[24:27], v0 offset0:192 offset1:224
	s_wait_dscnt 0x0
	v_fmac_f64_e32 v[16:17], v[24:25], v[32:33]
	v_fmac_f64_e32 v[16:17], v[26:27], v[34:35]
	ds_load_2addr_b64 v[24:27], v20 offset1:32
	ds_load_b128 v[28:31], v18 offset:64
	ds_load_b128 v[32:35], v18 offset:80
	s_wait_dscnt 0x1
	v_fmac_f64_e32 v[16:17], v[24:25], v[28:29]
	s_delay_alu instid0(VALU_DEP_1) | instskip(SKIP_3) | instid1(VALU_DEP_1)
	v_fmac_f64_e32 v[16:17], v[26:27], v[30:31]
	ds_load_2addr_b64 v[24:27], v20 offset0:64 offset1:96
	s_wait_dscnt 0x0
	v_fmac_f64_e32 v[16:17], v[24:25], v[32:33]
	v_fmac_f64_e32 v[16:17], v[26:27], v[34:35]
	ds_load_2addr_b64 v[24:27], v20 offset0:128 offset1:160
	ds_load_b128 v[28:31], v18 offset:96
	ds_load_b128 v[32:35], v18 offset:112
	s_wait_dscnt 0x1
	v_fmac_f64_e32 v[16:17], v[24:25], v[28:29]
	s_delay_alu instid0(VALU_DEP_1) | instskip(SKIP_3) | instid1(VALU_DEP_1)
	v_fmac_f64_e32 v[16:17], v[26:27], v[30:31]
	ds_load_2addr_b64 v[24:27], v20 offset0:192 offset1:224
	s_wait_dscnt 0x0
	v_fmac_f64_e32 v[16:17], v[24:25], v[32:33]
	v_fmac_f64_e32 v[16:17], v[26:27], v[34:35]
	ds_load_2addr_b64 v[24:27], v21 offset1:32
	ds_load_b128 v[28:31], v18 offset:128
	ds_load_b128 v[32:35], v18 offset:144
	s_wait_dscnt 0x1
	v_fmac_f64_e32 v[16:17], v[24:25], v[28:29]
	;; [unrolled: 22-line block ×3, first 2 shown]
	s_delay_alu instid0(VALU_DEP_1) | instskip(SKIP_3) | instid1(VALU_DEP_1)
	v_fmac_f64_e32 v[16:17], v[26:27], v[30:31]
	ds_load_2addr_b64 v[24:27], v22 offset0:64 offset1:96
	s_wait_dscnt 0x0
	v_fmac_f64_e32 v[16:17], v[24:25], v[32:33]
	v_fmac_f64_e32 v[16:17], v[26:27], v[34:35]
	ds_load_2addr_b64 v[24:27], v22 offset0:128 offset1:160
	ds_load_b128 v[28:31], v18 offset:224
	ds_load_b128 v[32:35], v18 offset:240
	s_wait_dscnt 0x1
	v_fmac_f64_e32 v[16:17], v[24:25], v[28:29]
	s_delay_alu instid0(VALU_DEP_1) | instskip(SKIP_3) | instid1(VALU_DEP_1)
	v_fmac_f64_e32 v[16:17], v[26:27], v[30:31]
	ds_load_2addr_b64 v[24:27], v22 offset0:192 offset1:224
	s_wait_dscnt 0x0
	v_fmac_f64_e32 v[16:17], v[24:25], v[32:33]
	v_fmac_f64_e32 v[16:17], v[26:27], v[34:35]
	s_delay_alu instid0(VALU_DEP_1)
	v_mul_f64_e32 v[14:15], v[14:15], v[16:17]
	v_lshl_add_u64 v[16:17], s[14:15], 3, v[8:9]
	global_store_b64 v[16:17], v[14:15], off
	s_branch .LBB64_2
.LBB64_19:
	s_endpgm
	.section	.rodata,"a",@progbits
	.p2align	6, 0x0
	.amdhsa_kernel _ZL23rocblas_trmm_lTx_kernelILi32ELb1EdPKdS0_dEv13rocblas_fill_17rocblas_diagonal_iiT2_lPT3_llS6_llPT4_lli
		.amdhsa_group_segment_fixed_size 16384
		.amdhsa_private_segment_fixed_size 0
		.amdhsa_kernarg_size 108
		.amdhsa_user_sgpr_count 2
		.amdhsa_user_sgpr_dispatch_ptr 0
		.amdhsa_user_sgpr_queue_ptr 0
		.amdhsa_user_sgpr_kernarg_segment_ptr 1
		.amdhsa_user_sgpr_dispatch_id 0
		.amdhsa_user_sgpr_kernarg_preload_length 0
		.amdhsa_user_sgpr_kernarg_preload_offset 0
		.amdhsa_user_sgpr_private_segment_size 0
		.amdhsa_wavefront_size32 1
		.amdhsa_uses_dynamic_stack 0
		.amdhsa_enable_private_segment 0
		.amdhsa_system_sgpr_workgroup_id_x 1
		.amdhsa_system_sgpr_workgroup_id_y 0
		.amdhsa_system_sgpr_workgroup_id_z 1
		.amdhsa_system_sgpr_workgroup_info 0
		.amdhsa_system_vgpr_workitem_id 1
		.amdhsa_next_free_vgpr 36
		.amdhsa_next_free_sgpr 36
		.amdhsa_named_barrier_count 0
		.amdhsa_reserve_vcc 1
		.amdhsa_float_round_mode_32 0
		.amdhsa_float_round_mode_16_64 0
		.amdhsa_float_denorm_mode_32 3
		.amdhsa_float_denorm_mode_16_64 3
		.amdhsa_fp16_overflow 0
		.amdhsa_memory_ordered 1
		.amdhsa_forward_progress 1
		.amdhsa_inst_pref_size 11
		.amdhsa_round_robin_scheduling 0
		.amdhsa_exception_fp_ieee_invalid_op 0
		.amdhsa_exception_fp_denorm_src 0
		.amdhsa_exception_fp_ieee_div_zero 0
		.amdhsa_exception_fp_ieee_overflow 0
		.amdhsa_exception_fp_ieee_underflow 0
		.amdhsa_exception_fp_ieee_inexact 0
		.amdhsa_exception_int_div_zero 0
	.end_amdhsa_kernel
	.section	.text._ZL23rocblas_trmm_lTx_kernelILi32ELb1EdPKdS0_dEv13rocblas_fill_17rocblas_diagonal_iiT2_lPT3_llS6_llPT4_lli,"axG",@progbits,_ZL23rocblas_trmm_lTx_kernelILi32ELb1EdPKdS0_dEv13rocblas_fill_17rocblas_diagonal_iiT2_lPT3_llS6_llPT4_lli,comdat
.Lfunc_end64:
	.size	_ZL23rocblas_trmm_lTx_kernelILi32ELb1EdPKdS0_dEv13rocblas_fill_17rocblas_diagonal_iiT2_lPT3_llS6_llPT4_lli, .Lfunc_end64-_ZL23rocblas_trmm_lTx_kernelILi32ELb1EdPKdS0_dEv13rocblas_fill_17rocblas_diagonal_iiT2_lPT3_llS6_llPT4_lli
                                        ; -- End function
	.set _ZL23rocblas_trmm_lTx_kernelILi32ELb1EdPKdS0_dEv13rocblas_fill_17rocblas_diagonal_iiT2_lPT3_llS6_llPT4_lli.num_vgpr, 36
	.set _ZL23rocblas_trmm_lTx_kernelILi32ELb1EdPKdS0_dEv13rocblas_fill_17rocblas_diagonal_iiT2_lPT3_llS6_llPT4_lli.num_agpr, 0
	.set _ZL23rocblas_trmm_lTx_kernelILi32ELb1EdPKdS0_dEv13rocblas_fill_17rocblas_diagonal_iiT2_lPT3_llS6_llPT4_lli.numbered_sgpr, 36
	.set _ZL23rocblas_trmm_lTx_kernelILi32ELb1EdPKdS0_dEv13rocblas_fill_17rocblas_diagonal_iiT2_lPT3_llS6_llPT4_lli.num_named_barrier, 0
	.set _ZL23rocblas_trmm_lTx_kernelILi32ELb1EdPKdS0_dEv13rocblas_fill_17rocblas_diagonal_iiT2_lPT3_llS6_llPT4_lli.private_seg_size, 0
	.set _ZL23rocblas_trmm_lTx_kernelILi32ELb1EdPKdS0_dEv13rocblas_fill_17rocblas_diagonal_iiT2_lPT3_llS6_llPT4_lli.uses_vcc, 1
	.set _ZL23rocblas_trmm_lTx_kernelILi32ELb1EdPKdS0_dEv13rocblas_fill_17rocblas_diagonal_iiT2_lPT3_llS6_llPT4_lli.uses_flat_scratch, 0
	.set _ZL23rocblas_trmm_lTx_kernelILi32ELb1EdPKdS0_dEv13rocblas_fill_17rocblas_diagonal_iiT2_lPT3_llS6_llPT4_lli.has_dyn_sized_stack, 0
	.set _ZL23rocblas_trmm_lTx_kernelILi32ELb1EdPKdS0_dEv13rocblas_fill_17rocblas_diagonal_iiT2_lPT3_llS6_llPT4_lli.has_recursion, 0
	.set _ZL23rocblas_trmm_lTx_kernelILi32ELb1EdPKdS0_dEv13rocblas_fill_17rocblas_diagonal_iiT2_lPT3_llS6_llPT4_lli.has_indirect_call, 0
	.section	.AMDGPU.csdata,"",@progbits
; Kernel info:
; codeLenInByte = 1340
; TotalNumSgprs: 38
; NumVgprs: 36
; ScratchSize: 0
; MemoryBound: 0
; FloatMode: 240
; IeeeMode: 1
; LDSByteSize: 16384 bytes/workgroup (compile time only)
; SGPRBlocks: 0
; VGPRBlocks: 2
; NumSGPRsForWavesPerEU: 38
; NumVGPRsForWavesPerEU: 36
; NamedBarCnt: 0
; Occupancy: 16
; WaveLimiterHint : 0
; COMPUTE_PGM_RSRC2:SCRATCH_EN: 0
; COMPUTE_PGM_RSRC2:USER_SGPR: 2
; COMPUTE_PGM_RSRC2:TRAP_HANDLER: 0
; COMPUTE_PGM_RSRC2:TGID_X_EN: 1
; COMPUTE_PGM_RSRC2:TGID_Y_EN: 0
; COMPUTE_PGM_RSRC2:TGID_Z_EN: 1
; COMPUTE_PGM_RSRC2:TIDIG_COMP_CNT: 1
	.section	.text._ZL23rocblas_trmm_lTx_kernelILi32ELb1EddKddEv13rocblas_fill_17rocblas_diagonal_iiT2_lPT3_llS5_llPT4_lli,"axG",@progbits,_ZL23rocblas_trmm_lTx_kernelILi32ELb1EddKddEv13rocblas_fill_17rocblas_diagonal_iiT2_lPT3_llS5_llPT4_lli,comdat
	.globl	_ZL23rocblas_trmm_lTx_kernelILi32ELb1EddKddEv13rocblas_fill_17rocblas_diagonal_iiT2_lPT3_llS5_llPT4_lli ; -- Begin function _ZL23rocblas_trmm_lTx_kernelILi32ELb1EddKddEv13rocblas_fill_17rocblas_diagonal_iiT2_lPT3_llS5_llPT4_lli
	.p2align	8
	.type	_ZL23rocblas_trmm_lTx_kernelILi32ELb1EddKddEv13rocblas_fill_17rocblas_diagonal_iiT2_lPT3_llS5_llPT4_lli,@function
_ZL23rocblas_trmm_lTx_kernelILi32ELb1EddKddEv13rocblas_fill_17rocblas_diagonal_iiT2_lPT3_llS5_llPT4_lli: ; @_ZL23rocblas_trmm_lTx_kernelILi32ELb1EddKddEv13rocblas_fill_17rocblas_diagonal_iiT2_lPT3_llS5_llPT4_lli
; %bb.0:
	s_load_b32 s30, s[0:1], 0x68
	s_bfe_u32 s2, ttmp6, 0x40014
	s_lshr_b32 s3, ttmp7, 16
	s_add_co_i32 s2, s2, 1
	s_bfe_u32 s5, ttmp6, 0x40008
	s_mul_i32 s4, s3, s2
	s_getreg_b32 s2, hwreg(HW_REG_IB_STS2, 6, 4)
	s_add_co_i32 s5, s5, s4
	s_cmp_eq_u32 s2, 0
	s_mov_b32 s25, 0
	s_cselect_b32 s24, s3, s5
	s_wait_kmcnt 0x0
	s_cmp_ge_u32 s24, s30
	s_cbranch_scc1 .LBB65_19
; %bb.1:
	s_clause 0x3
	s_load_b128 s[20:23], s[0:1], 0x0
	s_load_b512 s[4:19], s[0:1], 0x20
	s_load_b64 s[26:27], s[0:1], 0x10
	s_load_b64 s[28:29], s[0:1], 0x60
	v_bfe_u32 v2, v0, 10, 10
	v_mov_b32_e32 v3, 0
	s_wait_xcnt 0x0
	s_bfe_u32 s0, ttmp6, 0x4000c
	s_and_b32 s3, ttmp6, 15
	s_add_co_i32 s0, s0, 1
	v_lshlrev_b32_e32 v11, 3, v2
	s_mul_i32 s31, ttmp9, s0
	v_and_b32_e32 v10, 0x3ff, v0
	s_add_co_i32 s3, s3, s31
	v_dual_mov_b32 v1, v3 :: v_dual_lshlrev_b32 v12, 5, v2
	v_lshl_add_u32 v14, v2, 8, 0x2000
	s_delay_alu instid0(VALU_DEP_3)
	v_cmp_eq_u32_e32 vcc_lo, v2, v10
	v_cmp_lt_u32_e64 s0, v10, v2
	v_cmp_gt_u32_e64 s1, v10, v2
	v_dual_lshlrev_b32 v0, 3, v10 :: v_dual_lshlrev_b32 v13, 8, v10
	s_wait_kmcnt 0x0
	v_mul_u64_e32 v[4:5], s[6:7], v[2:3]
	s_add_co_i32 s33, s23, -1
	v_mul_u64_e32 v[6:7], s[12:13], v[2:3]
	s_ashr_i32 s6, s33, 31
	v_mul_u64_e32 v[8:9], s[18:19], v[2:3]
	s_lshr_b32 s6, s6, 27
	v_add_lshl_u32 v15, v12, v10, 3
	s_add_co_i32 s6, s33, s6
	v_add_nc_u32_e32 v17, 0x800, v0
	s_and_b32 s7, s6, 0xffffffe0
	s_ashr_i32 s6, s6, 5
	s_sub_co_i32 s7, s23, s7
	s_cmp_eq_u32 s2, 0
	v_cmp_gt_i32_e64 s2, s22, v2
	s_cselect_b32 s23, ttmp9, s3
	v_cmp_gt_i32_e64 s3, s22, v10
	s_cmp_ge_i32 s23, s6
	v_add_nc_u32_e32 v16, 0x2000, v15
	s_cselect_b32 s7, s7, 32
	s_lshl_b32 s22, s23, 5
	s_and_b32 s6, s2, s3
	v_cmp_gt_i32_e64 s2, s7, v2
	s_ashr_i32 s23, s22, 31
	v_add_nc_u32_e32 v18, 0x1000, v0
	s_mul_u64 s[12:13], s[12:13], s[22:23]
	s_mul_u64 s[18:19], s[18:19], s[22:23]
	s_lshl_b64 s[12:13], s[12:13], 3
	s_lshl_b64 s[18:19], s[18:19], 3
	s_add_nc_u64 s[10:11], s[10:11], s[12:13]
	s_add_nc_u64 s[12:13], s[16:17], s[18:19]
	s_and_b32 s2, s3, s2
	s_cmp_eq_u32 s21, 0x84
	v_lshl_add_u64 v[2:3], v[4:5], 3, s[4:5]
	v_cmp_neq_f64_e64 s4, s[26:27], 0
	v_lshl_add_u64 v[4:5], v[6:7], 3, s[10:11]
	s_cselect_b32 s3, -1, 0
	v_lshl_add_u64 v[6:7], v[8:9], 3, s[12:13]
	v_add_nc_u64_e32 v[2:3], v[2:3], v[0:1]
	v_mov_b64_e32 v[8:9], 0
	v_add_nc_u64_e32 v[4:5], v[4:5], v[0:1]
	s_and_b32 s3, vcc_lo, s3
	v_add_nc_u64_e32 v[6:7], v[6:7], v[0:1]
	v_add_nc_u32_e32 v1, v11, v13
	v_mov_b64_e32 v[10:11], 1.0
	v_add_nc_u32_e32 v19, 0x1800, v0
	s_cmp_lg_u32 s20, 0x7a
	s_cselect_b32 s5, -1, 0
	s_branch .LBB65_4
.LBB65_2:                               ;   in Loop: Header=BB65_4 Depth=1
	s_wait_xcnt 0x0
	s_or_b32 exec_lo, exec_lo, s7
.LBB65_3:                               ;   in Loop: Header=BB65_4 Depth=1
	s_add_co_i32 s24, s24, 0x10000
	s_delay_alu instid0(SALU_CYCLE_1)
	s_cmp_lt_u32 s24, s30
	s_cbranch_scc0 .LBB65_19
.LBB65_4:                               ; =>This Inner Loop Header: Depth=1
	s_and_not1_b32 vcc_lo, exec_lo, s4
	s_cbranch_vccnz .LBB65_3
; %bb.5:                                ;   in Loop: Header=BB65_4 Depth=1
	ds_store_b64 v15, v[8:9]
	ds_store_b64 v16, v[8:9]
	s_wait_dscnt 0x0
	s_barrier_signal -1
	s_barrier_wait -1
	s_and_saveexec_b32 s7, s6
	s_cbranch_execnz .LBB65_11
; %bb.6:                                ;   in Loop: Header=BB65_4 Depth=1
	s_or_b32 exec_lo, exec_lo, s7
	s_and_saveexec_b32 s7, s2
	s_cbranch_execnz .LBB65_12
.LBB65_7:                               ;   in Loop: Header=BB65_4 Depth=1
	s_or_b32 exec_lo, exec_lo, s7
	s_and_saveexec_b32 s7, s3
.LBB65_8:                               ;   in Loop: Header=BB65_4 Depth=1
	ds_store_b64 v15, v[10:11]
.LBB65_9:                               ;   in Loop: Header=BB65_4 Depth=1
	s_or_b32 exec_lo, exec_lo, s7
	s_delay_alu instid0(SALU_CYCLE_1)
	s_and_b32 vcc_lo, exec_lo, s5
	s_wait_dscnt 0x0
	s_barrier_signal -1
	s_barrier_wait -1
	s_cbranch_vccz .LBB65_13
; %bb.10:                               ;   in Loop: Header=BB65_4 Depth=1
	s_and_b32 s7, s0, exec_lo
	s_cbranch_execz .LBB65_14
	s_branch .LBB65_15
.LBB65_11:                              ;   in Loop: Header=BB65_4 Depth=1
	s_mul_u64 s[10:11], s[8:9], s[24:25]
	s_delay_alu instid0(SALU_CYCLE_1)
	v_lshl_add_u64 v[12:13], s[10:11], 3, v[2:3]
	global_load_b64 v[12:13], v[12:13], off
	s_wait_loadcnt 0x0
	ds_store_b64 v1, v[12:13]
	s_wait_xcnt 0x0
	s_or_b32 exec_lo, exec_lo, s7
	s_and_saveexec_b32 s7, s2
	s_cbranch_execz .LBB65_7
.LBB65_12:                              ;   in Loop: Header=BB65_4 Depth=1
	s_mul_u64 s[10:11], s[14:15], s[24:25]
	s_delay_alu instid0(SALU_CYCLE_1)
	v_lshl_add_u64 v[12:13], s[10:11], 3, v[4:5]
	global_load_b64 v[12:13], v[12:13], off
	s_wait_loadcnt 0x0
	ds_store_b64 v16, v[12:13]
	s_wait_xcnt 0x0
	s_or_b32 exec_lo, exec_lo, s7
	s_and_saveexec_b32 s7, s3
	s_cbranch_execnz .LBB65_8
	s_branch .LBB65_9
.LBB65_13:                              ;   in Loop: Header=BB65_4 Depth=1
	s_mov_b32 s7, 0
.LBB65_14:                              ;   in Loop: Header=BB65_4 Depth=1
	s_delay_alu instid0(SALU_CYCLE_1) | instskip(SKIP_1) | instid1(SALU_CYCLE_1)
	s_and_not1_b32 s7, s7, exec_lo
	s_and_b32 s10, s1, exec_lo
	s_or_b32 s7, s7, s10
.LBB65_15:                              ;   in Loop: Header=BB65_4 Depth=1
	s_delay_alu instid0(SALU_CYCLE_1)
	s_and_saveexec_b32 s10, s7
; %bb.16:                               ;   in Loop: Header=BB65_4 Depth=1
	ds_store_b64 v15, v[8:9]
; %bb.17:                               ;   in Loop: Header=BB65_4 Depth=1
	s_or_b32 exec_lo, exec_lo, s10
	s_wait_dscnt 0x0
	s_barrier_signal -1
	s_barrier_wait -1
	s_and_saveexec_b32 s7, s2
	s_cbranch_execz .LBB65_2
; %bb.18:                               ;   in Loop: Header=BB65_4 Depth=1
	ds_load_2addr_b64 v[20:23], v0 offset1:32
	ds_load_b128 v[24:27], v14
	ds_load_b128 v[28:31], v14 offset:16
	s_mul_u64 s[10:11], s[28:29], s[24:25]
	s_wait_dscnt 0x1
	v_fma_f64 v[12:13], v[20:21], v[24:25], 0
	s_delay_alu instid0(VALU_DEP_1) | instskip(SKIP_3) | instid1(VALU_DEP_1)
	v_fmac_f64_e32 v[12:13], v[22:23], v[26:27]
	ds_load_2addr_b64 v[20:23], v0 offset0:64 offset1:96
	s_wait_dscnt 0x0
	v_fmac_f64_e32 v[12:13], v[20:21], v[28:29]
	v_fmac_f64_e32 v[12:13], v[22:23], v[30:31]
	ds_load_2addr_b64 v[20:23], v0 offset0:128 offset1:160
	ds_load_b128 v[24:27], v14 offset:32
	ds_load_b128 v[28:31], v14 offset:48
	s_wait_dscnt 0x1
	v_fmac_f64_e32 v[12:13], v[20:21], v[24:25]
	s_delay_alu instid0(VALU_DEP_1) | instskip(SKIP_3) | instid1(VALU_DEP_1)
	v_fmac_f64_e32 v[12:13], v[22:23], v[26:27]
	ds_load_2addr_b64 v[20:23], v0 offset0:192 offset1:224
	s_wait_dscnt 0x0
	v_fmac_f64_e32 v[12:13], v[20:21], v[28:29]
	v_fmac_f64_e32 v[12:13], v[22:23], v[30:31]
	ds_load_2addr_b64 v[20:23], v17 offset1:32
	ds_load_b128 v[24:27], v14 offset:64
	ds_load_b128 v[28:31], v14 offset:80
	s_wait_dscnt 0x1
	v_fmac_f64_e32 v[12:13], v[20:21], v[24:25]
	s_delay_alu instid0(VALU_DEP_1) | instskip(SKIP_3) | instid1(VALU_DEP_1)
	v_fmac_f64_e32 v[12:13], v[22:23], v[26:27]
	ds_load_2addr_b64 v[20:23], v17 offset0:64 offset1:96
	s_wait_dscnt 0x0
	v_fmac_f64_e32 v[12:13], v[20:21], v[28:29]
	v_fmac_f64_e32 v[12:13], v[22:23], v[30:31]
	ds_load_2addr_b64 v[20:23], v17 offset0:128 offset1:160
	ds_load_b128 v[24:27], v14 offset:96
	ds_load_b128 v[28:31], v14 offset:112
	s_wait_dscnt 0x1
	v_fmac_f64_e32 v[12:13], v[20:21], v[24:25]
	s_delay_alu instid0(VALU_DEP_1) | instskip(SKIP_3) | instid1(VALU_DEP_1)
	v_fmac_f64_e32 v[12:13], v[22:23], v[26:27]
	ds_load_2addr_b64 v[20:23], v17 offset0:192 offset1:224
	s_wait_dscnt 0x0
	v_fmac_f64_e32 v[12:13], v[20:21], v[28:29]
	v_fmac_f64_e32 v[12:13], v[22:23], v[30:31]
	ds_load_2addr_b64 v[20:23], v18 offset1:32
	ds_load_b128 v[24:27], v14 offset:128
	ds_load_b128 v[28:31], v14 offset:144
	s_wait_dscnt 0x1
	v_fmac_f64_e32 v[12:13], v[20:21], v[24:25]
	;; [unrolled: 22-line block ×3, first 2 shown]
	s_delay_alu instid0(VALU_DEP_1) | instskip(SKIP_3) | instid1(VALU_DEP_1)
	v_fmac_f64_e32 v[12:13], v[22:23], v[26:27]
	ds_load_2addr_b64 v[20:23], v19 offset0:64 offset1:96
	s_wait_dscnt 0x0
	v_fmac_f64_e32 v[12:13], v[20:21], v[28:29]
	v_fmac_f64_e32 v[12:13], v[22:23], v[30:31]
	ds_load_2addr_b64 v[20:23], v19 offset0:128 offset1:160
	ds_load_b128 v[24:27], v14 offset:224
	ds_load_b128 v[28:31], v14 offset:240
	s_wait_dscnt 0x1
	v_fmac_f64_e32 v[12:13], v[20:21], v[24:25]
	s_delay_alu instid0(VALU_DEP_1) | instskip(SKIP_4) | instid1(VALU_DEP_2)
	v_fmac_f64_e32 v[12:13], v[22:23], v[26:27]
	ds_load_2addr_b64 v[20:23], v19 offset0:192 offset1:224
	s_wait_dscnt 0x0
	v_fmac_f64_e32 v[12:13], v[20:21], v[28:29]
	v_lshl_add_u64 v[20:21], s[10:11], 3, v[6:7]
	v_fmac_f64_e32 v[12:13], v[22:23], v[30:31]
	s_delay_alu instid0(VALU_DEP_1)
	v_mul_f64_e32 v[12:13], s[26:27], v[12:13]
	global_store_b64 v[20:21], v[12:13], off
	s_branch .LBB65_2
.LBB65_19:
	s_endpgm
	.section	.rodata,"a",@progbits
	.p2align	6, 0x0
	.amdhsa_kernel _ZL23rocblas_trmm_lTx_kernelILi32ELb1EddKddEv13rocblas_fill_17rocblas_diagonal_iiT2_lPT3_llS5_llPT4_lli
		.amdhsa_group_segment_fixed_size 16384
		.amdhsa_private_segment_fixed_size 0
		.amdhsa_kernarg_size 108
		.amdhsa_user_sgpr_count 2
		.amdhsa_user_sgpr_dispatch_ptr 0
		.amdhsa_user_sgpr_queue_ptr 0
		.amdhsa_user_sgpr_kernarg_segment_ptr 1
		.amdhsa_user_sgpr_dispatch_id 0
		.amdhsa_user_sgpr_kernarg_preload_length 0
		.amdhsa_user_sgpr_kernarg_preload_offset 0
		.amdhsa_user_sgpr_private_segment_size 0
		.amdhsa_wavefront_size32 1
		.amdhsa_uses_dynamic_stack 0
		.amdhsa_enable_private_segment 0
		.amdhsa_system_sgpr_workgroup_id_x 1
		.amdhsa_system_sgpr_workgroup_id_y 0
		.amdhsa_system_sgpr_workgroup_id_z 1
		.amdhsa_system_sgpr_workgroup_info 0
		.amdhsa_system_vgpr_workitem_id 1
		.amdhsa_next_free_vgpr 32
		.amdhsa_next_free_sgpr 34
		.amdhsa_named_barrier_count 0
		.amdhsa_reserve_vcc 1
		.amdhsa_float_round_mode_32 0
		.amdhsa_float_round_mode_16_64 0
		.amdhsa_float_denorm_mode_32 3
		.amdhsa_float_denorm_mode_16_64 3
		.amdhsa_fp16_overflow 0
		.amdhsa_memory_ordered 1
		.amdhsa_forward_progress 1
		.amdhsa_inst_pref_size 11
		.amdhsa_round_robin_scheduling 0
		.amdhsa_exception_fp_ieee_invalid_op 0
		.amdhsa_exception_fp_denorm_src 0
		.amdhsa_exception_fp_ieee_div_zero 0
		.amdhsa_exception_fp_ieee_overflow 0
		.amdhsa_exception_fp_ieee_underflow 0
		.amdhsa_exception_fp_ieee_inexact 0
		.amdhsa_exception_int_div_zero 0
	.end_amdhsa_kernel
	.section	.text._ZL23rocblas_trmm_lTx_kernelILi32ELb1EddKddEv13rocblas_fill_17rocblas_diagonal_iiT2_lPT3_llS5_llPT4_lli,"axG",@progbits,_ZL23rocblas_trmm_lTx_kernelILi32ELb1EddKddEv13rocblas_fill_17rocblas_diagonal_iiT2_lPT3_llS5_llPT4_lli,comdat
.Lfunc_end65:
	.size	_ZL23rocblas_trmm_lTx_kernelILi32ELb1EddKddEv13rocblas_fill_17rocblas_diagonal_iiT2_lPT3_llS5_llPT4_lli, .Lfunc_end65-_ZL23rocblas_trmm_lTx_kernelILi32ELb1EddKddEv13rocblas_fill_17rocblas_diagonal_iiT2_lPT3_llS5_llPT4_lli
                                        ; -- End function
	.set _ZL23rocblas_trmm_lTx_kernelILi32ELb1EddKddEv13rocblas_fill_17rocblas_diagonal_iiT2_lPT3_llS5_llPT4_lli.num_vgpr, 32
	.set _ZL23rocblas_trmm_lTx_kernelILi32ELb1EddKddEv13rocblas_fill_17rocblas_diagonal_iiT2_lPT3_llS5_llPT4_lli.num_agpr, 0
	.set _ZL23rocblas_trmm_lTx_kernelILi32ELb1EddKddEv13rocblas_fill_17rocblas_diagonal_iiT2_lPT3_llS5_llPT4_lli.numbered_sgpr, 34
	.set _ZL23rocblas_trmm_lTx_kernelILi32ELb1EddKddEv13rocblas_fill_17rocblas_diagonal_iiT2_lPT3_llS5_llPT4_lli.num_named_barrier, 0
	.set _ZL23rocblas_trmm_lTx_kernelILi32ELb1EddKddEv13rocblas_fill_17rocblas_diagonal_iiT2_lPT3_llS5_llPT4_lli.private_seg_size, 0
	.set _ZL23rocblas_trmm_lTx_kernelILi32ELb1EddKddEv13rocblas_fill_17rocblas_diagonal_iiT2_lPT3_llS5_llPT4_lli.uses_vcc, 1
	.set _ZL23rocblas_trmm_lTx_kernelILi32ELb1EddKddEv13rocblas_fill_17rocblas_diagonal_iiT2_lPT3_llS5_llPT4_lli.uses_flat_scratch, 0
	.set _ZL23rocblas_trmm_lTx_kernelILi32ELb1EddKddEv13rocblas_fill_17rocblas_diagonal_iiT2_lPT3_llS5_llPT4_lli.has_dyn_sized_stack, 0
	.set _ZL23rocblas_trmm_lTx_kernelILi32ELb1EddKddEv13rocblas_fill_17rocblas_diagonal_iiT2_lPT3_llS5_llPT4_lli.has_recursion, 0
	.set _ZL23rocblas_trmm_lTx_kernelILi32ELb1EddKddEv13rocblas_fill_17rocblas_diagonal_iiT2_lPT3_llS5_llPT4_lli.has_indirect_call, 0
	.section	.AMDGPU.csdata,"",@progbits
; Kernel info:
; codeLenInByte = 1308
; TotalNumSgprs: 36
; NumVgprs: 32
; ScratchSize: 0
; MemoryBound: 0
; FloatMode: 240
; IeeeMode: 1
; LDSByteSize: 16384 bytes/workgroup (compile time only)
; SGPRBlocks: 0
; VGPRBlocks: 1
; NumSGPRsForWavesPerEU: 36
; NumVGPRsForWavesPerEU: 32
; NamedBarCnt: 0
; Occupancy: 16
; WaveLimiterHint : 0
; COMPUTE_PGM_RSRC2:SCRATCH_EN: 0
; COMPUTE_PGM_RSRC2:USER_SGPR: 2
; COMPUTE_PGM_RSRC2:TRAP_HANDLER: 0
; COMPUTE_PGM_RSRC2:TGID_X_EN: 1
; COMPUTE_PGM_RSRC2:TGID_Y_EN: 0
; COMPUTE_PGM_RSRC2:TGID_Z_EN: 1
; COMPUTE_PGM_RSRC2:TIDIG_COMP_CNT: 1
	.section	.text._ZL23rocblas_trmm_rNx_kernelILi32EdPKdS0_dEv13rocblas_fill_17rocblas_diagonal_iiT1_lPT2_llS6_llPT3_lli,"axG",@progbits,_ZL23rocblas_trmm_rNx_kernelILi32EdPKdS0_dEv13rocblas_fill_17rocblas_diagonal_iiT1_lPT2_llS6_llPT3_lli,comdat
	.globl	_ZL23rocblas_trmm_rNx_kernelILi32EdPKdS0_dEv13rocblas_fill_17rocblas_diagonal_iiT1_lPT2_llS6_llPT3_lli ; -- Begin function _ZL23rocblas_trmm_rNx_kernelILi32EdPKdS0_dEv13rocblas_fill_17rocblas_diagonal_iiT1_lPT2_llS6_llPT3_lli
	.p2align	8
	.type	_ZL23rocblas_trmm_rNx_kernelILi32EdPKdS0_dEv13rocblas_fill_17rocblas_diagonal_iiT1_lPT2_llS6_llPT3_lli,@function
_ZL23rocblas_trmm_rNx_kernelILi32EdPKdS0_dEv13rocblas_fill_17rocblas_diagonal_iiT1_lPT2_llS6_llPT3_lli: ; @_ZL23rocblas_trmm_rNx_kernelILi32EdPKdS0_dEv13rocblas_fill_17rocblas_diagonal_iiT1_lPT2_llS6_llPT3_lli
; %bb.0:
	s_load_b32 s5, s[0:1], 0x68
	s_bfe_u32 s2, ttmp6, 0x40014
	s_lshr_b32 s3, ttmp7, 16
	s_add_co_i32 s2, s2, 1
	s_bfe_u32 s6, ttmp6, 0x40008
	s_mul_i32 s4, s3, s2
	s_getreg_b32 s2, hwreg(HW_REG_IB_STS2, 6, 4)
	s_add_co_i32 s6, s6, s4
	s_cmp_eq_u32 s2, 0
	s_mov_b32 s7, 0
	s_cselect_b32 s6, s3, s6
	s_wait_kmcnt 0x0
	s_cmp_ge_u32 s6, s5
	s_cbranch_scc1 .LBB66_19
; %bb.1:
	s_clause 0x3
	s_load_b128 s[24:27], s[0:1], 0x0
	s_load_b512 s[8:23], s[0:1], 0x10
	s_load_b128 s[28:31], s[0:1], 0x50
	s_load_b64 s[34:35], s[0:1], 0x60
	v_bfe_u32 v2, v0, 10, 10
	v_mov_b32_e32 v3, 0
	s_wait_xcnt 0x0
	s_bfe_u32 s0, ttmp6, 0x4000c
	s_and_b32 s3, ttmp6, 15
	s_add_co_i32 s0, s0, 1
	v_lshlrev_b32_e32 v14, 5, v2
	s_mul_i32 s4, ttmp9, s0
	v_and_b32_e32 v6, 0x3ff, v0
	s_add_co_i32 s3, s3, s4
	v_dual_mov_b32 v7, v3 :: v_dual_lshlrev_b32 v17, 8, v2
	v_mov_b64_e32 v[0:1], 0
	s_delay_alu instid0(VALU_DEP_3) | instskip(SKIP_1) | instid1(VALU_DEP_4)
	v_add_lshl_u32 v18, v14, v6, 3
	v_cmp_eq_u32_e32 vcc_lo, v2, v6
	v_lshlrev_b64_e32 v[14:15], 3, v[6:7]
	v_cmp_lt_u32_e64 s0, v6, v2
	s_wait_kmcnt 0x0
	s_add_co_i32 s33, s26, -1
	v_mul_u64_e32 v[8:9], s[14:15], v[2:3]
	v_mul_u64_e32 v[10:11], s[20:21], v[2:3]
	;; [unrolled: 1-line block ×3, first 2 shown]
	s_ashr_i32 s14, s33, 31
	v_cmp_gt_u32_e64 s1, v6, v2
	s_lshr_b32 s14, s14, 27
	v_lshl_add_u32 v16, v6, 3, 0x2000
	s_add_co_i32 s14, s33, s14
	v_mov_b64_e32 v[4:5], 1.0
	s_and_b32 s4, s14, 0xffffffe0
	s_ashr_i32 s14, s14, 5
	s_sub_co_i32 s4, s26, s4
	s_cmp_eq_u32 s2, 0
	v_cmp_gt_i32_e64 s2, s27, v2
	s_cselect_b32 s3, ttmp9, s3
	v_add_nc_u32_e32 v2, 0x2000, v18
	s_cmp_ge_i32 s3, s14
	v_add_nc_u32_e32 v19, 0x800, v16
	s_cselect_b32 s4, s4, 32
	s_lshl_b32 s14, s3, 5
	v_cmp_gt_i32_e64 s3, s27, v6
	s_ashr_i32 s15, s14, 31
	v_cmp_gt_i32_e64 s4, s4, v6
	s_lshl_b64 s[14:15], s[14:15], 3
	v_add_nc_u32_e32 v20, 0x1000, v16
	s_add_nc_u64 s[18:19], s[18:19], s[14:15]
	s_add_nc_u64 s[14:15], s[28:29], s[14:15]
	s_and_b32 s3, s2, s3
	s_and_b32 s2, s2, s4
	s_cmp_eq_u32 s25, 0x84
	v_add_nc_u32_e32 v21, 0x1800, v16
	s_cselect_b32 s4, -1, 0
	v_lshl_add_u64 v[6:7], v[8:9], 3, s[12:13]
	v_lshl_add_u64 v[8:9], v[10:11], 3, s[18:19]
	v_lshl_add_u64 v[10:11], v[12:13], 3, s[14:15]
	s_and_b32 s4, vcc_lo, s4
	s_cmp_lg_u32 s24, 0x79
	v_add_nc_u64_e32 v[6:7], v[6:7], v[14:15]
	v_add_nc_u64_e32 v[8:9], v[8:9], v[14:15]
	;; [unrolled: 1-line block ×3, first 2 shown]
	s_cselect_b32 s12, -1, 0
	s_branch .LBB66_4
.LBB66_2:                               ;   in Loop: Header=BB66_4 Depth=1
	s_wait_xcnt 0x0
	s_or_b32 exec_lo, exec_lo, s13
.LBB66_3:                               ;   in Loop: Header=BB66_4 Depth=1
	s_add_co_i32 s6, s6, 0x10000
	s_delay_alu instid0(SALU_CYCLE_1)
	s_cmp_lt_u32 s6, s5
	s_cbranch_scc0 .LBB66_19
.LBB66_4:                               ; =>This Inner Loop Header: Depth=1
	s_wait_xcnt 0x0
	s_mul_u64 s[14:15], s[10:11], s[6:7]
	s_delay_alu instid0(SALU_CYCLE_1) | instskip(NEXT) | instid1(SALU_CYCLE_1)
	s_lshl_b64 s[14:15], s[14:15], 3
	s_add_nc_u64 s[14:15], s[8:9], s[14:15]
	global_load_b64 v[12:13], v3, s[14:15]
	s_wait_loadcnt 0x0
	v_cmp_eq_f64_e32 vcc_lo, 0, v[12:13]
	s_cbranch_vccnz .LBB66_3
; %bb.5:                                ;   in Loop: Header=BB66_4 Depth=1
	ds_store_b64 v18, v[0:1]
	ds_store_b64 v2, v[0:1]
	s_wait_xcnt 0x0
	s_and_saveexec_b32 s13, s3
	s_cbranch_execnz .LBB66_10
; %bb.6:                                ;   in Loop: Header=BB66_4 Depth=1
	s_or_b32 exec_lo, exec_lo, s13
	s_and_saveexec_b32 s13, s2
	s_cbranch_execnz .LBB66_11
.LBB66_7:                               ;   in Loop: Header=BB66_4 Depth=1
	s_or_b32 exec_lo, exec_lo, s13
	s_and_saveexec_b32 s13, s4
	s_cbranch_execnz .LBB66_12
.LBB66_8:                               ;   in Loop: Header=BB66_4 Depth=1
	s_or_b32 exec_lo, exec_lo, s13
	s_delay_alu instid0(SALU_CYCLE_1)
	s_and_b32 vcc_lo, exec_lo, s12
	s_cbranch_vccz .LBB66_13
.LBB66_9:                               ;   in Loop: Header=BB66_4 Depth=1
	s_and_b32 s13, s0, exec_lo
	s_cbranch_execz .LBB66_14
	s_branch .LBB66_15
.LBB66_10:                              ;   in Loop: Header=BB66_4 Depth=1
	s_mul_u64 s[14:15], s[16:17], s[6:7]
	s_delay_alu instid0(SALU_CYCLE_1)
	v_lshl_add_u64 v[14:15], s[14:15], 3, v[6:7]
	global_load_b64 v[14:15], v[14:15], off
	s_wait_loadcnt 0x0
	ds_store_b64 v18, v[14:15]
	s_wait_xcnt 0x0
	s_or_b32 exec_lo, exec_lo, s13
	s_and_saveexec_b32 s13, s2
	s_cbranch_execz .LBB66_7
.LBB66_11:                              ;   in Loop: Header=BB66_4 Depth=1
	s_mul_u64 s[14:15], s[22:23], s[6:7]
	s_delay_alu instid0(SALU_CYCLE_1)
	v_lshl_add_u64 v[14:15], s[14:15], 3, v[8:9]
	global_load_b64 v[14:15], v[14:15], off
	s_wait_loadcnt 0x0
	ds_store_b64 v2, v[14:15]
	s_wait_xcnt 0x0
	s_or_b32 exec_lo, exec_lo, s13
	s_and_saveexec_b32 s13, s4
	s_cbranch_execz .LBB66_8
.LBB66_12:                              ;   in Loop: Header=BB66_4 Depth=1
	ds_store_b64 v18, v[4:5]
	s_or_b32 exec_lo, exec_lo, s13
	s_delay_alu instid0(SALU_CYCLE_1)
	s_and_b32 vcc_lo, exec_lo, s12
	s_cbranch_vccnz .LBB66_9
.LBB66_13:                              ;   in Loop: Header=BB66_4 Depth=1
	s_mov_b32 s13, 0
.LBB66_14:                              ;   in Loop: Header=BB66_4 Depth=1
	s_delay_alu instid0(SALU_CYCLE_1) | instskip(SKIP_1) | instid1(SALU_CYCLE_1)
	s_and_not1_b32 s13, s13, exec_lo
	s_and_b32 s14, s1, exec_lo
	s_or_b32 s13, s13, s14
.LBB66_15:                              ;   in Loop: Header=BB66_4 Depth=1
	s_delay_alu instid0(SALU_CYCLE_1)
	s_and_saveexec_b32 s14, s13
; %bb.16:                               ;   in Loop: Header=BB66_4 Depth=1
	ds_store_b64 v18, v[0:1]
; %bb.17:                               ;   in Loop: Header=BB66_4 Depth=1
	s_or_b32 exec_lo, exec_lo, s14
	s_wait_dscnt 0x0
	s_barrier_signal -1
	s_barrier_wait -1
	s_and_saveexec_b32 s13, s2
	s_cbranch_execz .LBB66_2
; %bb.18:                               ;   in Loop: Header=BB66_4 Depth=1
	ds_load_2addr_b64 v[22:25], v16 offset1:32
	ds_load_b128 v[26:29], v17
	ds_load_b128 v[30:33], v17 offset:16
	s_mul_u64 s[14:15], s[34:35], s[6:7]
	s_wait_dscnt 0x1
	v_fma_f64 v[14:15], v[22:23], v[26:27], 0
	s_delay_alu instid0(VALU_DEP_1) | instskip(SKIP_3) | instid1(VALU_DEP_1)
	v_fmac_f64_e32 v[14:15], v[24:25], v[28:29]
	ds_load_2addr_b64 v[22:25], v16 offset0:64 offset1:96
	s_wait_dscnt 0x0
	v_fmac_f64_e32 v[14:15], v[22:23], v[30:31]
	v_fmac_f64_e32 v[14:15], v[24:25], v[32:33]
	ds_load_2addr_b64 v[22:25], v16 offset0:128 offset1:160
	ds_load_b128 v[26:29], v17 offset:32
	ds_load_b128 v[30:33], v17 offset:48
	s_wait_dscnt 0x1
	v_fmac_f64_e32 v[14:15], v[22:23], v[26:27]
	s_delay_alu instid0(VALU_DEP_1) | instskip(SKIP_3) | instid1(VALU_DEP_1)
	v_fmac_f64_e32 v[14:15], v[24:25], v[28:29]
	ds_load_2addr_b64 v[22:25], v16 offset0:192 offset1:224
	s_wait_dscnt 0x0
	v_fmac_f64_e32 v[14:15], v[22:23], v[30:31]
	v_fmac_f64_e32 v[14:15], v[24:25], v[32:33]
	ds_load_2addr_b64 v[22:25], v19 offset1:32
	ds_load_b128 v[26:29], v17 offset:64
	ds_load_b128 v[30:33], v17 offset:80
	s_wait_dscnt 0x1
	v_fmac_f64_e32 v[14:15], v[22:23], v[26:27]
	s_delay_alu instid0(VALU_DEP_1) | instskip(SKIP_3) | instid1(VALU_DEP_1)
	v_fmac_f64_e32 v[14:15], v[24:25], v[28:29]
	ds_load_2addr_b64 v[22:25], v19 offset0:64 offset1:96
	s_wait_dscnt 0x0
	v_fmac_f64_e32 v[14:15], v[22:23], v[30:31]
	v_fmac_f64_e32 v[14:15], v[24:25], v[32:33]
	ds_load_2addr_b64 v[22:25], v19 offset0:128 offset1:160
	ds_load_b128 v[26:29], v17 offset:96
	ds_load_b128 v[30:33], v17 offset:112
	s_wait_dscnt 0x1
	v_fmac_f64_e32 v[14:15], v[22:23], v[26:27]
	s_delay_alu instid0(VALU_DEP_1) | instskip(SKIP_3) | instid1(VALU_DEP_1)
	v_fmac_f64_e32 v[14:15], v[24:25], v[28:29]
	ds_load_2addr_b64 v[22:25], v19 offset0:192 offset1:224
	s_wait_dscnt 0x0
	v_fmac_f64_e32 v[14:15], v[22:23], v[30:31]
	v_fmac_f64_e32 v[14:15], v[24:25], v[32:33]
	ds_load_2addr_b64 v[22:25], v20 offset1:32
	ds_load_b128 v[26:29], v17 offset:128
	ds_load_b128 v[30:33], v17 offset:144
	s_wait_dscnt 0x1
	v_fmac_f64_e32 v[14:15], v[22:23], v[26:27]
	s_delay_alu instid0(VALU_DEP_1) | instskip(SKIP_3) | instid1(VALU_DEP_1)
	v_fmac_f64_e32 v[14:15], v[24:25], v[28:29]
	ds_load_2addr_b64 v[22:25], v20 offset0:64 offset1:96
	s_wait_dscnt 0x0
	v_fmac_f64_e32 v[14:15], v[22:23], v[30:31]
	v_fmac_f64_e32 v[14:15], v[24:25], v[32:33]
	ds_load_2addr_b64 v[22:25], v20 offset0:128 offset1:160
	ds_load_b128 v[26:29], v17 offset:160
	ds_load_b128 v[30:33], v17 offset:176
	s_wait_dscnt 0x1
	v_fmac_f64_e32 v[14:15], v[22:23], v[26:27]
	s_delay_alu instid0(VALU_DEP_1) | instskip(SKIP_3) | instid1(VALU_DEP_1)
	v_fmac_f64_e32 v[14:15], v[24:25], v[28:29]
	ds_load_2addr_b64 v[22:25], v20 offset0:192 offset1:224
	s_wait_dscnt 0x0
	v_fmac_f64_e32 v[14:15], v[22:23], v[30:31]
	v_fmac_f64_e32 v[14:15], v[24:25], v[32:33]
	ds_load_2addr_b64 v[22:25], v21 offset1:32
	ds_load_b128 v[26:29], v17 offset:192
	ds_load_b128 v[30:33], v17 offset:208
	s_wait_dscnt 0x1
	v_fmac_f64_e32 v[14:15], v[22:23], v[26:27]
	s_delay_alu instid0(VALU_DEP_1) | instskip(SKIP_3) | instid1(VALU_DEP_1)
	v_fmac_f64_e32 v[14:15], v[24:25], v[28:29]
	ds_load_2addr_b64 v[22:25], v21 offset0:64 offset1:96
	s_wait_dscnt 0x0
	v_fmac_f64_e32 v[14:15], v[22:23], v[30:31]
	v_fmac_f64_e32 v[14:15], v[24:25], v[32:33]
	ds_load_2addr_b64 v[22:25], v21 offset0:128 offset1:160
	ds_load_b128 v[26:29], v17 offset:224
	ds_load_b128 v[30:33], v17 offset:240
	s_wait_dscnt 0x1
	v_fmac_f64_e32 v[14:15], v[22:23], v[26:27]
	s_delay_alu instid0(VALU_DEP_1) | instskip(SKIP_3) | instid1(VALU_DEP_1)
	v_fmac_f64_e32 v[14:15], v[24:25], v[28:29]
	ds_load_2addr_b64 v[22:25], v21 offset0:192 offset1:224
	s_wait_dscnt 0x0
	v_fmac_f64_e32 v[14:15], v[22:23], v[30:31]
	v_fmac_f64_e32 v[14:15], v[24:25], v[32:33]
	s_delay_alu instid0(VALU_DEP_1)
	v_mul_f64_e32 v[12:13], v[12:13], v[14:15]
	v_lshl_add_u64 v[14:15], s[14:15], 3, v[10:11]
	global_store_b64 v[14:15], v[12:13], off
	s_branch .LBB66_2
.LBB66_19:
	s_endpgm
	.section	.rodata,"a",@progbits
	.p2align	6, 0x0
	.amdhsa_kernel _ZL23rocblas_trmm_rNx_kernelILi32EdPKdS0_dEv13rocblas_fill_17rocblas_diagonal_iiT1_lPT2_llS6_llPT3_lli
		.amdhsa_group_segment_fixed_size 16384
		.amdhsa_private_segment_fixed_size 0
		.amdhsa_kernarg_size 108
		.amdhsa_user_sgpr_count 2
		.amdhsa_user_sgpr_dispatch_ptr 0
		.amdhsa_user_sgpr_queue_ptr 0
		.amdhsa_user_sgpr_kernarg_segment_ptr 1
		.amdhsa_user_sgpr_dispatch_id 0
		.amdhsa_user_sgpr_kernarg_preload_length 0
		.amdhsa_user_sgpr_kernarg_preload_offset 0
		.amdhsa_user_sgpr_private_segment_size 0
		.amdhsa_wavefront_size32 1
		.amdhsa_uses_dynamic_stack 0
		.amdhsa_enable_private_segment 0
		.amdhsa_system_sgpr_workgroup_id_x 1
		.amdhsa_system_sgpr_workgroup_id_y 0
		.amdhsa_system_sgpr_workgroup_id_z 1
		.amdhsa_system_sgpr_workgroup_info 0
		.amdhsa_system_vgpr_workitem_id 1
		.amdhsa_next_free_vgpr 34
		.amdhsa_next_free_sgpr 36
		.amdhsa_named_barrier_count 0
		.amdhsa_reserve_vcc 1
		.amdhsa_float_round_mode_32 0
		.amdhsa_float_round_mode_16_64 0
		.amdhsa_float_denorm_mode_32 3
		.amdhsa_float_denorm_mode_16_64 3
		.amdhsa_fp16_overflow 0
		.amdhsa_memory_ordered 1
		.amdhsa_forward_progress 1
		.amdhsa_inst_pref_size 11
		.amdhsa_round_robin_scheduling 0
		.amdhsa_exception_fp_ieee_invalid_op 0
		.amdhsa_exception_fp_denorm_src 0
		.amdhsa_exception_fp_ieee_div_zero 0
		.amdhsa_exception_fp_ieee_overflow 0
		.amdhsa_exception_fp_ieee_underflow 0
		.amdhsa_exception_fp_ieee_inexact 0
		.amdhsa_exception_int_div_zero 0
	.end_amdhsa_kernel
	.section	.text._ZL23rocblas_trmm_rNx_kernelILi32EdPKdS0_dEv13rocblas_fill_17rocblas_diagonal_iiT1_lPT2_llS6_llPT3_lli,"axG",@progbits,_ZL23rocblas_trmm_rNx_kernelILi32EdPKdS0_dEv13rocblas_fill_17rocblas_diagonal_iiT1_lPT2_llS6_llPT3_lli,comdat
.Lfunc_end66:
	.size	_ZL23rocblas_trmm_rNx_kernelILi32EdPKdS0_dEv13rocblas_fill_17rocblas_diagonal_iiT1_lPT2_llS6_llPT3_lli, .Lfunc_end66-_ZL23rocblas_trmm_rNx_kernelILi32EdPKdS0_dEv13rocblas_fill_17rocblas_diagonal_iiT1_lPT2_llS6_llPT3_lli
                                        ; -- End function
	.set _ZL23rocblas_trmm_rNx_kernelILi32EdPKdS0_dEv13rocblas_fill_17rocblas_diagonal_iiT1_lPT2_llS6_llPT3_lli.num_vgpr, 34
	.set _ZL23rocblas_trmm_rNx_kernelILi32EdPKdS0_dEv13rocblas_fill_17rocblas_diagonal_iiT1_lPT2_llS6_llPT3_lli.num_agpr, 0
	.set _ZL23rocblas_trmm_rNx_kernelILi32EdPKdS0_dEv13rocblas_fill_17rocblas_diagonal_iiT1_lPT2_llS6_llPT3_lli.numbered_sgpr, 36
	.set _ZL23rocblas_trmm_rNx_kernelILi32EdPKdS0_dEv13rocblas_fill_17rocblas_diagonal_iiT1_lPT2_llS6_llPT3_lli.num_named_barrier, 0
	.set _ZL23rocblas_trmm_rNx_kernelILi32EdPKdS0_dEv13rocblas_fill_17rocblas_diagonal_iiT1_lPT2_llS6_llPT3_lli.private_seg_size, 0
	.set _ZL23rocblas_trmm_rNx_kernelILi32EdPKdS0_dEv13rocblas_fill_17rocblas_diagonal_iiT1_lPT2_llS6_llPT3_lli.uses_vcc, 1
	.set _ZL23rocblas_trmm_rNx_kernelILi32EdPKdS0_dEv13rocblas_fill_17rocblas_diagonal_iiT1_lPT2_llS6_llPT3_lli.uses_flat_scratch, 0
	.set _ZL23rocblas_trmm_rNx_kernelILi32EdPKdS0_dEv13rocblas_fill_17rocblas_diagonal_iiT1_lPT2_llS6_llPT3_lli.has_dyn_sized_stack, 0
	.set _ZL23rocblas_trmm_rNx_kernelILi32EdPKdS0_dEv13rocblas_fill_17rocblas_diagonal_iiT1_lPT2_llS6_llPT3_lli.has_recursion, 0
	.set _ZL23rocblas_trmm_rNx_kernelILi32EdPKdS0_dEv13rocblas_fill_17rocblas_diagonal_iiT1_lPT2_llS6_llPT3_lli.has_indirect_call, 0
	.section	.AMDGPU.csdata,"",@progbits
; Kernel info:
; codeLenInByte = 1312
; TotalNumSgprs: 38
; NumVgprs: 34
; ScratchSize: 0
; MemoryBound: 0
; FloatMode: 240
; IeeeMode: 1
; LDSByteSize: 16384 bytes/workgroup (compile time only)
; SGPRBlocks: 0
; VGPRBlocks: 2
; NumSGPRsForWavesPerEU: 38
; NumVGPRsForWavesPerEU: 34
; NamedBarCnt: 0
; Occupancy: 16
; WaveLimiterHint : 0
; COMPUTE_PGM_RSRC2:SCRATCH_EN: 0
; COMPUTE_PGM_RSRC2:USER_SGPR: 2
; COMPUTE_PGM_RSRC2:TRAP_HANDLER: 0
; COMPUTE_PGM_RSRC2:TGID_X_EN: 1
; COMPUTE_PGM_RSRC2:TGID_Y_EN: 0
; COMPUTE_PGM_RSRC2:TGID_Z_EN: 1
; COMPUTE_PGM_RSRC2:TIDIG_COMP_CNT: 1
	.section	.text._ZL23rocblas_trmm_rNx_kernelILi32EddKddEv13rocblas_fill_17rocblas_diagonal_iiT1_lPT2_llS5_llPT3_lli,"axG",@progbits,_ZL23rocblas_trmm_rNx_kernelILi32EddKddEv13rocblas_fill_17rocblas_diagonal_iiT1_lPT2_llS5_llPT3_lli,comdat
	.globl	_ZL23rocblas_trmm_rNx_kernelILi32EddKddEv13rocblas_fill_17rocblas_diagonal_iiT1_lPT2_llS5_llPT3_lli ; -- Begin function _ZL23rocblas_trmm_rNx_kernelILi32EddKddEv13rocblas_fill_17rocblas_diagonal_iiT1_lPT2_llS5_llPT3_lli
	.p2align	8
	.type	_ZL23rocblas_trmm_rNx_kernelILi32EddKddEv13rocblas_fill_17rocblas_diagonal_iiT1_lPT2_llS5_llPT3_lli,@function
_ZL23rocblas_trmm_rNx_kernelILi32EddKddEv13rocblas_fill_17rocblas_diagonal_iiT1_lPT2_llS5_llPT3_lli: ; @_ZL23rocblas_trmm_rNx_kernelILi32EddKddEv13rocblas_fill_17rocblas_diagonal_iiT1_lPT2_llS5_llPT3_lli
; %bb.0:
	s_load_b32 s5, s[0:1], 0x68
	s_bfe_u32 s2, ttmp6, 0x40014
	s_lshr_b32 s3, ttmp7, 16
	s_add_co_i32 s2, s2, 1
	s_bfe_u32 s6, ttmp6, 0x40008
	s_mul_i32 s4, s3, s2
	s_getreg_b32 s2, hwreg(HW_REG_IB_STS2, 6, 4)
	s_add_co_i32 s6, s6, s4
	s_cmp_eq_u32 s2, 0
	s_mov_b32 s7, 0
	s_cselect_b32 s6, s3, s6
	s_wait_kmcnt 0x0
	s_cmp_ge_u32 s6, s5
	s_cbranch_scc1 .LBB67_19
; %bb.1:
	s_clause 0x3
	s_load_b128 s[24:27], s[0:1], 0x0
	s_load_b512 s[8:23], s[0:1], 0x20
	s_load_b64 s[28:29], s[0:1], 0x10
	s_load_b64 s[30:31], s[0:1], 0x60
	v_bfe_u32 v2, v0, 10, 10
	v_mov_b32_e32 v3, 0
	s_wait_xcnt 0x0
	s_bfe_u32 s0, ttmp6, 0x4000c
	s_and_b32 s3, ttmp6, 15
	s_add_co_i32 s0, s0, 1
	v_lshlrev_b32_e32 v14, 5, v2
	s_mul_i32 s4, ttmp9, s0
	v_and_b32_e32 v4, 0x3ff, v0
	s_add_co_i32 s3, s3, s4
	v_dual_mov_b32 v5, v3 :: v_dual_lshlrev_b32 v13, 8, v2
	v_mov_b64_e32 v[0:1], 0
	s_delay_alu instid0(VALU_DEP_3) | instskip(SKIP_1) | instid1(VALU_DEP_4)
	v_cmp_eq_u32_e32 vcc_lo, v2, v4
	v_cmp_lt_u32_e64 s0, v4, v2
	v_lshlrev_b64_e32 v[16:17], 3, v[4:5]
	v_cmp_gt_u32_e64 s1, v4, v2
	s_wait_kmcnt 0x0
	s_add_co_i32 s33, s26, -1
	v_mul_u64_e32 v[6:7], s[10:11], v[2:3]
	s_ashr_i32 s10, s33, 31
	v_mul_u64_e32 v[8:9], s[16:17], v[2:3]
	s_lshr_b32 s10, s10, 27
	v_mul_u64_e32 v[10:11], s[22:23], v[2:3]
	s_add_co_i32 s10, s33, s10
	v_lshl_add_u32 v12, v4, 3, 0x2000
	s_and_b32 s4, s10, 0xffffffe0
	s_ashr_i32 s10, s10, 5
	s_sub_co_i32 s4, s26, s4
	s_cmp_eq_u32 s2, 0
	v_cmp_gt_i32_e64 s2, s27, v2
	s_cselect_b32 s3, ttmp9, s3
	v_add_lshl_u32 v14, v14, v4, 3
	s_cmp_ge_i32 s3, s10
	v_add_nc_u32_e32 v18, 0x1800, v12
	s_cselect_b32 s4, s4, 32
	s_lshl_b32 s10, s3, 5
	v_cmp_gt_i32_e64 s3, s27, v4
	v_cmp_gt_i32_e64 s4, s4, v4
	s_ashr_i32 s11, s10, 31
	v_add_nc_u32_e32 v15, 0x2000, v14
	s_lshl_b64 s[10:11], s[10:11], 3
	s_and_b32 s3, s2, s3
	s_and_b32 s2, s2, s4
	v_cmp_neq_f64_e64 s4, s[28:29], 0
	s_add_nc_u64 s[14:15], s[14:15], s[10:11]
	s_add_nc_u64 s[10:11], s[20:21], s[10:11]
	s_cmp_eq_u32 s25, 0x84
	s_cselect_b32 s16, -1, 0
	v_lshl_add_u64 v[2:3], v[6:7], 3, s[8:9]
	s_and_b32 s8, vcc_lo, s16
	v_lshl_add_u64 v[4:5], v[8:9], 3, s[14:15]
	v_mov_b64_e32 v[8:9], 1.0
	v_lshl_add_u64 v[6:7], v[10:11], 3, s[10:11]
	v_add_nc_u64_e32 v[2:3], v[2:3], v[16:17]
	s_cmp_lg_u32 s24, 0x79
	v_add_nc_u64_e32 v[4:5], v[4:5], v[16:17]
	s_cselect_b32 s9, -1, 0
	v_add_nc_u64_e32 v[6:7], v[6:7], v[16:17]
	v_add_nc_u32_e32 v16, 0x800, v12
	v_add_nc_u32_e32 v17, 0x1000, v12
	s_branch .LBB67_4
.LBB67_2:                               ;   in Loop: Header=BB67_4 Depth=1
	s_wait_xcnt 0x0
	s_or_b32 exec_lo, exec_lo, s10
.LBB67_3:                               ;   in Loop: Header=BB67_4 Depth=1
	s_add_co_i32 s6, s6, 0x10000
	s_delay_alu instid0(SALU_CYCLE_1)
	s_cmp_lt_u32 s6, s5
	s_cbranch_scc0 .LBB67_19
.LBB67_4:                               ; =>This Inner Loop Header: Depth=1
	s_and_not1_b32 vcc_lo, exec_lo, s4
	s_cbranch_vccnz .LBB67_3
; %bb.5:                                ;   in Loop: Header=BB67_4 Depth=1
	ds_store_b64 v14, v[0:1]
	ds_store_b64 v15, v[0:1]
	s_and_saveexec_b32 s10, s3
	s_cbranch_execnz .LBB67_10
; %bb.6:                                ;   in Loop: Header=BB67_4 Depth=1
	s_or_b32 exec_lo, exec_lo, s10
	s_and_saveexec_b32 s10, s2
	s_cbranch_execnz .LBB67_11
.LBB67_7:                               ;   in Loop: Header=BB67_4 Depth=1
	s_or_b32 exec_lo, exec_lo, s10
	s_and_saveexec_b32 s10, s8
	s_cbranch_execnz .LBB67_12
.LBB67_8:                               ;   in Loop: Header=BB67_4 Depth=1
	s_or_b32 exec_lo, exec_lo, s10
	s_delay_alu instid0(SALU_CYCLE_1)
	s_and_b32 vcc_lo, exec_lo, s9
	s_cbranch_vccz .LBB67_13
.LBB67_9:                               ;   in Loop: Header=BB67_4 Depth=1
	s_and_b32 s10, s0, exec_lo
	s_cbranch_execz .LBB67_14
	s_branch .LBB67_15
.LBB67_10:                              ;   in Loop: Header=BB67_4 Depth=1
	s_mul_u64 s[14:15], s[12:13], s[6:7]
	s_delay_alu instid0(SALU_CYCLE_1)
	v_lshl_add_u64 v[10:11], s[14:15], 3, v[2:3]
	global_load_b64 v[10:11], v[10:11], off
	s_wait_loadcnt 0x0
	ds_store_b64 v14, v[10:11]
	s_wait_xcnt 0x0
	s_or_b32 exec_lo, exec_lo, s10
	s_and_saveexec_b32 s10, s2
	s_cbranch_execz .LBB67_7
.LBB67_11:                              ;   in Loop: Header=BB67_4 Depth=1
	s_mul_u64 s[14:15], s[18:19], s[6:7]
	s_delay_alu instid0(SALU_CYCLE_1)
	v_lshl_add_u64 v[10:11], s[14:15], 3, v[4:5]
	global_load_b64 v[10:11], v[10:11], off
	s_wait_loadcnt 0x0
	ds_store_b64 v15, v[10:11]
	s_wait_xcnt 0x0
	s_or_b32 exec_lo, exec_lo, s10
	s_and_saveexec_b32 s10, s8
	s_cbranch_execz .LBB67_8
.LBB67_12:                              ;   in Loop: Header=BB67_4 Depth=1
	ds_store_b64 v14, v[8:9]
	s_or_b32 exec_lo, exec_lo, s10
	s_delay_alu instid0(SALU_CYCLE_1)
	s_and_b32 vcc_lo, exec_lo, s9
	s_cbranch_vccnz .LBB67_9
.LBB67_13:                              ;   in Loop: Header=BB67_4 Depth=1
	s_mov_b32 s10, 0
.LBB67_14:                              ;   in Loop: Header=BB67_4 Depth=1
	s_delay_alu instid0(SALU_CYCLE_1) | instskip(SKIP_1) | instid1(SALU_CYCLE_1)
	s_and_not1_b32 s10, s10, exec_lo
	s_and_b32 s11, s1, exec_lo
	s_or_b32 s10, s10, s11
.LBB67_15:                              ;   in Loop: Header=BB67_4 Depth=1
	s_delay_alu instid0(SALU_CYCLE_1)
	s_and_saveexec_b32 s11, s10
; %bb.16:                               ;   in Loop: Header=BB67_4 Depth=1
	ds_store_b64 v14, v[0:1]
; %bb.17:                               ;   in Loop: Header=BB67_4 Depth=1
	s_or_b32 exec_lo, exec_lo, s11
	s_wait_dscnt 0x0
	s_barrier_signal -1
	s_barrier_wait -1
	s_and_saveexec_b32 s10, s2
	s_cbranch_execz .LBB67_2
; %bb.18:                               ;   in Loop: Header=BB67_4 Depth=1
	ds_load_2addr_b64 v[20:23], v12 offset1:32
	ds_load_b128 v[24:27], v13
	ds_load_b128 v[28:31], v13 offset:16
	s_mul_u64 s[14:15], s[30:31], s[6:7]
	s_wait_dscnt 0x1
	v_fma_f64 v[10:11], v[20:21], v[24:25], 0
	s_delay_alu instid0(VALU_DEP_1) | instskip(SKIP_3) | instid1(VALU_DEP_1)
	v_fmac_f64_e32 v[10:11], v[22:23], v[26:27]
	ds_load_2addr_b64 v[20:23], v12 offset0:64 offset1:96
	s_wait_dscnt 0x0
	v_fmac_f64_e32 v[10:11], v[20:21], v[28:29]
	v_fmac_f64_e32 v[10:11], v[22:23], v[30:31]
	ds_load_2addr_b64 v[20:23], v12 offset0:128 offset1:160
	ds_load_b128 v[24:27], v13 offset:32
	ds_load_b128 v[28:31], v13 offset:48
	s_wait_dscnt 0x1
	v_fmac_f64_e32 v[10:11], v[20:21], v[24:25]
	s_delay_alu instid0(VALU_DEP_1) | instskip(SKIP_3) | instid1(VALU_DEP_1)
	v_fmac_f64_e32 v[10:11], v[22:23], v[26:27]
	ds_load_2addr_b64 v[20:23], v12 offset0:192 offset1:224
	s_wait_dscnt 0x0
	v_fmac_f64_e32 v[10:11], v[20:21], v[28:29]
	v_fmac_f64_e32 v[10:11], v[22:23], v[30:31]
	ds_load_2addr_b64 v[20:23], v16 offset1:32
	ds_load_b128 v[24:27], v13 offset:64
	ds_load_b128 v[28:31], v13 offset:80
	s_wait_dscnt 0x1
	v_fmac_f64_e32 v[10:11], v[20:21], v[24:25]
	s_delay_alu instid0(VALU_DEP_1) | instskip(SKIP_3) | instid1(VALU_DEP_1)
	v_fmac_f64_e32 v[10:11], v[22:23], v[26:27]
	ds_load_2addr_b64 v[20:23], v16 offset0:64 offset1:96
	s_wait_dscnt 0x0
	v_fmac_f64_e32 v[10:11], v[20:21], v[28:29]
	v_fmac_f64_e32 v[10:11], v[22:23], v[30:31]
	ds_load_2addr_b64 v[20:23], v16 offset0:128 offset1:160
	ds_load_b128 v[24:27], v13 offset:96
	ds_load_b128 v[28:31], v13 offset:112
	s_wait_dscnt 0x1
	v_fmac_f64_e32 v[10:11], v[20:21], v[24:25]
	s_delay_alu instid0(VALU_DEP_1) | instskip(SKIP_3) | instid1(VALU_DEP_1)
	v_fmac_f64_e32 v[10:11], v[22:23], v[26:27]
	ds_load_2addr_b64 v[20:23], v16 offset0:192 offset1:224
	s_wait_dscnt 0x0
	v_fmac_f64_e32 v[10:11], v[20:21], v[28:29]
	v_fmac_f64_e32 v[10:11], v[22:23], v[30:31]
	ds_load_2addr_b64 v[20:23], v17 offset1:32
	ds_load_b128 v[24:27], v13 offset:128
	ds_load_b128 v[28:31], v13 offset:144
	s_wait_dscnt 0x1
	v_fmac_f64_e32 v[10:11], v[20:21], v[24:25]
	;; [unrolled: 22-line block ×3, first 2 shown]
	s_delay_alu instid0(VALU_DEP_1) | instskip(SKIP_3) | instid1(VALU_DEP_1)
	v_fmac_f64_e32 v[10:11], v[22:23], v[26:27]
	ds_load_2addr_b64 v[20:23], v18 offset0:64 offset1:96
	s_wait_dscnt 0x0
	v_fmac_f64_e32 v[10:11], v[20:21], v[28:29]
	v_fmac_f64_e32 v[10:11], v[22:23], v[30:31]
	ds_load_2addr_b64 v[20:23], v18 offset0:128 offset1:160
	ds_load_b128 v[24:27], v13 offset:224
	ds_load_b128 v[28:31], v13 offset:240
	s_wait_dscnt 0x1
	v_fmac_f64_e32 v[10:11], v[20:21], v[24:25]
	s_delay_alu instid0(VALU_DEP_1) | instskip(SKIP_4) | instid1(VALU_DEP_2)
	v_fmac_f64_e32 v[10:11], v[22:23], v[26:27]
	ds_load_2addr_b64 v[20:23], v18 offset0:192 offset1:224
	s_wait_dscnt 0x0
	v_fmac_f64_e32 v[10:11], v[20:21], v[28:29]
	v_lshl_add_u64 v[20:21], s[14:15], 3, v[6:7]
	v_fmac_f64_e32 v[10:11], v[22:23], v[30:31]
	s_delay_alu instid0(VALU_DEP_1)
	v_mul_f64_e32 v[10:11], s[28:29], v[10:11]
	global_store_b64 v[20:21], v[10:11], off
	s_branch .LBB67_2
.LBB67_19:
	s_endpgm
	.section	.rodata,"a",@progbits
	.p2align	6, 0x0
	.amdhsa_kernel _ZL23rocblas_trmm_rNx_kernelILi32EddKddEv13rocblas_fill_17rocblas_diagonal_iiT1_lPT2_llS5_llPT3_lli
		.amdhsa_group_segment_fixed_size 16384
		.amdhsa_private_segment_fixed_size 0
		.amdhsa_kernarg_size 108
		.amdhsa_user_sgpr_count 2
		.amdhsa_user_sgpr_dispatch_ptr 0
		.amdhsa_user_sgpr_queue_ptr 0
		.amdhsa_user_sgpr_kernarg_segment_ptr 1
		.amdhsa_user_sgpr_dispatch_id 0
		.amdhsa_user_sgpr_kernarg_preload_length 0
		.amdhsa_user_sgpr_kernarg_preload_offset 0
		.amdhsa_user_sgpr_private_segment_size 0
		.amdhsa_wavefront_size32 1
		.amdhsa_uses_dynamic_stack 0
		.amdhsa_enable_private_segment 0
		.amdhsa_system_sgpr_workgroup_id_x 1
		.amdhsa_system_sgpr_workgroup_id_y 0
		.amdhsa_system_sgpr_workgroup_id_z 1
		.amdhsa_system_sgpr_workgroup_info 0
		.amdhsa_system_vgpr_workitem_id 1
		.amdhsa_next_free_vgpr 32
		.amdhsa_next_free_sgpr 34
		.amdhsa_named_barrier_count 0
		.amdhsa_reserve_vcc 1
		.amdhsa_float_round_mode_32 0
		.amdhsa_float_round_mode_16_64 0
		.amdhsa_float_denorm_mode_32 3
		.amdhsa_float_denorm_mode_16_64 3
		.amdhsa_fp16_overflow 0
		.amdhsa_memory_ordered 1
		.amdhsa_forward_progress 1
		.amdhsa_inst_pref_size 10
		.amdhsa_round_robin_scheduling 0
		.amdhsa_exception_fp_ieee_invalid_op 0
		.amdhsa_exception_fp_denorm_src 0
		.amdhsa_exception_fp_ieee_div_zero 0
		.amdhsa_exception_fp_ieee_overflow 0
		.amdhsa_exception_fp_ieee_underflow 0
		.amdhsa_exception_fp_ieee_inexact 0
		.amdhsa_exception_int_div_zero 0
	.end_amdhsa_kernel
	.section	.text._ZL23rocblas_trmm_rNx_kernelILi32EddKddEv13rocblas_fill_17rocblas_diagonal_iiT1_lPT2_llS5_llPT3_lli,"axG",@progbits,_ZL23rocblas_trmm_rNx_kernelILi32EddKddEv13rocblas_fill_17rocblas_diagonal_iiT1_lPT2_llS5_llPT3_lli,comdat
.Lfunc_end67:
	.size	_ZL23rocblas_trmm_rNx_kernelILi32EddKddEv13rocblas_fill_17rocblas_diagonal_iiT1_lPT2_llS5_llPT3_lli, .Lfunc_end67-_ZL23rocblas_trmm_rNx_kernelILi32EddKddEv13rocblas_fill_17rocblas_diagonal_iiT1_lPT2_llS5_llPT3_lli
                                        ; -- End function
	.set _ZL23rocblas_trmm_rNx_kernelILi32EddKddEv13rocblas_fill_17rocblas_diagonal_iiT1_lPT2_llS5_llPT3_lli.num_vgpr, 32
	.set _ZL23rocblas_trmm_rNx_kernelILi32EddKddEv13rocblas_fill_17rocblas_diagonal_iiT1_lPT2_llS5_llPT3_lli.num_agpr, 0
	.set _ZL23rocblas_trmm_rNx_kernelILi32EddKddEv13rocblas_fill_17rocblas_diagonal_iiT1_lPT2_llS5_llPT3_lli.numbered_sgpr, 34
	.set _ZL23rocblas_trmm_rNx_kernelILi32EddKddEv13rocblas_fill_17rocblas_diagonal_iiT1_lPT2_llS5_llPT3_lli.num_named_barrier, 0
	.set _ZL23rocblas_trmm_rNx_kernelILi32EddKddEv13rocblas_fill_17rocblas_diagonal_iiT1_lPT2_llS5_llPT3_lli.private_seg_size, 0
	.set _ZL23rocblas_trmm_rNx_kernelILi32EddKddEv13rocblas_fill_17rocblas_diagonal_iiT1_lPT2_llS5_llPT3_lli.uses_vcc, 1
	.set _ZL23rocblas_trmm_rNx_kernelILi32EddKddEv13rocblas_fill_17rocblas_diagonal_iiT1_lPT2_llS5_llPT3_lli.uses_flat_scratch, 0
	.set _ZL23rocblas_trmm_rNx_kernelILi32EddKddEv13rocblas_fill_17rocblas_diagonal_iiT1_lPT2_llS5_llPT3_lli.has_dyn_sized_stack, 0
	.set _ZL23rocblas_trmm_rNx_kernelILi32EddKddEv13rocblas_fill_17rocblas_diagonal_iiT1_lPT2_llS5_llPT3_lli.has_recursion, 0
	.set _ZL23rocblas_trmm_rNx_kernelILi32EddKddEv13rocblas_fill_17rocblas_diagonal_iiT1_lPT2_llS5_llPT3_lli.has_indirect_call, 0
	.section	.AMDGPU.csdata,"",@progbits
; Kernel info:
; codeLenInByte = 1280
; TotalNumSgprs: 36
; NumVgprs: 32
; ScratchSize: 0
; MemoryBound: 0
; FloatMode: 240
; IeeeMode: 1
; LDSByteSize: 16384 bytes/workgroup (compile time only)
; SGPRBlocks: 0
; VGPRBlocks: 1
; NumSGPRsForWavesPerEU: 36
; NumVGPRsForWavesPerEU: 32
; NamedBarCnt: 0
; Occupancy: 16
; WaveLimiterHint : 0
; COMPUTE_PGM_RSRC2:SCRATCH_EN: 0
; COMPUTE_PGM_RSRC2:USER_SGPR: 2
; COMPUTE_PGM_RSRC2:TRAP_HANDLER: 0
; COMPUTE_PGM_RSRC2:TGID_X_EN: 1
; COMPUTE_PGM_RSRC2:TGID_Y_EN: 0
; COMPUTE_PGM_RSRC2:TGID_Z_EN: 1
; COMPUTE_PGM_RSRC2:TIDIG_COMP_CNT: 1
	.section	.text._ZL23rocblas_trmm_rTx_kernelILi32ELb0EdPKdS0_dEv13rocblas_fill_17rocblas_diagonal_iiT2_lPT3_llS6_llPT4_lli,"axG",@progbits,_ZL23rocblas_trmm_rTx_kernelILi32ELb0EdPKdS0_dEv13rocblas_fill_17rocblas_diagonal_iiT2_lPT3_llS6_llPT4_lli,comdat
	.globl	_ZL23rocblas_trmm_rTx_kernelILi32ELb0EdPKdS0_dEv13rocblas_fill_17rocblas_diagonal_iiT2_lPT3_llS6_llPT4_lli ; -- Begin function _ZL23rocblas_trmm_rTx_kernelILi32ELb0EdPKdS0_dEv13rocblas_fill_17rocblas_diagonal_iiT2_lPT3_llS6_llPT4_lli
	.p2align	8
	.type	_ZL23rocblas_trmm_rTx_kernelILi32ELb0EdPKdS0_dEv13rocblas_fill_17rocblas_diagonal_iiT2_lPT3_llS6_llPT4_lli,@function
_ZL23rocblas_trmm_rTx_kernelILi32ELb0EdPKdS0_dEv13rocblas_fill_17rocblas_diagonal_iiT2_lPT3_llS6_llPT4_lli: ; @_ZL23rocblas_trmm_rTx_kernelILi32ELb0EdPKdS0_dEv13rocblas_fill_17rocblas_diagonal_iiT2_lPT3_llS6_llPT4_lli
; %bb.0:
	s_load_b32 s5, s[0:1], 0x68
	s_bfe_u32 s2, ttmp6, 0x40014
	s_lshr_b32 s3, ttmp7, 16
	s_add_co_i32 s2, s2, 1
	s_bfe_u32 s6, ttmp6, 0x40008
	s_mul_i32 s4, s3, s2
	s_getreg_b32 s2, hwreg(HW_REG_IB_STS2, 6, 4)
	s_add_co_i32 s6, s6, s4
	s_cmp_eq_u32 s2, 0
	s_mov_b32 s7, 0
	s_cselect_b32 s6, s3, s6
	s_wait_kmcnt 0x0
	s_cmp_ge_u32 s6, s5
	s_cbranch_scc1 .LBB68_19
; %bb.1:
	s_clause 0x3
	s_load_b128 s[24:27], s[0:1], 0x0
	s_load_b512 s[8:23], s[0:1], 0x10
	s_load_b128 s[28:31], s[0:1], 0x50
	s_load_b64 s[34:35], s[0:1], 0x60
	v_bfe_u32 v2, v0, 10, 10
	v_mov_b32_e32 v3, 0
	s_wait_xcnt 0x0
	s_bfe_u32 s0, ttmp6, 0x4000c
	s_and_b32 s3, ttmp6, 15
	s_add_co_i32 s0, s0, 1
	v_lshlrev_b32_e32 v16, 5, v2
	s_mul_i32 s4, ttmp9, s0
	v_and_b32_e32 v6, 0x3ff, v0
	s_add_co_i32 s3, s3, s4
	v_dual_mov_b32 v7, v3 :: v_dual_lshlrev_b32 v15, 3, v2
	v_mov_b64_e32 v[0:1], 0
	s_delay_alu instid0(VALU_DEP_3) | instskip(SKIP_1) | instid1(VALU_DEP_4)
	v_cmp_eq_u32_e32 vcc_lo, v2, v6
	v_cmp_lt_u32_e64 s0, v6, v2
	v_lshlrev_b64_e32 v[18:19], 3, v[6:7]
	v_cmp_gt_u32_e64 s1, v6, v2
	s_wait_kmcnt 0x0
	s_add_co_i32 s33, s26, -1
	v_mul_u64_e32 v[8:9], s[14:15], v[2:3]
	v_mul_u64_e32 v[10:11], s[20:21], v[2:3]
	;; [unrolled: 1-line block ×3, first 2 shown]
	s_ashr_i32 s14, s33, 31
	v_lshl_add_u32 v14, v6, 3, 0x2000
	s_lshr_b32 s14, s14, 27
	v_add_lshl_u32 v16, v16, v6, 3
	s_add_co_i32 s14, s33, s14
	v_mov_b64_e32 v[4:5], 1.0
	s_and_b32 s4, s14, 0xffffffe0
	s_ashr_i32 s14, s14, 5
	s_sub_co_i32 s4, s26, s4
	s_cmp_eq_u32 s2, 0
	v_cmp_gt_i32_e64 s2, s27, v2
	s_cselect_b32 s3, ttmp9, s3
	v_add_nc_u32_e32 v2, 0x800, v14
	s_cmp_ge_i32 s3, s14
	v_add_nc_u32_e32 v17, 0x2000, v16
	s_cselect_b32 s4, s4, 32
	s_lshl_b32 s14, s3, 5
	v_cmp_gt_i32_e64 s3, s27, v6
	s_ashr_i32 s15, s14, 31
	v_cmp_gt_i32_e64 s4, s4, v6
	s_lshl_b64 s[14:15], s[14:15], 3
	v_add_nc_u32_e32 v20, 0x1000, v15
	s_add_nc_u64 s[18:19], s[18:19], s[14:15]
	s_add_nc_u64 s[14:15], s[28:29], s[14:15]
	s_and_b32 s3, s2, s3
	s_and_b32 s2, s2, s4
	s_cmp_eq_u32 s25, 0x84
	v_add_nc_u32_e32 v21, 0x1800, v14
	s_cselect_b32 s4, -1, 0
	v_lshl_add_u64 v[6:7], v[8:9], 3, s[12:13]
	v_lshl_add_u64 v[8:9], v[10:11], 3, s[18:19]
	;; [unrolled: 1-line block ×3, first 2 shown]
	s_and_b32 s4, vcc_lo, s4
	v_add_nc_u32_e32 v22, 0x1800, v15
	v_add_nc_u64_e32 v[6:7], v[6:7], v[18:19]
	v_add_nc_u64_e32 v[8:9], v[8:9], v[18:19]
	;; [unrolled: 1-line block ×3, first 2 shown]
	v_add_nc_u32_e32 v18, 0x800, v15
	v_add_nc_u32_e32 v19, 0x1000, v14
	s_cmp_lg_u32 s24, 0x79
	s_cselect_b32 s12, -1, 0
	s_branch .LBB68_4
.LBB68_2:                               ;   in Loop: Header=BB68_4 Depth=1
	s_wait_xcnt 0x0
	s_or_b32 exec_lo, exec_lo, s13
.LBB68_3:                               ;   in Loop: Header=BB68_4 Depth=1
	s_add_co_i32 s6, s6, 0x10000
	s_delay_alu instid0(SALU_CYCLE_1)
	s_cmp_lt_u32 s6, s5
	s_cbranch_scc0 .LBB68_19
.LBB68_4:                               ; =>This Inner Loop Header: Depth=1
	s_wait_xcnt 0x0
	s_mul_u64 s[14:15], s[10:11], s[6:7]
	s_delay_alu instid0(SALU_CYCLE_1) | instskip(NEXT) | instid1(SALU_CYCLE_1)
	s_lshl_b64 s[14:15], s[14:15], 3
	s_add_nc_u64 s[14:15], s[8:9], s[14:15]
	global_load_b64 v[12:13], v3, s[14:15]
	s_wait_loadcnt 0x0
	v_cmp_eq_f64_e32 vcc_lo, 0, v[12:13]
	s_cbranch_vccnz .LBB68_3
; %bb.5:                                ;   in Loop: Header=BB68_4 Depth=1
	ds_store_b64 v16, v[0:1]
	ds_store_b64 v17, v[0:1]
	s_wait_xcnt 0x0
	s_and_saveexec_b32 s13, s3
	s_cbranch_execnz .LBB68_10
; %bb.6:                                ;   in Loop: Header=BB68_4 Depth=1
	s_or_b32 exec_lo, exec_lo, s13
	s_and_saveexec_b32 s13, s2
	s_cbranch_execnz .LBB68_11
.LBB68_7:                               ;   in Loop: Header=BB68_4 Depth=1
	s_or_b32 exec_lo, exec_lo, s13
	s_and_saveexec_b32 s13, s4
	s_cbranch_execnz .LBB68_12
.LBB68_8:                               ;   in Loop: Header=BB68_4 Depth=1
	s_or_b32 exec_lo, exec_lo, s13
	s_delay_alu instid0(SALU_CYCLE_1)
	s_and_b32 vcc_lo, exec_lo, s12
	s_cbranch_vccz .LBB68_13
.LBB68_9:                               ;   in Loop: Header=BB68_4 Depth=1
	s_and_b32 s13, s0, exec_lo
	s_cbranch_execz .LBB68_14
	s_branch .LBB68_15
.LBB68_10:                              ;   in Loop: Header=BB68_4 Depth=1
	s_mul_u64 s[14:15], s[16:17], s[6:7]
	s_delay_alu instid0(SALU_CYCLE_1)
	v_lshl_add_u64 v[24:25], s[14:15], 3, v[6:7]
	global_load_b64 v[24:25], v[24:25], off
	s_wait_loadcnt 0x0
	ds_store_b64 v16, v[24:25]
	s_wait_xcnt 0x0
	s_or_b32 exec_lo, exec_lo, s13
	s_and_saveexec_b32 s13, s2
	s_cbranch_execz .LBB68_7
.LBB68_11:                              ;   in Loop: Header=BB68_4 Depth=1
	s_mul_u64 s[14:15], s[22:23], s[6:7]
	s_delay_alu instid0(SALU_CYCLE_1)
	v_lshl_add_u64 v[24:25], s[14:15], 3, v[8:9]
	global_load_b64 v[24:25], v[24:25], off
	s_wait_loadcnt 0x0
	ds_store_b64 v17, v[24:25]
	s_wait_xcnt 0x0
	s_or_b32 exec_lo, exec_lo, s13
	s_and_saveexec_b32 s13, s4
	s_cbranch_execz .LBB68_8
.LBB68_12:                              ;   in Loop: Header=BB68_4 Depth=1
	ds_store_b64 v16, v[4:5]
	s_or_b32 exec_lo, exec_lo, s13
	s_delay_alu instid0(SALU_CYCLE_1)
	s_and_b32 vcc_lo, exec_lo, s12
	s_cbranch_vccnz .LBB68_9
.LBB68_13:                              ;   in Loop: Header=BB68_4 Depth=1
	s_mov_b32 s13, 0
.LBB68_14:                              ;   in Loop: Header=BB68_4 Depth=1
	s_delay_alu instid0(SALU_CYCLE_1) | instskip(SKIP_1) | instid1(SALU_CYCLE_1)
	s_and_not1_b32 s13, s13, exec_lo
	s_and_b32 s14, s1, exec_lo
	s_or_b32 s13, s13, s14
.LBB68_15:                              ;   in Loop: Header=BB68_4 Depth=1
	s_delay_alu instid0(SALU_CYCLE_1)
	s_and_saveexec_b32 s14, s13
; %bb.16:                               ;   in Loop: Header=BB68_4 Depth=1
	ds_store_b64 v16, v[0:1]
; %bb.17:                               ;   in Loop: Header=BB68_4 Depth=1
	s_or_b32 exec_lo, exec_lo, s14
	s_wait_dscnt 0x0
	s_barrier_signal -1
	s_barrier_wait -1
	s_and_saveexec_b32 s13, s2
	s_cbranch_execz .LBB68_2
; %bb.18:                               ;   in Loop: Header=BB68_4 Depth=1
	ds_load_2addr_b64 v[24:27], v14 offset1:32
	ds_load_2addr_b64 v[28:31], v15 offset1:32
	s_mul_u64 s[14:15], s[34:35], s[6:7]
	s_wait_dscnt 0x0
	v_fma_f64 v[32:33], v[24:25], v[28:29], 0
	s_delay_alu instid0(VALU_DEP_1) | instskip(SKIP_4) | instid1(VALU_DEP_1)
	v_fmac_f64_e32 v[32:33], v[26:27], v[30:31]
	ds_load_2addr_b64 v[24:27], v14 offset0:64 offset1:96
	ds_load_2addr_b64 v[28:31], v15 offset0:64 offset1:96
	s_wait_dscnt 0x0
	v_fmac_f64_e32 v[32:33], v[24:25], v[28:29]
	v_fmac_f64_e32 v[32:33], v[26:27], v[30:31]
	ds_load_2addr_b64 v[24:27], v14 offset0:128 offset1:160
	ds_load_2addr_b64 v[28:31], v15 offset0:128 offset1:160
	s_wait_dscnt 0x0
	v_fmac_f64_e32 v[32:33], v[24:25], v[28:29]
	s_delay_alu instid0(VALU_DEP_1) | instskip(SKIP_4) | instid1(VALU_DEP_1)
	v_fmac_f64_e32 v[32:33], v[26:27], v[30:31]
	ds_load_2addr_b64 v[24:27], v14 offset0:192 offset1:224
	ds_load_2addr_b64 v[28:31], v15 offset0:192 offset1:224
	s_wait_dscnt 0x0
	v_fmac_f64_e32 v[32:33], v[24:25], v[28:29]
	v_fmac_f64_e32 v[32:33], v[26:27], v[30:31]
	ds_load_2addr_b64 v[24:27], v2 offset1:32
	ds_load_2addr_b64 v[28:31], v18 offset1:32
	s_wait_dscnt 0x0
	v_fmac_f64_e32 v[32:33], v[24:25], v[28:29]
	s_delay_alu instid0(VALU_DEP_1) | instskip(SKIP_4) | instid1(VALU_DEP_1)
	v_fmac_f64_e32 v[32:33], v[26:27], v[30:31]
	ds_load_2addr_b64 v[24:27], v2 offset0:64 offset1:96
	ds_load_2addr_b64 v[28:31], v18 offset0:64 offset1:96
	s_wait_dscnt 0x0
	v_fmac_f64_e32 v[32:33], v[24:25], v[28:29]
	v_fmac_f64_e32 v[32:33], v[26:27], v[30:31]
	ds_load_2addr_b64 v[24:27], v2 offset0:128 offset1:160
	ds_load_2addr_b64 v[28:31], v18 offset0:128 offset1:160
	s_wait_dscnt 0x0
	v_fmac_f64_e32 v[32:33], v[24:25], v[28:29]
	s_delay_alu instid0(VALU_DEP_1) | instskip(SKIP_4) | instid1(VALU_DEP_1)
	v_fmac_f64_e32 v[32:33], v[26:27], v[30:31]
	ds_load_2addr_b64 v[24:27], v2 offset0:192 offset1:224
	ds_load_2addr_b64 v[28:31], v18 offset0:192 offset1:224
	s_wait_dscnt 0x0
	v_fmac_f64_e32 v[32:33], v[24:25], v[28:29]
	v_fmac_f64_e32 v[32:33], v[26:27], v[30:31]
	ds_load_2addr_b64 v[24:27], v19 offset1:32
	ds_load_2addr_b64 v[28:31], v20 offset1:32
	s_wait_dscnt 0x0
	v_fmac_f64_e32 v[32:33], v[24:25], v[28:29]
	;; [unrolled: 22-line block ×3, first 2 shown]
	s_delay_alu instid0(VALU_DEP_1) | instskip(SKIP_4) | instid1(VALU_DEP_1)
	v_fmac_f64_e32 v[32:33], v[26:27], v[30:31]
	ds_load_2addr_b64 v[24:27], v21 offset0:64 offset1:96
	ds_load_2addr_b64 v[28:31], v22 offset0:64 offset1:96
	s_wait_dscnt 0x0
	v_fmac_f64_e32 v[32:33], v[24:25], v[28:29]
	v_fmac_f64_e32 v[32:33], v[26:27], v[30:31]
	ds_load_2addr_b64 v[24:27], v21 offset0:128 offset1:160
	ds_load_2addr_b64 v[28:31], v22 offset0:128 offset1:160
	s_wait_dscnt 0x0
	v_fmac_f64_e32 v[32:33], v[24:25], v[28:29]
	s_delay_alu instid0(VALU_DEP_1)
	v_fmac_f64_e32 v[32:33], v[26:27], v[30:31]
	ds_load_2addr_b64 v[24:27], v21 offset0:192 offset1:224
	ds_load_2addr_b64 v[28:31], v22 offset0:192 offset1:224
	s_wait_dscnt 0x0
	v_fmac_f64_e32 v[32:33], v[24:25], v[28:29]
	v_lshl_add_u64 v[24:25], s[14:15], 3, v[10:11]
	s_delay_alu instid0(VALU_DEP_2) | instskip(NEXT) | instid1(VALU_DEP_1)
	v_fmac_f64_e32 v[32:33], v[26:27], v[30:31]
	v_mul_f64_e32 v[12:13], v[12:13], v[32:33]
	global_store_b64 v[24:25], v[12:13], off
	s_branch .LBB68_2
.LBB68_19:
	s_endpgm
	.section	.rodata,"a",@progbits
	.p2align	6, 0x0
	.amdhsa_kernel _ZL23rocblas_trmm_rTx_kernelILi32ELb0EdPKdS0_dEv13rocblas_fill_17rocblas_diagonal_iiT2_lPT3_llS6_llPT4_lli
		.amdhsa_group_segment_fixed_size 16384
		.amdhsa_private_segment_fixed_size 0
		.amdhsa_kernarg_size 108
		.amdhsa_user_sgpr_count 2
		.amdhsa_user_sgpr_dispatch_ptr 0
		.amdhsa_user_sgpr_queue_ptr 0
		.amdhsa_user_sgpr_kernarg_segment_ptr 1
		.amdhsa_user_sgpr_dispatch_id 0
		.amdhsa_user_sgpr_kernarg_preload_length 0
		.amdhsa_user_sgpr_kernarg_preload_offset 0
		.amdhsa_user_sgpr_private_segment_size 0
		.amdhsa_wavefront_size32 1
		.amdhsa_uses_dynamic_stack 0
		.amdhsa_enable_private_segment 0
		.amdhsa_system_sgpr_workgroup_id_x 1
		.amdhsa_system_sgpr_workgroup_id_y 0
		.amdhsa_system_sgpr_workgroup_id_z 1
		.amdhsa_system_sgpr_workgroup_info 0
		.amdhsa_system_vgpr_workitem_id 1
		.amdhsa_next_free_vgpr 34
		.amdhsa_next_free_sgpr 36
		.amdhsa_named_barrier_count 0
		.amdhsa_reserve_vcc 1
		.amdhsa_float_round_mode_32 0
		.amdhsa_float_round_mode_16_64 0
		.amdhsa_float_denorm_mode_32 3
		.amdhsa_float_denorm_mode_16_64 3
		.amdhsa_fp16_overflow 0
		.amdhsa_memory_ordered 1
		.amdhsa_forward_progress 1
		.amdhsa_inst_pref_size 11
		.amdhsa_round_robin_scheduling 0
		.amdhsa_exception_fp_ieee_invalid_op 0
		.amdhsa_exception_fp_denorm_src 0
		.amdhsa_exception_fp_ieee_div_zero 0
		.amdhsa_exception_fp_ieee_overflow 0
		.amdhsa_exception_fp_ieee_underflow 0
		.amdhsa_exception_fp_ieee_inexact 0
		.amdhsa_exception_int_div_zero 0
	.end_amdhsa_kernel
	.section	.text._ZL23rocblas_trmm_rTx_kernelILi32ELb0EdPKdS0_dEv13rocblas_fill_17rocblas_diagonal_iiT2_lPT3_llS6_llPT4_lli,"axG",@progbits,_ZL23rocblas_trmm_rTx_kernelILi32ELb0EdPKdS0_dEv13rocblas_fill_17rocblas_diagonal_iiT2_lPT3_llS6_llPT4_lli,comdat
.Lfunc_end68:
	.size	_ZL23rocblas_trmm_rTx_kernelILi32ELb0EdPKdS0_dEv13rocblas_fill_17rocblas_diagonal_iiT2_lPT3_llS6_llPT4_lli, .Lfunc_end68-_ZL23rocblas_trmm_rTx_kernelILi32ELb0EdPKdS0_dEv13rocblas_fill_17rocblas_diagonal_iiT2_lPT3_llS6_llPT4_lli
                                        ; -- End function
	.set _ZL23rocblas_trmm_rTx_kernelILi32ELb0EdPKdS0_dEv13rocblas_fill_17rocblas_diagonal_iiT2_lPT3_llS6_llPT4_lli.num_vgpr, 34
	.set _ZL23rocblas_trmm_rTx_kernelILi32ELb0EdPKdS0_dEv13rocblas_fill_17rocblas_diagonal_iiT2_lPT3_llS6_llPT4_lli.num_agpr, 0
	.set _ZL23rocblas_trmm_rTx_kernelILi32ELb0EdPKdS0_dEv13rocblas_fill_17rocblas_diagonal_iiT2_lPT3_llS6_llPT4_lli.numbered_sgpr, 36
	.set _ZL23rocblas_trmm_rTx_kernelILi32ELb0EdPKdS0_dEv13rocblas_fill_17rocblas_diagonal_iiT2_lPT3_llS6_llPT4_lli.num_named_barrier, 0
	.set _ZL23rocblas_trmm_rTx_kernelILi32ELb0EdPKdS0_dEv13rocblas_fill_17rocblas_diagonal_iiT2_lPT3_llS6_llPT4_lli.private_seg_size, 0
	.set _ZL23rocblas_trmm_rTx_kernelILi32ELb0EdPKdS0_dEv13rocblas_fill_17rocblas_diagonal_iiT2_lPT3_llS6_llPT4_lli.uses_vcc, 1
	.set _ZL23rocblas_trmm_rTx_kernelILi32ELb0EdPKdS0_dEv13rocblas_fill_17rocblas_diagonal_iiT2_lPT3_llS6_llPT4_lli.uses_flat_scratch, 0
	.set _ZL23rocblas_trmm_rTx_kernelILi32ELb0EdPKdS0_dEv13rocblas_fill_17rocblas_diagonal_iiT2_lPT3_llS6_llPT4_lli.has_dyn_sized_stack, 0
	.set _ZL23rocblas_trmm_rTx_kernelILi32ELb0EdPKdS0_dEv13rocblas_fill_17rocblas_diagonal_iiT2_lPT3_llS6_llPT4_lli.has_recursion, 0
	.set _ZL23rocblas_trmm_rTx_kernelILi32ELb0EdPKdS0_dEv13rocblas_fill_17rocblas_diagonal_iiT2_lPT3_llS6_llPT4_lli.has_indirect_call, 0
	.section	.AMDGPU.csdata,"",@progbits
; Kernel info:
; codeLenInByte = 1336
; TotalNumSgprs: 38
; NumVgprs: 34
; ScratchSize: 0
; MemoryBound: 0
; FloatMode: 240
; IeeeMode: 1
; LDSByteSize: 16384 bytes/workgroup (compile time only)
; SGPRBlocks: 0
; VGPRBlocks: 2
; NumSGPRsForWavesPerEU: 38
; NumVGPRsForWavesPerEU: 34
; NamedBarCnt: 0
; Occupancy: 16
; WaveLimiterHint : 0
; COMPUTE_PGM_RSRC2:SCRATCH_EN: 0
; COMPUTE_PGM_RSRC2:USER_SGPR: 2
; COMPUTE_PGM_RSRC2:TRAP_HANDLER: 0
; COMPUTE_PGM_RSRC2:TGID_X_EN: 1
; COMPUTE_PGM_RSRC2:TGID_Y_EN: 0
; COMPUTE_PGM_RSRC2:TGID_Z_EN: 1
; COMPUTE_PGM_RSRC2:TIDIG_COMP_CNT: 1
	.section	.text._ZL23rocblas_trmm_rTx_kernelILi32ELb0EddKddEv13rocblas_fill_17rocblas_diagonal_iiT2_lPT3_llS5_llPT4_lli,"axG",@progbits,_ZL23rocblas_trmm_rTx_kernelILi32ELb0EddKddEv13rocblas_fill_17rocblas_diagonal_iiT2_lPT3_llS5_llPT4_lli,comdat
	.globl	_ZL23rocblas_trmm_rTx_kernelILi32ELb0EddKddEv13rocblas_fill_17rocblas_diagonal_iiT2_lPT3_llS5_llPT4_lli ; -- Begin function _ZL23rocblas_trmm_rTx_kernelILi32ELb0EddKddEv13rocblas_fill_17rocblas_diagonal_iiT2_lPT3_llS5_llPT4_lli
	.p2align	8
	.type	_ZL23rocblas_trmm_rTx_kernelILi32ELb0EddKddEv13rocblas_fill_17rocblas_diagonal_iiT2_lPT3_llS5_llPT4_lli,@function
_ZL23rocblas_trmm_rTx_kernelILi32ELb0EddKddEv13rocblas_fill_17rocblas_diagonal_iiT2_lPT3_llS5_llPT4_lli: ; @_ZL23rocblas_trmm_rTx_kernelILi32ELb0EddKddEv13rocblas_fill_17rocblas_diagonal_iiT2_lPT3_llS5_llPT4_lli
; %bb.0:
	s_load_b32 s5, s[0:1], 0x68
	s_bfe_u32 s2, ttmp6, 0x40014
	s_lshr_b32 s3, ttmp7, 16
	s_add_co_i32 s2, s2, 1
	s_bfe_u32 s6, ttmp6, 0x40008
	s_mul_i32 s4, s3, s2
	s_getreg_b32 s2, hwreg(HW_REG_IB_STS2, 6, 4)
	s_add_co_i32 s6, s6, s4
	s_cmp_eq_u32 s2, 0
	s_mov_b32 s7, 0
	s_cselect_b32 s6, s3, s6
	s_wait_kmcnt 0x0
	s_cmp_ge_u32 s6, s5
	s_cbranch_scc1 .LBB69_19
; %bb.1:
	s_clause 0x3
	s_load_b128 s[24:27], s[0:1], 0x0
	s_load_b512 s[8:23], s[0:1], 0x20
	s_load_b64 s[28:29], s[0:1], 0x10
	s_load_b64 s[30:31], s[0:1], 0x60
	v_bfe_u32 v2, v0, 10, 10
	v_mov_b32_e32 v3, 0
	s_wait_xcnt 0x0
	s_bfe_u32 s0, ttmp6, 0x4000c
	s_and_b32 s3, ttmp6, 15
	s_add_co_i32 s0, s0, 1
	v_lshlrev_b32_e32 v12, 5, v2
	s_mul_i32 s4, ttmp9, s0
	v_and_b32_e32 v4, 0x3ff, v0
	s_add_co_i32 s3, s3, s4
	v_dual_mov_b32 v5, v3 :: v_dual_lshlrev_b32 v11, 3, v2
	v_mov_b64_e32 v[0:1], 0
	s_delay_alu instid0(VALU_DEP_3) | instskip(SKIP_1) | instid1(VALU_DEP_4)
	v_cmp_eq_u32_e32 vcc_lo, v2, v4
	v_cmp_lt_u32_e64 s0, v4, v2
	v_lshlrev_b64_e32 v[16:17], 3, v[4:5]
	v_cmp_gt_u32_e64 s1, v4, v2
	s_wait_kmcnt 0x0
	s_add_co_i32 s33, s26, -1
	v_mul_u64_e32 v[6:7], s[10:11], v[2:3]
	s_ashr_i32 s10, s33, 31
	v_mul_u64_e32 v[8:9], s[16:17], v[2:3]
	s_lshr_b32 s10, s10, 27
	v_mul_u64_e32 v[14:15], s[22:23], v[2:3]
	s_add_co_i32 s10, s33, s10
	v_lshl_add_u32 v10, v4, 3, 0x2000
	s_and_b32 s4, s10, 0xffffffe0
	s_ashr_i32 s10, s10, 5
	s_sub_co_i32 s4, s26, s4
	s_cmp_eq_u32 s2, 0
	v_cmp_gt_i32_e64 s2, s27, v2
	s_cselect_b32 s3, ttmp9, s3
	v_add_lshl_u32 v12, v12, v4, 3
	s_cmp_ge_i32 s3, s10
	v_add_nc_u32_e32 v18, 0x1800, v10
	s_cselect_b32 s4, s4, 32
	s_lshl_b32 s10, s3, 5
	v_cmp_gt_i32_e64 s3, s27, v4
	v_cmp_gt_i32_e64 s4, s4, v4
	s_ashr_i32 s11, s10, 31
	v_add_nc_u32_e32 v13, 0x2000, v12
	s_lshl_b64 s[10:11], s[10:11], 3
	s_and_b32 s3, s2, s3
	s_and_b32 s2, s2, s4
	v_cmp_neq_f64_e64 s4, s[28:29], 0
	s_add_nc_u64 s[14:15], s[14:15], s[10:11]
	s_add_nc_u64 s[10:11], s[20:21], s[10:11]
	s_cmp_eq_u32 s25, 0x84
	v_add_nc_u32_e32 v19, 0x1800, v11
	s_cselect_b32 s16, -1, 0
	v_lshl_add_u64 v[2:3], v[6:7], 3, s[8:9]
	s_and_b32 s8, vcc_lo, s16
	v_lshl_add_u64 v[4:5], v[8:9], 3, s[14:15]
	v_mov_b64_e32 v[8:9], 1.0
	v_lshl_add_u64 v[6:7], v[14:15], 3, s[10:11]
	v_add_nc_u64_e32 v[2:3], v[2:3], v[16:17]
	v_add_nc_u32_e32 v14, 0x800, v10
	v_add_nc_u64_e32 v[4:5], v[4:5], v[16:17]
	v_add_nc_u32_e32 v15, 0x800, v11
	;; [unrolled: 2-line block ×3, first 2 shown]
	v_add_nc_u32_e32 v17, 0x1000, v11
	s_cmp_lg_u32 s24, 0x79
	s_cselect_b32 s9, -1, 0
	s_branch .LBB69_4
.LBB69_2:                               ;   in Loop: Header=BB69_4 Depth=1
	s_wait_xcnt 0x0
	s_or_b32 exec_lo, exec_lo, s10
.LBB69_3:                               ;   in Loop: Header=BB69_4 Depth=1
	s_add_co_i32 s6, s6, 0x10000
	s_delay_alu instid0(SALU_CYCLE_1)
	s_cmp_lt_u32 s6, s5
	s_cbranch_scc0 .LBB69_19
.LBB69_4:                               ; =>This Inner Loop Header: Depth=1
	s_and_not1_b32 vcc_lo, exec_lo, s4
	s_cbranch_vccnz .LBB69_3
; %bb.5:                                ;   in Loop: Header=BB69_4 Depth=1
	ds_store_b64 v12, v[0:1]
	ds_store_b64 v13, v[0:1]
	s_and_saveexec_b32 s10, s3
	s_cbranch_execnz .LBB69_10
; %bb.6:                                ;   in Loop: Header=BB69_4 Depth=1
	s_or_b32 exec_lo, exec_lo, s10
	s_and_saveexec_b32 s10, s2
	s_cbranch_execnz .LBB69_11
.LBB69_7:                               ;   in Loop: Header=BB69_4 Depth=1
	s_or_b32 exec_lo, exec_lo, s10
	s_and_saveexec_b32 s10, s8
	s_cbranch_execnz .LBB69_12
.LBB69_8:                               ;   in Loop: Header=BB69_4 Depth=1
	s_or_b32 exec_lo, exec_lo, s10
	s_delay_alu instid0(SALU_CYCLE_1)
	s_and_b32 vcc_lo, exec_lo, s9
	s_cbranch_vccz .LBB69_13
.LBB69_9:                               ;   in Loop: Header=BB69_4 Depth=1
	s_and_b32 s10, s0, exec_lo
	s_cbranch_execz .LBB69_14
	s_branch .LBB69_15
.LBB69_10:                              ;   in Loop: Header=BB69_4 Depth=1
	s_mul_u64 s[14:15], s[12:13], s[6:7]
	s_delay_alu instid0(SALU_CYCLE_1)
	v_lshl_add_u64 v[20:21], s[14:15], 3, v[2:3]
	global_load_b64 v[20:21], v[20:21], off
	s_wait_loadcnt 0x0
	ds_store_b64 v12, v[20:21]
	s_wait_xcnt 0x0
	s_or_b32 exec_lo, exec_lo, s10
	s_and_saveexec_b32 s10, s2
	s_cbranch_execz .LBB69_7
.LBB69_11:                              ;   in Loop: Header=BB69_4 Depth=1
	s_mul_u64 s[14:15], s[18:19], s[6:7]
	s_delay_alu instid0(SALU_CYCLE_1)
	v_lshl_add_u64 v[20:21], s[14:15], 3, v[4:5]
	global_load_b64 v[20:21], v[20:21], off
	s_wait_loadcnt 0x0
	ds_store_b64 v13, v[20:21]
	s_wait_xcnt 0x0
	s_or_b32 exec_lo, exec_lo, s10
	s_and_saveexec_b32 s10, s8
	s_cbranch_execz .LBB69_8
.LBB69_12:                              ;   in Loop: Header=BB69_4 Depth=1
	ds_store_b64 v12, v[8:9]
	s_or_b32 exec_lo, exec_lo, s10
	s_delay_alu instid0(SALU_CYCLE_1)
	s_and_b32 vcc_lo, exec_lo, s9
	s_cbranch_vccnz .LBB69_9
.LBB69_13:                              ;   in Loop: Header=BB69_4 Depth=1
	s_mov_b32 s10, 0
.LBB69_14:                              ;   in Loop: Header=BB69_4 Depth=1
	s_delay_alu instid0(SALU_CYCLE_1) | instskip(SKIP_1) | instid1(SALU_CYCLE_1)
	s_and_not1_b32 s10, s10, exec_lo
	s_and_b32 s11, s1, exec_lo
	s_or_b32 s10, s10, s11
.LBB69_15:                              ;   in Loop: Header=BB69_4 Depth=1
	s_delay_alu instid0(SALU_CYCLE_1)
	s_and_saveexec_b32 s11, s10
; %bb.16:                               ;   in Loop: Header=BB69_4 Depth=1
	ds_store_b64 v12, v[0:1]
; %bb.17:                               ;   in Loop: Header=BB69_4 Depth=1
	s_or_b32 exec_lo, exec_lo, s11
	s_wait_dscnt 0x0
	s_barrier_signal -1
	s_barrier_wait -1
	s_and_saveexec_b32 s10, s2
	s_cbranch_execz .LBB69_2
; %bb.18:                               ;   in Loop: Header=BB69_4 Depth=1
	ds_load_2addr_b64 v[20:23], v10 offset1:32
	ds_load_2addr_b64 v[24:27], v11 offset1:32
	s_mul_u64 s[14:15], s[30:31], s[6:7]
	s_wait_dscnt 0x0
	v_fma_f64 v[28:29], v[20:21], v[24:25], 0
	s_delay_alu instid0(VALU_DEP_1) | instskip(SKIP_4) | instid1(VALU_DEP_1)
	v_fmac_f64_e32 v[28:29], v[22:23], v[26:27]
	ds_load_2addr_b64 v[20:23], v10 offset0:64 offset1:96
	ds_load_2addr_b64 v[24:27], v11 offset0:64 offset1:96
	s_wait_dscnt 0x0
	v_fmac_f64_e32 v[28:29], v[20:21], v[24:25]
	v_fmac_f64_e32 v[28:29], v[22:23], v[26:27]
	ds_load_2addr_b64 v[20:23], v10 offset0:128 offset1:160
	ds_load_2addr_b64 v[24:27], v11 offset0:128 offset1:160
	s_wait_dscnt 0x0
	v_fmac_f64_e32 v[28:29], v[20:21], v[24:25]
	s_delay_alu instid0(VALU_DEP_1) | instskip(SKIP_4) | instid1(VALU_DEP_1)
	v_fmac_f64_e32 v[28:29], v[22:23], v[26:27]
	ds_load_2addr_b64 v[20:23], v10 offset0:192 offset1:224
	ds_load_2addr_b64 v[24:27], v11 offset0:192 offset1:224
	s_wait_dscnt 0x0
	v_fmac_f64_e32 v[28:29], v[20:21], v[24:25]
	v_fmac_f64_e32 v[28:29], v[22:23], v[26:27]
	ds_load_2addr_b64 v[20:23], v14 offset1:32
	ds_load_2addr_b64 v[24:27], v15 offset1:32
	s_wait_dscnt 0x0
	v_fmac_f64_e32 v[28:29], v[20:21], v[24:25]
	s_delay_alu instid0(VALU_DEP_1) | instskip(SKIP_4) | instid1(VALU_DEP_1)
	v_fmac_f64_e32 v[28:29], v[22:23], v[26:27]
	ds_load_2addr_b64 v[20:23], v14 offset0:64 offset1:96
	ds_load_2addr_b64 v[24:27], v15 offset0:64 offset1:96
	s_wait_dscnt 0x0
	v_fmac_f64_e32 v[28:29], v[20:21], v[24:25]
	v_fmac_f64_e32 v[28:29], v[22:23], v[26:27]
	ds_load_2addr_b64 v[20:23], v14 offset0:128 offset1:160
	ds_load_2addr_b64 v[24:27], v15 offset0:128 offset1:160
	s_wait_dscnt 0x0
	v_fmac_f64_e32 v[28:29], v[20:21], v[24:25]
	s_delay_alu instid0(VALU_DEP_1) | instskip(SKIP_4) | instid1(VALU_DEP_1)
	v_fmac_f64_e32 v[28:29], v[22:23], v[26:27]
	ds_load_2addr_b64 v[20:23], v14 offset0:192 offset1:224
	ds_load_2addr_b64 v[24:27], v15 offset0:192 offset1:224
	s_wait_dscnt 0x0
	v_fmac_f64_e32 v[28:29], v[20:21], v[24:25]
	v_fmac_f64_e32 v[28:29], v[22:23], v[26:27]
	ds_load_2addr_b64 v[20:23], v16 offset1:32
	ds_load_2addr_b64 v[24:27], v17 offset1:32
	s_wait_dscnt 0x0
	v_fmac_f64_e32 v[28:29], v[20:21], v[24:25]
	;; [unrolled: 22-line block ×3, first 2 shown]
	s_delay_alu instid0(VALU_DEP_1) | instskip(SKIP_4) | instid1(VALU_DEP_1)
	v_fmac_f64_e32 v[28:29], v[22:23], v[26:27]
	ds_load_2addr_b64 v[20:23], v18 offset0:64 offset1:96
	ds_load_2addr_b64 v[24:27], v19 offset0:64 offset1:96
	s_wait_dscnt 0x0
	v_fmac_f64_e32 v[28:29], v[20:21], v[24:25]
	v_fmac_f64_e32 v[28:29], v[22:23], v[26:27]
	ds_load_2addr_b64 v[20:23], v18 offset0:128 offset1:160
	ds_load_2addr_b64 v[24:27], v19 offset0:128 offset1:160
	s_wait_dscnt 0x0
	v_fmac_f64_e32 v[28:29], v[20:21], v[24:25]
	s_delay_alu instid0(VALU_DEP_1) | instskip(SKIP_4) | instid1(VALU_DEP_1)
	v_fmac_f64_e32 v[28:29], v[22:23], v[26:27]
	ds_load_2addr_b64 v[20:23], v18 offset0:192 offset1:224
	ds_load_2addr_b64 v[24:27], v19 offset0:192 offset1:224
	s_wait_dscnt 0x0
	v_fmac_f64_e32 v[28:29], v[20:21], v[24:25]
	v_fmac_f64_e32 v[28:29], v[22:23], v[26:27]
	v_lshl_add_u64 v[22:23], s[14:15], 3, v[6:7]
	s_delay_alu instid0(VALU_DEP_2)
	v_mul_f64_e32 v[20:21], s[28:29], v[28:29]
	global_store_b64 v[22:23], v[20:21], off
	s_branch .LBB69_2
.LBB69_19:
	s_endpgm
	.section	.rodata,"a",@progbits
	.p2align	6, 0x0
	.amdhsa_kernel _ZL23rocblas_trmm_rTx_kernelILi32ELb0EddKddEv13rocblas_fill_17rocblas_diagonal_iiT2_lPT3_llS5_llPT4_lli
		.amdhsa_group_segment_fixed_size 16384
		.amdhsa_private_segment_fixed_size 0
		.amdhsa_kernarg_size 108
		.amdhsa_user_sgpr_count 2
		.amdhsa_user_sgpr_dispatch_ptr 0
		.amdhsa_user_sgpr_queue_ptr 0
		.amdhsa_user_sgpr_kernarg_segment_ptr 1
		.amdhsa_user_sgpr_dispatch_id 0
		.amdhsa_user_sgpr_kernarg_preload_length 0
		.amdhsa_user_sgpr_kernarg_preload_offset 0
		.amdhsa_user_sgpr_private_segment_size 0
		.amdhsa_wavefront_size32 1
		.amdhsa_uses_dynamic_stack 0
		.amdhsa_enable_private_segment 0
		.amdhsa_system_sgpr_workgroup_id_x 1
		.amdhsa_system_sgpr_workgroup_id_y 0
		.amdhsa_system_sgpr_workgroup_id_z 1
		.amdhsa_system_sgpr_workgroup_info 0
		.amdhsa_system_vgpr_workitem_id 1
		.amdhsa_next_free_vgpr 30
		.amdhsa_next_free_sgpr 34
		.amdhsa_named_barrier_count 0
		.amdhsa_reserve_vcc 1
		.amdhsa_float_round_mode_32 0
		.amdhsa_float_round_mode_16_64 0
		.amdhsa_float_denorm_mode_32 3
		.amdhsa_float_denorm_mode_16_64 3
		.amdhsa_fp16_overflow 0
		.amdhsa_memory_ordered 1
		.amdhsa_forward_progress 1
		.amdhsa_inst_pref_size 11
		.amdhsa_round_robin_scheduling 0
		.amdhsa_exception_fp_ieee_invalid_op 0
		.amdhsa_exception_fp_denorm_src 0
		.amdhsa_exception_fp_ieee_div_zero 0
		.amdhsa_exception_fp_ieee_overflow 0
		.amdhsa_exception_fp_ieee_underflow 0
		.amdhsa_exception_fp_ieee_inexact 0
		.amdhsa_exception_int_div_zero 0
	.end_amdhsa_kernel
	.section	.text._ZL23rocblas_trmm_rTx_kernelILi32ELb0EddKddEv13rocblas_fill_17rocblas_diagonal_iiT2_lPT3_llS5_llPT4_lli,"axG",@progbits,_ZL23rocblas_trmm_rTx_kernelILi32ELb0EddKddEv13rocblas_fill_17rocblas_diagonal_iiT2_lPT3_llS5_llPT4_lli,comdat
.Lfunc_end69:
	.size	_ZL23rocblas_trmm_rTx_kernelILi32ELb0EddKddEv13rocblas_fill_17rocblas_diagonal_iiT2_lPT3_llS5_llPT4_lli, .Lfunc_end69-_ZL23rocblas_trmm_rTx_kernelILi32ELb0EddKddEv13rocblas_fill_17rocblas_diagonal_iiT2_lPT3_llS5_llPT4_lli
                                        ; -- End function
	.set _ZL23rocblas_trmm_rTx_kernelILi32ELb0EddKddEv13rocblas_fill_17rocblas_diagonal_iiT2_lPT3_llS5_llPT4_lli.num_vgpr, 30
	.set _ZL23rocblas_trmm_rTx_kernelILi32ELb0EddKddEv13rocblas_fill_17rocblas_diagonal_iiT2_lPT3_llS5_llPT4_lli.num_agpr, 0
	.set _ZL23rocblas_trmm_rTx_kernelILi32ELb0EddKddEv13rocblas_fill_17rocblas_diagonal_iiT2_lPT3_llS5_llPT4_lli.numbered_sgpr, 34
	.set _ZL23rocblas_trmm_rTx_kernelILi32ELb0EddKddEv13rocblas_fill_17rocblas_diagonal_iiT2_lPT3_llS5_llPT4_lli.num_named_barrier, 0
	.set _ZL23rocblas_trmm_rTx_kernelILi32ELb0EddKddEv13rocblas_fill_17rocblas_diagonal_iiT2_lPT3_llS5_llPT4_lli.private_seg_size, 0
	.set _ZL23rocblas_trmm_rTx_kernelILi32ELb0EddKddEv13rocblas_fill_17rocblas_diagonal_iiT2_lPT3_llS5_llPT4_lli.uses_vcc, 1
	.set _ZL23rocblas_trmm_rTx_kernelILi32ELb0EddKddEv13rocblas_fill_17rocblas_diagonal_iiT2_lPT3_llS5_llPT4_lli.uses_flat_scratch, 0
	.set _ZL23rocblas_trmm_rTx_kernelILi32ELb0EddKddEv13rocblas_fill_17rocblas_diagonal_iiT2_lPT3_llS5_llPT4_lli.has_dyn_sized_stack, 0
	.set _ZL23rocblas_trmm_rTx_kernelILi32ELb0EddKddEv13rocblas_fill_17rocblas_diagonal_iiT2_lPT3_llS5_llPT4_lli.has_recursion, 0
	.set _ZL23rocblas_trmm_rTx_kernelILi32ELb0EddKddEv13rocblas_fill_17rocblas_diagonal_iiT2_lPT3_llS5_llPT4_lli.has_indirect_call, 0
	.section	.AMDGPU.csdata,"",@progbits
; Kernel info:
; codeLenInByte = 1304
; TotalNumSgprs: 36
; NumVgprs: 30
; ScratchSize: 0
; MemoryBound: 0
; FloatMode: 240
; IeeeMode: 1
; LDSByteSize: 16384 bytes/workgroup (compile time only)
; SGPRBlocks: 0
; VGPRBlocks: 1
; NumSGPRsForWavesPerEU: 36
; NumVGPRsForWavesPerEU: 30
; NamedBarCnt: 0
; Occupancy: 16
; WaveLimiterHint : 0
; COMPUTE_PGM_RSRC2:SCRATCH_EN: 0
; COMPUTE_PGM_RSRC2:USER_SGPR: 2
; COMPUTE_PGM_RSRC2:TRAP_HANDLER: 0
; COMPUTE_PGM_RSRC2:TGID_X_EN: 1
; COMPUTE_PGM_RSRC2:TGID_Y_EN: 0
; COMPUTE_PGM_RSRC2:TGID_Z_EN: 1
; COMPUTE_PGM_RSRC2:TIDIG_COMP_CNT: 1
	.section	.text._ZL23rocblas_trmm_rTx_kernelILi32ELb1EdPKdS0_dEv13rocblas_fill_17rocblas_diagonal_iiT2_lPT3_llS6_llPT4_lli,"axG",@progbits,_ZL23rocblas_trmm_rTx_kernelILi32ELb1EdPKdS0_dEv13rocblas_fill_17rocblas_diagonal_iiT2_lPT3_llS6_llPT4_lli,comdat
	.globl	_ZL23rocblas_trmm_rTx_kernelILi32ELb1EdPKdS0_dEv13rocblas_fill_17rocblas_diagonal_iiT2_lPT3_llS6_llPT4_lli ; -- Begin function _ZL23rocblas_trmm_rTx_kernelILi32ELb1EdPKdS0_dEv13rocblas_fill_17rocblas_diagonal_iiT2_lPT3_llS6_llPT4_lli
	.p2align	8
	.type	_ZL23rocblas_trmm_rTx_kernelILi32ELb1EdPKdS0_dEv13rocblas_fill_17rocblas_diagonal_iiT2_lPT3_llS6_llPT4_lli,@function
_ZL23rocblas_trmm_rTx_kernelILi32ELb1EdPKdS0_dEv13rocblas_fill_17rocblas_diagonal_iiT2_lPT3_llS6_llPT4_lli: ; @_ZL23rocblas_trmm_rTx_kernelILi32ELb1EdPKdS0_dEv13rocblas_fill_17rocblas_diagonal_iiT2_lPT3_llS6_llPT4_lli
; %bb.0:
	s_load_b32 s5, s[0:1], 0x68
	s_bfe_u32 s2, ttmp6, 0x40014
	s_lshr_b32 s3, ttmp7, 16
	s_add_co_i32 s2, s2, 1
	s_bfe_u32 s6, ttmp6, 0x40008
	s_mul_i32 s4, s3, s2
	s_getreg_b32 s2, hwreg(HW_REG_IB_STS2, 6, 4)
	s_add_co_i32 s6, s6, s4
	s_cmp_eq_u32 s2, 0
	s_mov_b32 s7, 0
	s_cselect_b32 s6, s3, s6
	s_wait_kmcnt 0x0
	s_cmp_ge_u32 s6, s5
	s_cbranch_scc1 .LBB70_19
; %bb.1:
	s_clause 0x3
	s_load_b128 s[24:27], s[0:1], 0x0
	s_load_b512 s[8:23], s[0:1], 0x10
	s_load_b128 s[28:31], s[0:1], 0x50
	s_load_b64 s[34:35], s[0:1], 0x60
	v_bfe_u32 v2, v0, 10, 10
	v_mov_b32_e32 v3, 0
	s_wait_xcnt 0x0
	s_bfe_u32 s0, ttmp6, 0x4000c
	s_and_b32 s3, ttmp6, 15
	s_add_co_i32 s0, s0, 1
	v_lshlrev_b32_e32 v16, 5, v2
	s_mul_i32 s4, ttmp9, s0
	v_and_b32_e32 v6, 0x3ff, v0
	s_add_co_i32 s3, s3, s4
	v_dual_mov_b32 v7, v3 :: v_dual_lshlrev_b32 v15, 3, v2
	v_mov_b64_e32 v[0:1], 0
	s_delay_alu instid0(VALU_DEP_3) | instskip(SKIP_1) | instid1(VALU_DEP_4)
	v_cmp_eq_u32_e32 vcc_lo, v2, v6
	v_cmp_lt_u32_e64 s0, v6, v2
	v_lshlrev_b64_e32 v[18:19], 3, v[6:7]
	v_cmp_gt_u32_e64 s1, v6, v2
	s_wait_kmcnt 0x0
	s_add_co_i32 s33, s26, -1
	v_mul_u64_e32 v[8:9], s[14:15], v[2:3]
	v_mul_u64_e32 v[10:11], s[20:21], v[2:3]
	;; [unrolled: 1-line block ×3, first 2 shown]
	s_ashr_i32 s14, s33, 31
	v_lshl_add_u32 v14, v6, 3, 0x2000
	s_lshr_b32 s14, s14, 27
	v_add_lshl_u32 v16, v16, v6, 3
	s_add_co_i32 s14, s33, s14
	v_mov_b64_e32 v[4:5], 1.0
	s_and_b32 s4, s14, 0xffffffe0
	s_ashr_i32 s14, s14, 5
	s_sub_co_i32 s4, s26, s4
	s_cmp_eq_u32 s2, 0
	v_cmp_gt_i32_e64 s2, s27, v2
	s_cselect_b32 s3, ttmp9, s3
	v_add_nc_u32_e32 v2, 0x800, v14
	s_cmp_ge_i32 s3, s14
	v_add_nc_u32_e32 v17, 0x2000, v16
	s_cselect_b32 s4, s4, 32
	s_lshl_b32 s14, s3, 5
	v_cmp_gt_i32_e64 s3, s27, v6
	s_ashr_i32 s15, s14, 31
	v_cmp_gt_i32_e64 s4, s4, v6
	s_lshl_b64 s[14:15], s[14:15], 3
	v_add_nc_u32_e32 v20, 0x1000, v15
	s_add_nc_u64 s[18:19], s[18:19], s[14:15]
	s_add_nc_u64 s[14:15], s[28:29], s[14:15]
	s_and_b32 s3, s2, s3
	s_and_b32 s2, s2, s4
	s_cmp_eq_u32 s25, 0x84
	v_add_nc_u32_e32 v21, 0x1800, v14
	s_cselect_b32 s4, -1, 0
	v_lshl_add_u64 v[6:7], v[8:9], 3, s[12:13]
	v_lshl_add_u64 v[8:9], v[10:11], 3, s[18:19]
	v_lshl_add_u64 v[10:11], v[12:13], 3, s[14:15]
	s_and_b32 s4, vcc_lo, s4
	v_add_nc_u32_e32 v22, 0x1800, v15
	v_add_nc_u64_e32 v[6:7], v[6:7], v[18:19]
	v_add_nc_u64_e32 v[8:9], v[8:9], v[18:19]
	;; [unrolled: 1-line block ×3, first 2 shown]
	v_add_nc_u32_e32 v18, 0x800, v15
	v_add_nc_u32_e32 v19, 0x1000, v14
	s_cmp_lg_u32 s24, 0x79
	s_cselect_b32 s12, -1, 0
	s_branch .LBB70_4
.LBB70_2:                               ;   in Loop: Header=BB70_4 Depth=1
	s_wait_xcnt 0x0
	s_or_b32 exec_lo, exec_lo, s13
.LBB70_3:                               ;   in Loop: Header=BB70_4 Depth=1
	s_add_co_i32 s6, s6, 0x10000
	s_delay_alu instid0(SALU_CYCLE_1)
	s_cmp_lt_u32 s6, s5
	s_cbranch_scc0 .LBB70_19
.LBB70_4:                               ; =>This Inner Loop Header: Depth=1
	s_wait_xcnt 0x0
	s_mul_u64 s[14:15], s[10:11], s[6:7]
	s_delay_alu instid0(SALU_CYCLE_1) | instskip(NEXT) | instid1(SALU_CYCLE_1)
	s_lshl_b64 s[14:15], s[14:15], 3
	s_add_nc_u64 s[14:15], s[8:9], s[14:15]
	global_load_b64 v[12:13], v3, s[14:15]
	s_wait_loadcnt 0x0
	v_cmp_eq_f64_e32 vcc_lo, 0, v[12:13]
	s_cbranch_vccnz .LBB70_3
; %bb.5:                                ;   in Loop: Header=BB70_4 Depth=1
	ds_store_b64 v16, v[0:1]
	ds_store_b64 v17, v[0:1]
	s_wait_xcnt 0x0
	s_and_saveexec_b32 s13, s3
	s_cbranch_execnz .LBB70_10
; %bb.6:                                ;   in Loop: Header=BB70_4 Depth=1
	s_or_b32 exec_lo, exec_lo, s13
	s_and_saveexec_b32 s13, s2
	s_cbranch_execnz .LBB70_11
.LBB70_7:                               ;   in Loop: Header=BB70_4 Depth=1
	s_or_b32 exec_lo, exec_lo, s13
	s_and_saveexec_b32 s13, s4
	s_cbranch_execnz .LBB70_12
.LBB70_8:                               ;   in Loop: Header=BB70_4 Depth=1
	s_or_b32 exec_lo, exec_lo, s13
	s_delay_alu instid0(SALU_CYCLE_1)
	s_and_b32 vcc_lo, exec_lo, s12
	s_cbranch_vccz .LBB70_13
.LBB70_9:                               ;   in Loop: Header=BB70_4 Depth=1
	s_and_b32 s13, s0, exec_lo
	s_cbranch_execz .LBB70_14
	s_branch .LBB70_15
.LBB70_10:                              ;   in Loop: Header=BB70_4 Depth=1
	s_mul_u64 s[14:15], s[16:17], s[6:7]
	s_delay_alu instid0(SALU_CYCLE_1)
	v_lshl_add_u64 v[24:25], s[14:15], 3, v[6:7]
	global_load_b64 v[24:25], v[24:25], off
	s_wait_loadcnt 0x0
	ds_store_b64 v16, v[24:25]
	s_wait_xcnt 0x0
	s_or_b32 exec_lo, exec_lo, s13
	s_and_saveexec_b32 s13, s2
	s_cbranch_execz .LBB70_7
.LBB70_11:                              ;   in Loop: Header=BB70_4 Depth=1
	s_mul_u64 s[14:15], s[22:23], s[6:7]
	s_delay_alu instid0(SALU_CYCLE_1)
	v_lshl_add_u64 v[24:25], s[14:15], 3, v[8:9]
	global_load_b64 v[24:25], v[24:25], off
	s_wait_loadcnt 0x0
	ds_store_b64 v17, v[24:25]
	s_wait_xcnt 0x0
	s_or_b32 exec_lo, exec_lo, s13
	s_and_saveexec_b32 s13, s4
	s_cbranch_execz .LBB70_8
.LBB70_12:                              ;   in Loop: Header=BB70_4 Depth=1
	ds_store_b64 v16, v[4:5]
	s_or_b32 exec_lo, exec_lo, s13
	s_delay_alu instid0(SALU_CYCLE_1)
	s_and_b32 vcc_lo, exec_lo, s12
	s_cbranch_vccnz .LBB70_9
.LBB70_13:                              ;   in Loop: Header=BB70_4 Depth=1
	s_mov_b32 s13, 0
.LBB70_14:                              ;   in Loop: Header=BB70_4 Depth=1
	s_delay_alu instid0(SALU_CYCLE_1) | instskip(SKIP_1) | instid1(SALU_CYCLE_1)
	s_and_not1_b32 s13, s13, exec_lo
	s_and_b32 s14, s1, exec_lo
	s_or_b32 s13, s13, s14
.LBB70_15:                              ;   in Loop: Header=BB70_4 Depth=1
	s_delay_alu instid0(SALU_CYCLE_1)
	s_and_saveexec_b32 s14, s13
; %bb.16:                               ;   in Loop: Header=BB70_4 Depth=1
	ds_store_b64 v16, v[0:1]
; %bb.17:                               ;   in Loop: Header=BB70_4 Depth=1
	s_or_b32 exec_lo, exec_lo, s14
	s_wait_dscnt 0x0
	s_barrier_signal -1
	s_barrier_wait -1
	s_and_saveexec_b32 s13, s2
	s_cbranch_execz .LBB70_2
; %bb.18:                               ;   in Loop: Header=BB70_4 Depth=1
	ds_load_2addr_b64 v[24:27], v14 offset1:32
	ds_load_2addr_b64 v[28:31], v15 offset1:32
	s_mul_u64 s[14:15], s[34:35], s[6:7]
	s_wait_dscnt 0x0
	v_fma_f64 v[32:33], v[24:25], v[28:29], 0
	s_delay_alu instid0(VALU_DEP_1) | instskip(SKIP_4) | instid1(VALU_DEP_1)
	v_fmac_f64_e32 v[32:33], v[26:27], v[30:31]
	ds_load_2addr_b64 v[24:27], v14 offset0:64 offset1:96
	ds_load_2addr_b64 v[28:31], v15 offset0:64 offset1:96
	s_wait_dscnt 0x0
	v_fmac_f64_e32 v[32:33], v[24:25], v[28:29]
	v_fmac_f64_e32 v[32:33], v[26:27], v[30:31]
	ds_load_2addr_b64 v[24:27], v14 offset0:128 offset1:160
	ds_load_2addr_b64 v[28:31], v15 offset0:128 offset1:160
	s_wait_dscnt 0x0
	v_fmac_f64_e32 v[32:33], v[24:25], v[28:29]
	s_delay_alu instid0(VALU_DEP_1) | instskip(SKIP_4) | instid1(VALU_DEP_1)
	v_fmac_f64_e32 v[32:33], v[26:27], v[30:31]
	ds_load_2addr_b64 v[24:27], v14 offset0:192 offset1:224
	ds_load_2addr_b64 v[28:31], v15 offset0:192 offset1:224
	s_wait_dscnt 0x0
	v_fmac_f64_e32 v[32:33], v[24:25], v[28:29]
	v_fmac_f64_e32 v[32:33], v[26:27], v[30:31]
	ds_load_2addr_b64 v[24:27], v2 offset1:32
	ds_load_2addr_b64 v[28:31], v18 offset1:32
	s_wait_dscnt 0x0
	v_fmac_f64_e32 v[32:33], v[24:25], v[28:29]
	s_delay_alu instid0(VALU_DEP_1) | instskip(SKIP_4) | instid1(VALU_DEP_1)
	v_fmac_f64_e32 v[32:33], v[26:27], v[30:31]
	ds_load_2addr_b64 v[24:27], v2 offset0:64 offset1:96
	ds_load_2addr_b64 v[28:31], v18 offset0:64 offset1:96
	s_wait_dscnt 0x0
	v_fmac_f64_e32 v[32:33], v[24:25], v[28:29]
	v_fmac_f64_e32 v[32:33], v[26:27], v[30:31]
	ds_load_2addr_b64 v[24:27], v2 offset0:128 offset1:160
	ds_load_2addr_b64 v[28:31], v18 offset0:128 offset1:160
	s_wait_dscnt 0x0
	v_fmac_f64_e32 v[32:33], v[24:25], v[28:29]
	s_delay_alu instid0(VALU_DEP_1) | instskip(SKIP_4) | instid1(VALU_DEP_1)
	v_fmac_f64_e32 v[32:33], v[26:27], v[30:31]
	ds_load_2addr_b64 v[24:27], v2 offset0:192 offset1:224
	ds_load_2addr_b64 v[28:31], v18 offset0:192 offset1:224
	s_wait_dscnt 0x0
	v_fmac_f64_e32 v[32:33], v[24:25], v[28:29]
	v_fmac_f64_e32 v[32:33], v[26:27], v[30:31]
	ds_load_2addr_b64 v[24:27], v19 offset1:32
	ds_load_2addr_b64 v[28:31], v20 offset1:32
	s_wait_dscnt 0x0
	v_fmac_f64_e32 v[32:33], v[24:25], v[28:29]
	;; [unrolled: 22-line block ×3, first 2 shown]
	s_delay_alu instid0(VALU_DEP_1) | instskip(SKIP_4) | instid1(VALU_DEP_1)
	v_fmac_f64_e32 v[32:33], v[26:27], v[30:31]
	ds_load_2addr_b64 v[24:27], v21 offset0:64 offset1:96
	ds_load_2addr_b64 v[28:31], v22 offset0:64 offset1:96
	s_wait_dscnt 0x0
	v_fmac_f64_e32 v[32:33], v[24:25], v[28:29]
	v_fmac_f64_e32 v[32:33], v[26:27], v[30:31]
	ds_load_2addr_b64 v[24:27], v21 offset0:128 offset1:160
	ds_load_2addr_b64 v[28:31], v22 offset0:128 offset1:160
	s_wait_dscnt 0x0
	v_fmac_f64_e32 v[32:33], v[24:25], v[28:29]
	s_delay_alu instid0(VALU_DEP_1)
	v_fmac_f64_e32 v[32:33], v[26:27], v[30:31]
	ds_load_2addr_b64 v[24:27], v21 offset0:192 offset1:224
	ds_load_2addr_b64 v[28:31], v22 offset0:192 offset1:224
	s_wait_dscnt 0x0
	v_fmac_f64_e32 v[32:33], v[24:25], v[28:29]
	v_lshl_add_u64 v[24:25], s[14:15], 3, v[10:11]
	s_delay_alu instid0(VALU_DEP_2) | instskip(NEXT) | instid1(VALU_DEP_1)
	v_fmac_f64_e32 v[32:33], v[26:27], v[30:31]
	v_mul_f64_e32 v[12:13], v[12:13], v[32:33]
	global_store_b64 v[24:25], v[12:13], off
	s_branch .LBB70_2
.LBB70_19:
	s_endpgm
	.section	.rodata,"a",@progbits
	.p2align	6, 0x0
	.amdhsa_kernel _ZL23rocblas_trmm_rTx_kernelILi32ELb1EdPKdS0_dEv13rocblas_fill_17rocblas_diagonal_iiT2_lPT3_llS6_llPT4_lli
		.amdhsa_group_segment_fixed_size 16384
		.amdhsa_private_segment_fixed_size 0
		.amdhsa_kernarg_size 108
		.amdhsa_user_sgpr_count 2
		.amdhsa_user_sgpr_dispatch_ptr 0
		.amdhsa_user_sgpr_queue_ptr 0
		.amdhsa_user_sgpr_kernarg_segment_ptr 1
		.amdhsa_user_sgpr_dispatch_id 0
		.amdhsa_user_sgpr_kernarg_preload_length 0
		.amdhsa_user_sgpr_kernarg_preload_offset 0
		.amdhsa_user_sgpr_private_segment_size 0
		.amdhsa_wavefront_size32 1
		.amdhsa_uses_dynamic_stack 0
		.amdhsa_enable_private_segment 0
		.amdhsa_system_sgpr_workgroup_id_x 1
		.amdhsa_system_sgpr_workgroup_id_y 0
		.amdhsa_system_sgpr_workgroup_id_z 1
		.amdhsa_system_sgpr_workgroup_info 0
		.amdhsa_system_vgpr_workitem_id 1
		.amdhsa_next_free_vgpr 34
		.amdhsa_next_free_sgpr 36
		.amdhsa_named_barrier_count 0
		.amdhsa_reserve_vcc 1
		.amdhsa_float_round_mode_32 0
		.amdhsa_float_round_mode_16_64 0
		.amdhsa_float_denorm_mode_32 3
		.amdhsa_float_denorm_mode_16_64 3
		.amdhsa_fp16_overflow 0
		.amdhsa_memory_ordered 1
		.amdhsa_forward_progress 1
		.amdhsa_inst_pref_size 11
		.amdhsa_round_robin_scheduling 0
		.amdhsa_exception_fp_ieee_invalid_op 0
		.amdhsa_exception_fp_denorm_src 0
		.amdhsa_exception_fp_ieee_div_zero 0
		.amdhsa_exception_fp_ieee_overflow 0
		.amdhsa_exception_fp_ieee_underflow 0
		.amdhsa_exception_fp_ieee_inexact 0
		.amdhsa_exception_int_div_zero 0
	.end_amdhsa_kernel
	.section	.text._ZL23rocblas_trmm_rTx_kernelILi32ELb1EdPKdS0_dEv13rocblas_fill_17rocblas_diagonal_iiT2_lPT3_llS6_llPT4_lli,"axG",@progbits,_ZL23rocblas_trmm_rTx_kernelILi32ELb1EdPKdS0_dEv13rocblas_fill_17rocblas_diagonal_iiT2_lPT3_llS6_llPT4_lli,comdat
.Lfunc_end70:
	.size	_ZL23rocblas_trmm_rTx_kernelILi32ELb1EdPKdS0_dEv13rocblas_fill_17rocblas_diagonal_iiT2_lPT3_llS6_llPT4_lli, .Lfunc_end70-_ZL23rocblas_trmm_rTx_kernelILi32ELb1EdPKdS0_dEv13rocblas_fill_17rocblas_diagonal_iiT2_lPT3_llS6_llPT4_lli
                                        ; -- End function
	.set _ZL23rocblas_trmm_rTx_kernelILi32ELb1EdPKdS0_dEv13rocblas_fill_17rocblas_diagonal_iiT2_lPT3_llS6_llPT4_lli.num_vgpr, 34
	.set _ZL23rocblas_trmm_rTx_kernelILi32ELb1EdPKdS0_dEv13rocblas_fill_17rocblas_diagonal_iiT2_lPT3_llS6_llPT4_lli.num_agpr, 0
	.set _ZL23rocblas_trmm_rTx_kernelILi32ELb1EdPKdS0_dEv13rocblas_fill_17rocblas_diagonal_iiT2_lPT3_llS6_llPT4_lli.numbered_sgpr, 36
	.set _ZL23rocblas_trmm_rTx_kernelILi32ELb1EdPKdS0_dEv13rocblas_fill_17rocblas_diagonal_iiT2_lPT3_llS6_llPT4_lli.num_named_barrier, 0
	.set _ZL23rocblas_trmm_rTx_kernelILi32ELb1EdPKdS0_dEv13rocblas_fill_17rocblas_diagonal_iiT2_lPT3_llS6_llPT4_lli.private_seg_size, 0
	.set _ZL23rocblas_trmm_rTx_kernelILi32ELb1EdPKdS0_dEv13rocblas_fill_17rocblas_diagonal_iiT2_lPT3_llS6_llPT4_lli.uses_vcc, 1
	.set _ZL23rocblas_trmm_rTx_kernelILi32ELb1EdPKdS0_dEv13rocblas_fill_17rocblas_diagonal_iiT2_lPT3_llS6_llPT4_lli.uses_flat_scratch, 0
	.set _ZL23rocblas_trmm_rTx_kernelILi32ELb1EdPKdS0_dEv13rocblas_fill_17rocblas_diagonal_iiT2_lPT3_llS6_llPT4_lli.has_dyn_sized_stack, 0
	.set _ZL23rocblas_trmm_rTx_kernelILi32ELb1EdPKdS0_dEv13rocblas_fill_17rocblas_diagonal_iiT2_lPT3_llS6_llPT4_lli.has_recursion, 0
	.set _ZL23rocblas_trmm_rTx_kernelILi32ELb1EdPKdS0_dEv13rocblas_fill_17rocblas_diagonal_iiT2_lPT3_llS6_llPT4_lli.has_indirect_call, 0
	.section	.AMDGPU.csdata,"",@progbits
; Kernel info:
; codeLenInByte = 1336
; TotalNumSgprs: 38
; NumVgprs: 34
; ScratchSize: 0
; MemoryBound: 0
; FloatMode: 240
; IeeeMode: 1
; LDSByteSize: 16384 bytes/workgroup (compile time only)
; SGPRBlocks: 0
; VGPRBlocks: 2
; NumSGPRsForWavesPerEU: 38
; NumVGPRsForWavesPerEU: 34
; NamedBarCnt: 0
; Occupancy: 16
; WaveLimiterHint : 0
; COMPUTE_PGM_RSRC2:SCRATCH_EN: 0
; COMPUTE_PGM_RSRC2:USER_SGPR: 2
; COMPUTE_PGM_RSRC2:TRAP_HANDLER: 0
; COMPUTE_PGM_RSRC2:TGID_X_EN: 1
; COMPUTE_PGM_RSRC2:TGID_Y_EN: 0
; COMPUTE_PGM_RSRC2:TGID_Z_EN: 1
; COMPUTE_PGM_RSRC2:TIDIG_COMP_CNT: 1
	.section	.text._ZL23rocblas_trmm_rTx_kernelILi32ELb1EddKddEv13rocblas_fill_17rocblas_diagonal_iiT2_lPT3_llS5_llPT4_lli,"axG",@progbits,_ZL23rocblas_trmm_rTx_kernelILi32ELb1EddKddEv13rocblas_fill_17rocblas_diagonal_iiT2_lPT3_llS5_llPT4_lli,comdat
	.globl	_ZL23rocblas_trmm_rTx_kernelILi32ELb1EddKddEv13rocblas_fill_17rocblas_diagonal_iiT2_lPT3_llS5_llPT4_lli ; -- Begin function _ZL23rocblas_trmm_rTx_kernelILi32ELb1EddKddEv13rocblas_fill_17rocblas_diagonal_iiT2_lPT3_llS5_llPT4_lli
	.p2align	8
	.type	_ZL23rocblas_trmm_rTx_kernelILi32ELb1EddKddEv13rocblas_fill_17rocblas_diagonal_iiT2_lPT3_llS5_llPT4_lli,@function
_ZL23rocblas_trmm_rTx_kernelILi32ELb1EddKddEv13rocblas_fill_17rocblas_diagonal_iiT2_lPT3_llS5_llPT4_lli: ; @_ZL23rocblas_trmm_rTx_kernelILi32ELb1EddKddEv13rocblas_fill_17rocblas_diagonal_iiT2_lPT3_llS5_llPT4_lli
; %bb.0:
	s_load_b32 s5, s[0:1], 0x68
	s_bfe_u32 s2, ttmp6, 0x40014
	s_lshr_b32 s3, ttmp7, 16
	s_add_co_i32 s2, s2, 1
	s_bfe_u32 s6, ttmp6, 0x40008
	s_mul_i32 s4, s3, s2
	s_getreg_b32 s2, hwreg(HW_REG_IB_STS2, 6, 4)
	s_add_co_i32 s6, s6, s4
	s_cmp_eq_u32 s2, 0
	s_mov_b32 s7, 0
	s_cselect_b32 s6, s3, s6
	s_wait_kmcnt 0x0
	s_cmp_ge_u32 s6, s5
	s_cbranch_scc1 .LBB71_19
; %bb.1:
	s_clause 0x3
	s_load_b128 s[24:27], s[0:1], 0x0
	s_load_b512 s[8:23], s[0:1], 0x20
	s_load_b64 s[28:29], s[0:1], 0x10
	s_load_b64 s[30:31], s[0:1], 0x60
	v_bfe_u32 v2, v0, 10, 10
	v_mov_b32_e32 v3, 0
	s_wait_xcnt 0x0
	s_bfe_u32 s0, ttmp6, 0x4000c
	s_and_b32 s3, ttmp6, 15
	s_add_co_i32 s0, s0, 1
	v_lshlrev_b32_e32 v12, 5, v2
	s_mul_i32 s4, ttmp9, s0
	v_and_b32_e32 v4, 0x3ff, v0
	s_add_co_i32 s3, s3, s4
	v_dual_mov_b32 v5, v3 :: v_dual_lshlrev_b32 v11, 3, v2
	v_mov_b64_e32 v[0:1], 0
	s_delay_alu instid0(VALU_DEP_3) | instskip(SKIP_1) | instid1(VALU_DEP_4)
	v_cmp_eq_u32_e32 vcc_lo, v2, v4
	v_cmp_lt_u32_e64 s0, v4, v2
	v_lshlrev_b64_e32 v[16:17], 3, v[4:5]
	v_cmp_gt_u32_e64 s1, v4, v2
	s_wait_kmcnt 0x0
	s_add_co_i32 s33, s26, -1
	v_mul_u64_e32 v[6:7], s[10:11], v[2:3]
	s_ashr_i32 s10, s33, 31
	v_mul_u64_e32 v[8:9], s[16:17], v[2:3]
	s_lshr_b32 s10, s10, 27
	v_mul_u64_e32 v[14:15], s[22:23], v[2:3]
	s_add_co_i32 s10, s33, s10
	v_lshl_add_u32 v10, v4, 3, 0x2000
	s_and_b32 s4, s10, 0xffffffe0
	s_ashr_i32 s10, s10, 5
	s_sub_co_i32 s4, s26, s4
	s_cmp_eq_u32 s2, 0
	v_cmp_gt_i32_e64 s2, s27, v2
	s_cselect_b32 s3, ttmp9, s3
	v_add_lshl_u32 v12, v12, v4, 3
	s_cmp_ge_i32 s3, s10
	v_add_nc_u32_e32 v18, 0x1800, v10
	s_cselect_b32 s4, s4, 32
	s_lshl_b32 s10, s3, 5
	v_cmp_gt_i32_e64 s3, s27, v4
	v_cmp_gt_i32_e64 s4, s4, v4
	s_ashr_i32 s11, s10, 31
	v_add_nc_u32_e32 v13, 0x2000, v12
	s_lshl_b64 s[10:11], s[10:11], 3
	s_and_b32 s3, s2, s3
	s_and_b32 s2, s2, s4
	v_cmp_neq_f64_e64 s4, s[28:29], 0
	s_add_nc_u64 s[14:15], s[14:15], s[10:11]
	s_add_nc_u64 s[10:11], s[20:21], s[10:11]
	s_cmp_eq_u32 s25, 0x84
	v_add_nc_u32_e32 v19, 0x1800, v11
	s_cselect_b32 s16, -1, 0
	v_lshl_add_u64 v[2:3], v[6:7], 3, s[8:9]
	s_and_b32 s8, vcc_lo, s16
	v_lshl_add_u64 v[4:5], v[8:9], 3, s[14:15]
	v_mov_b64_e32 v[8:9], 1.0
	v_lshl_add_u64 v[6:7], v[14:15], 3, s[10:11]
	v_add_nc_u64_e32 v[2:3], v[2:3], v[16:17]
	v_add_nc_u32_e32 v14, 0x800, v10
	v_add_nc_u64_e32 v[4:5], v[4:5], v[16:17]
	v_add_nc_u32_e32 v15, 0x800, v11
	;; [unrolled: 2-line block ×3, first 2 shown]
	v_add_nc_u32_e32 v17, 0x1000, v11
	s_cmp_lg_u32 s24, 0x79
	s_cselect_b32 s9, -1, 0
	s_branch .LBB71_4
.LBB71_2:                               ;   in Loop: Header=BB71_4 Depth=1
	s_wait_xcnt 0x0
	s_or_b32 exec_lo, exec_lo, s10
.LBB71_3:                               ;   in Loop: Header=BB71_4 Depth=1
	s_add_co_i32 s6, s6, 0x10000
	s_delay_alu instid0(SALU_CYCLE_1)
	s_cmp_lt_u32 s6, s5
	s_cbranch_scc0 .LBB71_19
.LBB71_4:                               ; =>This Inner Loop Header: Depth=1
	s_and_not1_b32 vcc_lo, exec_lo, s4
	s_cbranch_vccnz .LBB71_3
; %bb.5:                                ;   in Loop: Header=BB71_4 Depth=1
	ds_store_b64 v12, v[0:1]
	ds_store_b64 v13, v[0:1]
	s_and_saveexec_b32 s10, s3
	s_cbranch_execnz .LBB71_10
; %bb.6:                                ;   in Loop: Header=BB71_4 Depth=1
	s_or_b32 exec_lo, exec_lo, s10
	s_and_saveexec_b32 s10, s2
	s_cbranch_execnz .LBB71_11
.LBB71_7:                               ;   in Loop: Header=BB71_4 Depth=1
	s_or_b32 exec_lo, exec_lo, s10
	s_and_saveexec_b32 s10, s8
	s_cbranch_execnz .LBB71_12
.LBB71_8:                               ;   in Loop: Header=BB71_4 Depth=1
	s_or_b32 exec_lo, exec_lo, s10
	s_delay_alu instid0(SALU_CYCLE_1)
	s_and_b32 vcc_lo, exec_lo, s9
	s_cbranch_vccz .LBB71_13
.LBB71_9:                               ;   in Loop: Header=BB71_4 Depth=1
	s_and_b32 s10, s0, exec_lo
	s_cbranch_execz .LBB71_14
	s_branch .LBB71_15
.LBB71_10:                              ;   in Loop: Header=BB71_4 Depth=1
	s_mul_u64 s[14:15], s[12:13], s[6:7]
	s_delay_alu instid0(SALU_CYCLE_1)
	v_lshl_add_u64 v[20:21], s[14:15], 3, v[2:3]
	global_load_b64 v[20:21], v[20:21], off
	s_wait_loadcnt 0x0
	ds_store_b64 v12, v[20:21]
	s_wait_xcnt 0x0
	s_or_b32 exec_lo, exec_lo, s10
	s_and_saveexec_b32 s10, s2
	s_cbranch_execz .LBB71_7
.LBB71_11:                              ;   in Loop: Header=BB71_4 Depth=1
	s_mul_u64 s[14:15], s[18:19], s[6:7]
	s_delay_alu instid0(SALU_CYCLE_1)
	v_lshl_add_u64 v[20:21], s[14:15], 3, v[4:5]
	global_load_b64 v[20:21], v[20:21], off
	s_wait_loadcnt 0x0
	ds_store_b64 v13, v[20:21]
	s_wait_xcnt 0x0
	s_or_b32 exec_lo, exec_lo, s10
	s_and_saveexec_b32 s10, s8
	s_cbranch_execz .LBB71_8
.LBB71_12:                              ;   in Loop: Header=BB71_4 Depth=1
	ds_store_b64 v12, v[8:9]
	s_or_b32 exec_lo, exec_lo, s10
	s_delay_alu instid0(SALU_CYCLE_1)
	s_and_b32 vcc_lo, exec_lo, s9
	s_cbranch_vccnz .LBB71_9
.LBB71_13:                              ;   in Loop: Header=BB71_4 Depth=1
	s_mov_b32 s10, 0
.LBB71_14:                              ;   in Loop: Header=BB71_4 Depth=1
	s_delay_alu instid0(SALU_CYCLE_1) | instskip(SKIP_1) | instid1(SALU_CYCLE_1)
	s_and_not1_b32 s10, s10, exec_lo
	s_and_b32 s11, s1, exec_lo
	s_or_b32 s10, s10, s11
.LBB71_15:                              ;   in Loop: Header=BB71_4 Depth=1
	s_delay_alu instid0(SALU_CYCLE_1)
	s_and_saveexec_b32 s11, s10
; %bb.16:                               ;   in Loop: Header=BB71_4 Depth=1
	ds_store_b64 v12, v[0:1]
; %bb.17:                               ;   in Loop: Header=BB71_4 Depth=1
	s_or_b32 exec_lo, exec_lo, s11
	s_wait_dscnt 0x0
	s_barrier_signal -1
	s_barrier_wait -1
	s_and_saveexec_b32 s10, s2
	s_cbranch_execz .LBB71_2
; %bb.18:                               ;   in Loop: Header=BB71_4 Depth=1
	ds_load_2addr_b64 v[20:23], v10 offset1:32
	ds_load_2addr_b64 v[24:27], v11 offset1:32
	s_mul_u64 s[14:15], s[30:31], s[6:7]
	s_wait_dscnt 0x0
	v_fma_f64 v[28:29], v[20:21], v[24:25], 0
	s_delay_alu instid0(VALU_DEP_1) | instskip(SKIP_4) | instid1(VALU_DEP_1)
	v_fmac_f64_e32 v[28:29], v[22:23], v[26:27]
	ds_load_2addr_b64 v[20:23], v10 offset0:64 offset1:96
	ds_load_2addr_b64 v[24:27], v11 offset0:64 offset1:96
	s_wait_dscnt 0x0
	v_fmac_f64_e32 v[28:29], v[20:21], v[24:25]
	v_fmac_f64_e32 v[28:29], v[22:23], v[26:27]
	ds_load_2addr_b64 v[20:23], v10 offset0:128 offset1:160
	ds_load_2addr_b64 v[24:27], v11 offset0:128 offset1:160
	s_wait_dscnt 0x0
	v_fmac_f64_e32 v[28:29], v[20:21], v[24:25]
	s_delay_alu instid0(VALU_DEP_1) | instskip(SKIP_4) | instid1(VALU_DEP_1)
	v_fmac_f64_e32 v[28:29], v[22:23], v[26:27]
	ds_load_2addr_b64 v[20:23], v10 offset0:192 offset1:224
	ds_load_2addr_b64 v[24:27], v11 offset0:192 offset1:224
	s_wait_dscnt 0x0
	v_fmac_f64_e32 v[28:29], v[20:21], v[24:25]
	v_fmac_f64_e32 v[28:29], v[22:23], v[26:27]
	ds_load_2addr_b64 v[20:23], v14 offset1:32
	ds_load_2addr_b64 v[24:27], v15 offset1:32
	s_wait_dscnt 0x0
	v_fmac_f64_e32 v[28:29], v[20:21], v[24:25]
	s_delay_alu instid0(VALU_DEP_1) | instskip(SKIP_4) | instid1(VALU_DEP_1)
	v_fmac_f64_e32 v[28:29], v[22:23], v[26:27]
	ds_load_2addr_b64 v[20:23], v14 offset0:64 offset1:96
	ds_load_2addr_b64 v[24:27], v15 offset0:64 offset1:96
	s_wait_dscnt 0x0
	v_fmac_f64_e32 v[28:29], v[20:21], v[24:25]
	v_fmac_f64_e32 v[28:29], v[22:23], v[26:27]
	ds_load_2addr_b64 v[20:23], v14 offset0:128 offset1:160
	ds_load_2addr_b64 v[24:27], v15 offset0:128 offset1:160
	s_wait_dscnt 0x0
	v_fmac_f64_e32 v[28:29], v[20:21], v[24:25]
	s_delay_alu instid0(VALU_DEP_1) | instskip(SKIP_4) | instid1(VALU_DEP_1)
	v_fmac_f64_e32 v[28:29], v[22:23], v[26:27]
	ds_load_2addr_b64 v[20:23], v14 offset0:192 offset1:224
	ds_load_2addr_b64 v[24:27], v15 offset0:192 offset1:224
	s_wait_dscnt 0x0
	v_fmac_f64_e32 v[28:29], v[20:21], v[24:25]
	v_fmac_f64_e32 v[28:29], v[22:23], v[26:27]
	ds_load_2addr_b64 v[20:23], v16 offset1:32
	ds_load_2addr_b64 v[24:27], v17 offset1:32
	s_wait_dscnt 0x0
	v_fmac_f64_e32 v[28:29], v[20:21], v[24:25]
	s_delay_alu instid0(VALU_DEP_1) | instskip(SKIP_4) | instid1(VALU_DEP_1)
	v_fmac_f64_e32 v[28:29], v[22:23], v[26:27]
	ds_load_2addr_b64 v[20:23], v16 offset0:64 offset1:96
	ds_load_2addr_b64 v[24:27], v17 offset0:64 offset1:96
	s_wait_dscnt 0x0
	v_fmac_f64_e32 v[28:29], v[20:21], v[24:25]
	v_fmac_f64_e32 v[28:29], v[22:23], v[26:27]
	ds_load_2addr_b64 v[20:23], v16 offset0:128 offset1:160
	ds_load_2addr_b64 v[24:27], v17 offset0:128 offset1:160
	s_wait_dscnt 0x0
	v_fmac_f64_e32 v[28:29], v[20:21], v[24:25]
	s_delay_alu instid0(VALU_DEP_1) | instskip(SKIP_4) | instid1(VALU_DEP_1)
	v_fmac_f64_e32 v[28:29], v[22:23], v[26:27]
	ds_load_2addr_b64 v[20:23], v16 offset0:192 offset1:224
	ds_load_2addr_b64 v[24:27], v17 offset0:192 offset1:224
	s_wait_dscnt 0x0
	v_fmac_f64_e32 v[28:29], v[20:21], v[24:25]
	v_fmac_f64_e32 v[28:29], v[22:23], v[26:27]
	ds_load_2addr_b64 v[20:23], v18 offset1:32
	ds_load_2addr_b64 v[24:27], v19 offset1:32
	s_wait_dscnt 0x0
	v_fmac_f64_e32 v[28:29], v[20:21], v[24:25]
	s_delay_alu instid0(VALU_DEP_1) | instskip(SKIP_4) | instid1(VALU_DEP_1)
	v_fmac_f64_e32 v[28:29], v[22:23], v[26:27]
	ds_load_2addr_b64 v[20:23], v18 offset0:64 offset1:96
	ds_load_2addr_b64 v[24:27], v19 offset0:64 offset1:96
	s_wait_dscnt 0x0
	v_fmac_f64_e32 v[28:29], v[20:21], v[24:25]
	v_fmac_f64_e32 v[28:29], v[22:23], v[26:27]
	ds_load_2addr_b64 v[20:23], v18 offset0:128 offset1:160
	ds_load_2addr_b64 v[24:27], v19 offset0:128 offset1:160
	s_wait_dscnt 0x0
	v_fmac_f64_e32 v[28:29], v[20:21], v[24:25]
	s_delay_alu instid0(VALU_DEP_1) | instskip(SKIP_4) | instid1(VALU_DEP_1)
	v_fmac_f64_e32 v[28:29], v[22:23], v[26:27]
	ds_load_2addr_b64 v[20:23], v18 offset0:192 offset1:224
	ds_load_2addr_b64 v[24:27], v19 offset0:192 offset1:224
	s_wait_dscnt 0x0
	v_fmac_f64_e32 v[28:29], v[20:21], v[24:25]
	v_fmac_f64_e32 v[28:29], v[22:23], v[26:27]
	v_lshl_add_u64 v[22:23], s[14:15], 3, v[6:7]
	s_delay_alu instid0(VALU_DEP_2)
	v_mul_f64_e32 v[20:21], s[28:29], v[28:29]
	global_store_b64 v[22:23], v[20:21], off
	s_branch .LBB71_2
.LBB71_19:
	s_endpgm
	.section	.rodata,"a",@progbits
	.p2align	6, 0x0
	.amdhsa_kernel _ZL23rocblas_trmm_rTx_kernelILi32ELb1EddKddEv13rocblas_fill_17rocblas_diagonal_iiT2_lPT3_llS5_llPT4_lli
		.amdhsa_group_segment_fixed_size 16384
		.amdhsa_private_segment_fixed_size 0
		.amdhsa_kernarg_size 108
		.amdhsa_user_sgpr_count 2
		.amdhsa_user_sgpr_dispatch_ptr 0
		.amdhsa_user_sgpr_queue_ptr 0
		.amdhsa_user_sgpr_kernarg_segment_ptr 1
		.amdhsa_user_sgpr_dispatch_id 0
		.amdhsa_user_sgpr_kernarg_preload_length 0
		.amdhsa_user_sgpr_kernarg_preload_offset 0
		.amdhsa_user_sgpr_private_segment_size 0
		.amdhsa_wavefront_size32 1
		.amdhsa_uses_dynamic_stack 0
		.amdhsa_enable_private_segment 0
		.amdhsa_system_sgpr_workgroup_id_x 1
		.amdhsa_system_sgpr_workgroup_id_y 0
		.amdhsa_system_sgpr_workgroup_id_z 1
		.amdhsa_system_sgpr_workgroup_info 0
		.amdhsa_system_vgpr_workitem_id 1
		.amdhsa_next_free_vgpr 30
		.amdhsa_next_free_sgpr 34
		.amdhsa_named_barrier_count 0
		.amdhsa_reserve_vcc 1
		.amdhsa_float_round_mode_32 0
		.amdhsa_float_round_mode_16_64 0
		.amdhsa_float_denorm_mode_32 3
		.amdhsa_float_denorm_mode_16_64 3
		.amdhsa_fp16_overflow 0
		.amdhsa_memory_ordered 1
		.amdhsa_forward_progress 1
		.amdhsa_inst_pref_size 11
		.amdhsa_round_robin_scheduling 0
		.amdhsa_exception_fp_ieee_invalid_op 0
		.amdhsa_exception_fp_denorm_src 0
		.amdhsa_exception_fp_ieee_div_zero 0
		.amdhsa_exception_fp_ieee_overflow 0
		.amdhsa_exception_fp_ieee_underflow 0
		.amdhsa_exception_fp_ieee_inexact 0
		.amdhsa_exception_int_div_zero 0
	.end_amdhsa_kernel
	.section	.text._ZL23rocblas_trmm_rTx_kernelILi32ELb1EddKddEv13rocblas_fill_17rocblas_diagonal_iiT2_lPT3_llS5_llPT4_lli,"axG",@progbits,_ZL23rocblas_trmm_rTx_kernelILi32ELb1EddKddEv13rocblas_fill_17rocblas_diagonal_iiT2_lPT3_llS5_llPT4_lli,comdat
.Lfunc_end71:
	.size	_ZL23rocblas_trmm_rTx_kernelILi32ELb1EddKddEv13rocblas_fill_17rocblas_diagonal_iiT2_lPT3_llS5_llPT4_lli, .Lfunc_end71-_ZL23rocblas_trmm_rTx_kernelILi32ELb1EddKddEv13rocblas_fill_17rocblas_diagonal_iiT2_lPT3_llS5_llPT4_lli
                                        ; -- End function
	.set _ZL23rocblas_trmm_rTx_kernelILi32ELb1EddKddEv13rocblas_fill_17rocblas_diagonal_iiT2_lPT3_llS5_llPT4_lli.num_vgpr, 30
	.set _ZL23rocblas_trmm_rTx_kernelILi32ELb1EddKddEv13rocblas_fill_17rocblas_diagonal_iiT2_lPT3_llS5_llPT4_lli.num_agpr, 0
	.set _ZL23rocblas_trmm_rTx_kernelILi32ELb1EddKddEv13rocblas_fill_17rocblas_diagonal_iiT2_lPT3_llS5_llPT4_lli.numbered_sgpr, 34
	.set _ZL23rocblas_trmm_rTx_kernelILi32ELb1EddKddEv13rocblas_fill_17rocblas_diagonal_iiT2_lPT3_llS5_llPT4_lli.num_named_barrier, 0
	.set _ZL23rocblas_trmm_rTx_kernelILi32ELb1EddKddEv13rocblas_fill_17rocblas_diagonal_iiT2_lPT3_llS5_llPT4_lli.private_seg_size, 0
	.set _ZL23rocblas_trmm_rTx_kernelILi32ELb1EddKddEv13rocblas_fill_17rocblas_diagonal_iiT2_lPT3_llS5_llPT4_lli.uses_vcc, 1
	.set _ZL23rocblas_trmm_rTx_kernelILi32ELb1EddKddEv13rocblas_fill_17rocblas_diagonal_iiT2_lPT3_llS5_llPT4_lli.uses_flat_scratch, 0
	.set _ZL23rocblas_trmm_rTx_kernelILi32ELb1EddKddEv13rocblas_fill_17rocblas_diagonal_iiT2_lPT3_llS5_llPT4_lli.has_dyn_sized_stack, 0
	.set _ZL23rocblas_trmm_rTx_kernelILi32ELb1EddKddEv13rocblas_fill_17rocblas_diagonal_iiT2_lPT3_llS5_llPT4_lli.has_recursion, 0
	.set _ZL23rocblas_trmm_rTx_kernelILi32ELb1EddKddEv13rocblas_fill_17rocblas_diagonal_iiT2_lPT3_llS5_llPT4_lli.has_indirect_call, 0
	.section	.AMDGPU.csdata,"",@progbits
; Kernel info:
; codeLenInByte = 1304
; TotalNumSgprs: 36
; NumVgprs: 30
; ScratchSize: 0
; MemoryBound: 0
; FloatMode: 240
; IeeeMode: 1
; LDSByteSize: 16384 bytes/workgroup (compile time only)
; SGPRBlocks: 0
; VGPRBlocks: 1
; NumSGPRsForWavesPerEU: 36
; NumVGPRsForWavesPerEU: 30
; NamedBarCnt: 0
; Occupancy: 16
; WaveLimiterHint : 0
; COMPUTE_PGM_RSRC2:SCRATCH_EN: 0
; COMPUTE_PGM_RSRC2:USER_SGPR: 2
; COMPUTE_PGM_RSRC2:TRAP_HANDLER: 0
; COMPUTE_PGM_RSRC2:TGID_X_EN: 1
; COMPUTE_PGM_RSRC2:TGID_Y_EN: 0
; COMPUTE_PGM_RSRC2:TGID_Z_EN: 1
; COMPUTE_PGM_RSRC2:TIDIG_COMP_CNT: 1
	.section	.text._ZL30rocblas_trmm_outofplace_kernelI19rocblas_complex_numIfELi32ELi2ELb1ELb0ELb0ELb0EPKS1_S2_S1_Ev17rocblas_diagonal_iiT6_lPT7_lllS7_lllPT8_llli,"axG",@progbits,_ZL30rocblas_trmm_outofplace_kernelI19rocblas_complex_numIfELi32ELi2ELb1ELb0ELb0ELb0EPKS1_S2_S1_Ev17rocblas_diagonal_iiT6_lPT7_lllS7_lllPT8_llli,comdat
	.globl	_ZL30rocblas_trmm_outofplace_kernelI19rocblas_complex_numIfELi32ELi2ELb1ELb0ELb0ELb0EPKS1_S2_S1_Ev17rocblas_diagonal_iiT6_lPT7_lllS7_lllPT8_llli ; -- Begin function _ZL30rocblas_trmm_outofplace_kernelI19rocblas_complex_numIfELi32ELi2ELb1ELb0ELb0ELb0EPKS1_S2_S1_Ev17rocblas_diagonal_iiT6_lPT7_lllS7_lllPT8_llli
	.p2align	8
	.type	_ZL30rocblas_trmm_outofplace_kernelI19rocblas_complex_numIfELi32ELi2ELb1ELb0ELb0ELb0EPKS1_S2_S1_Ev17rocblas_diagonal_iiT6_lPT7_lllS7_lllPT8_llli,@function
_ZL30rocblas_trmm_outofplace_kernelI19rocblas_complex_numIfELi32ELi2ELb1ELb0ELb0ELb0EPKS1_S2_S1_Ev17rocblas_diagonal_iiT6_lPT7_lllS7_lllPT8_llli: ; @_ZL30rocblas_trmm_outofplace_kernelI19rocblas_complex_numIfELi32ELi2ELb1ELb0ELb0ELb0EPKS1_S2_S1_Ev17rocblas_diagonal_iiT6_lPT7_lllS7_lllPT8_llli
; %bb.0:
	s_load_b32 s11, s[0:1], 0x80
	s_bfe_u32 s2, ttmp6, 0x40014
	s_lshr_b32 s3, ttmp7, 16
	s_add_co_i32 s2, s2, 1
	s_bfe_u32 s5, ttmp6, 0x40008
	s_mul_i32 s4, s3, s2
	s_getreg_b32 s2, hwreg(HW_REG_IB_STS2, 6, 4)
	s_add_co_i32 s5, s5, s4
	s_cmp_eq_u32 s2, 0
	s_mov_b32 s35, 0
	s_cselect_b32 s34, s3, s5
	s_wait_kmcnt 0x0
	s_cmp_ge_u32 s34, s11
	s_cbranch_scc1 .LBB72_63
; %bb.1:
	s_clause 0x3
	s_load_b96 s[8:10], s[0:1], 0x0
	s_load_b512 s[12:27], s[0:1], 0x10
	s_load_b128 s[28:31], s[0:1], 0x70
	s_load_b256 s[36:43], s[0:1], 0x50
	v_bfe_u32 v20, v0, 10, 10
	v_mov_b32_e32 v21, 0
	v_and_b32_e32 v22, 0x3ff, v0
	s_bfe_u32 s4, ttmp6, 0x4000c
	s_and_b32 s3, ttmp6, 15
	v_dual_lshlrev_b32 v4, 8, v20 :: v_dual_lshlrev_b32 v0, 3, v20
	v_mov_b32_e32 v1, v21
	s_add_co_i32 s4, s4, 1
	s_bfe_u32 s5, ttmp6, 0x40010
	s_mul_i32 s4, ttmp9, s4
	s_and_b32 s6, ttmp7, 0xffff
	v_add_nc_u64_e32 v[0:1], 0x80, v[0:1]
	s_add_co_i32 s5, s5, 1
	s_add_co_i32 s3, s3, s4
	s_bfe_u32 s7, ttmp6, 0x40004
	s_wait_kmcnt 0x0
	s_add_co_i32 s33, s10, -1
	v_mul_u64_e32 v[2:3], s[20:21], v[20:21]
	s_ashr_i32 s44, s33, 31
	s_mul_i32 s5, s6, s5
	s_lshr_b32 s4, s44, 27
	s_add_co_i32 s7, s7, s5
	s_add_co_i32 s33, s33, s4
	s_lshl_b64 s[4:5], s[42:43], 3
	s_ashr_i32 s33, s33, 5
	s_cmp_eq_u32 s2, 0
	v_mul_u64_e32 v[28:29], s[20:21], v[0:1]
	s_cselect_b32 s52, s6, s7
	s_cselect_b32 s2, ttmp9, s3
	s_cmp_le_i32 s52, s33
	v_dual_mov_b32 v23, v21 :: v_dual_lshlrev_b32 v24, 3, v22
	s_cselect_b32 s53, -1, 0
	s_lshl_b32 s54, s2, 5
	v_add_nc_u32_e32 v61, 0x2000, v4
	s_delay_alu instid0(VALU_DEP_2) | instskip(SKIP_2) | instid1(VALU_DEP_1)
	v_dual_add_nc_u32 v26, s54, v22 :: v_dual_add_nc_u32 v63, v24, v4
	s_cmp_gt_i32 s2, -1
	s_add_nc_u64 s[40:41], s[40:41], s[4:5]
	v_dual_add_nc_u32 v65, v61, v24 :: v_dual_ashrrev_i32 v27, 31, v26
	s_cselect_b32 s55, -1, 0
	s_cmp_eq_u32 s8, 0x84
	v_dual_mov_b32 v25, v21 :: v_dual_add_nc_u32 v32, 16, v26
	s_delay_alu instid0(VALU_DEP_2)
	v_add_nc_u64_e32 v[30:31], 16, v[26:27]
	s_cselect_b32 s56, -1, 0
	s_ashr_i32 s43, s9, 31
	s_mov_b32 s42, s9
	s_lshl_b64 s[4:5], s[26:27], 3
	s_lshl_b64 s[6:7], s[18:19], 3
	s_add_nc_u64 s[46:47], s[0:1], 0x88
	v_sub_nc_u64_e32 v[34:35], v[26:27], v[20:21]
	v_cmp_le_i64_e64 s1, s[42:43], v[30:31]
	s_add_nc_u64 s[18:19], s[24:25], s[4:5]
	s_add_nc_u64 s[4:5], s[16:17], s[6:7]
	v_lshlrev_b64_e32 v[38:39], 3, v[2:3]
	v_mov_b64_e32 v[40:41], 0
	v_mov_b64_e32 v[42:43], 0x3f800000
	v_cmp_le_i32_e64 s0, s9, v26
	v_cmp_gt_i32_e64 s2, s9, v26
	v_cmp_gt_i32_e64 s3, s9, v32
	v_ashrrev_i32_e32 v33, 31, v32
	v_lshl_add_u32 v67, s52, 5, v20
	v_lshl_add_u64 v[36:37], v[26:27], 3, s[4:5]
	v_add_nc_u32_e32 v69, 0x800, v24
	v_add_nc_u32_e32 v70, 0x1000, v24
	;; [unrolled: 1-line block ×3, first 2 shown]
	s_ashr_i32 s45, s10, 31
	s_mov_b32 s44, s10
	s_lshl_b64 s[20:21], s[20:21], 8
	s_add_nc_u64 s[48:49], s[42:43], -16
	s_lshl_b64 s[16:17], s[38:39], 3
	s_lshl_b64 s[24:25], s[36:37], 3
	;; [unrolled: 1-line block ×3, first 2 shown]
	s_branch .LBB72_4
.LBB72_2:                               ;   in Loop: Header=BB72_4 Depth=1
	s_add_co_i32 s34, s34, 0x10000
	s_delay_alu instid0(SALU_CYCLE_1)
	s_cmp_ge_u32 s34, s11
	s_cselect_b32 s4, -1, 0
.LBB72_3:                               ;   in Loop: Header=BB72_4 Depth=1
	s_delay_alu instid0(SALU_CYCLE_1)
	s_and_b32 vcc_lo, exec_lo, s4
	s_cbranch_vccnz .LBB72_63
.LBB72_4:                               ; =>This Loop Header: Depth=1
                                        ;     Child Loop BB72_8 Depth 2
                                        ;       Child Loop BB72_11 Depth 3
	s_mul_u64 s[4:5], s[14:15], s[34:35]
	s_delay_alu instid0(SALU_CYCLE_1) | instskip(NEXT) | instid1(SALU_CYCLE_1)
	s_lshl_b64 s[4:5], s[4:5], 3
	s_add_nc_u64 s[4:5], s[12:13], s[4:5]
	global_load_b64 v[44:45], v21, s[4:5]
	s_wait_xcnt 0x0
	s_mov_b32 s4, -1
	s_wait_loadcnt 0x0
	v_or_b32_e32 v0, v44, v45
	s_delay_alu instid0(VALU_DEP_1) | instskip(NEXT) | instid1(VALU_DEP_1)
	v_and_b32_e32 v0, 0x7fffffff, v0
	v_cmp_eq_u32_e32 vcc_lo, 0, v0
	s_cbranch_vccnz .LBB72_3
; %bb.5:                                ;   in Loop: Header=BB72_4 Depth=1
	s_and_not1_b32 vcc_lo, exec_lo, s53
	s_cbranch_vccnz .LBB72_2
; %bb.6:                                ;   in Loop: Header=BB72_4 Depth=1
	s_load_b32 s9, s[46:47], 0x4
	v_mad_nc_u64_u32 v[46:47], s22, s34, v[36:37]
	s_mul_u64 s[6:7], s[30:31], s[34:35]
	v_dual_mov_b32 v48, v45 :: v_dual_mov_b32 v49, v44
	v_mov_b32_e32 v50, v67
	s_mul_u64 s[4:5], s[16:17], s[34:35]
	s_lshl_b64 s[6:7], s[6:7], 3
	s_add_nc_u64 s[26:27], s[18:19], s[4:5]
	s_add_nc_u64 s[38:39], s[40:41], s[6:7]
	s_mov_b32 s58, s52
	s_delay_alu instid0(VALU_DEP_3)
	v_mad_u32 v47, s23, s34, v47
	s_wait_kmcnt 0x0
	s_lshl_b32 s57, s9, 5
	s_branch .LBB72_8
.LBB72_7:                               ;   in Loop: Header=BB72_8 Depth=2
	s_wait_xcnt 0x0
	s_or_b32 exec_lo, exec_lo, s4
	v_add_nc_u32_e32 v50, s57, v50
	s_add_co_i32 s58, s9, s58
	s_delay_alu instid0(SALU_CYCLE_1)
	s_cmp_gt_i32 s58, s33
	s_cbranch_scc1 .LBB72_2
.LBB72_8:                               ;   Parent Loop BB72_4 Depth=1
                                        ; =>  This Loop Header: Depth=2
                                        ;       Child Loop BB72_11 Depth 3
	v_lshl_add_u32 v52, s58, 5, v20
	v_dual_mov_b32 v2, 0 :: v_dual_mov_b32 v68, 0
	v_dual_mov_b32 v0, 0 :: v_dual_mov_b32 v4, 0
	s_delay_alu instid0(VALU_DEP_3)
	v_dual_mov_b32 v64, 0 :: v_dual_ashrrev_i32 v53, 31, v52
	v_dual_mov_b32 v66, 0 :: v_dual_mov_b32 v62, 0
	v_mov_b32_e32 v60, 0
	s_and_not1_b32 vcc_lo, exec_lo, s55
	s_cbranch_vccnz .LBB72_55
; %bb.9:                                ;   in Loop: Header=BB72_8 Depth=2
	v_dual_mov_b32 v60, 0 :: v_dual_ashrrev_i32 v51, 31, v50
	v_mad_nc_u64_u32 v[54:55], s24, v50, s[26:27]
	v_sub_nc_u64_e32 v[2:3], s[44:45], v[52:53]
	v_mov_b64_e32 v[58:59], v[46:47]
	s_delay_alu instid0(VALU_DEP_4) | instskip(SKIP_3) | instid1(VALU_DEP_3)
	v_lshl_add_u64 v[0:1], v[50:51], 3, 0x80
	v_dual_mov_b32 v62, 0 :: v_dual_mov_b32 v66, 0
	v_mov_b32_e32 v64, 0
	s_mov_b64 s[50:51], 0
	v_mad_nc_u64_u32 v[56:57], s36, v0, s[26:27]
	v_cmp_lt_i64_e64 s4, 16, v[2:3]
	v_cmp_lt_i64_e32 vcc_lo, 0, v[2:3]
	v_mad_u32 v4, s25, v50, v55
	v_dual_mov_b32 v2, 0 :: v_dual_mov_b32 v68, 0
	v_mad_u32 v0, s37, v0, v57
	s_delay_alu instid0(VALU_DEP_3) | instskip(SKIP_1) | instid1(VALU_DEP_3)
	v_mad_u32 v55, s24, v51, v4
	v_mov_b32_e32 v4, 0
	v_mad_u32 v57, s36, v1, v0
	v_mov_b32_e32 v0, 0
	s_branch .LBB72_11
.LBB72_10:                              ;   in Loop: Header=BB72_11 Depth=3
	s_wait_xcnt 0x0
	s_or_b32 exec_lo, exec_lo, s5
	s_wait_dscnt 0x0
	s_barrier_signal -1
	s_barrier_wait -1
	ds_load_b128 v[16:19], v61
	ds_load_2addr_b64 v[72:75], v24 offset1:16
	ds_load_b128 v[76:79], v61 offset:4096
	ds_load_b128 v[8:11], v61 offset:16
	ds_load_2addr_b64 v[80:83], v24 offset0:32 offset1:48
	ds_load_b128 v[12:15], v61 offset:4112
	v_add_nc_u64_e32 v[54:55], 0x100, v[54:55]
	v_add_nc_u64_e32 v[58:59], s[20:21], v[58:59]
	;; [unrolled: 1-line block ×3, first 2 shown]
	s_add_nc_u64 s[50:51], s[50:51], 32
	s_delay_alu instid0(SALU_CYCLE_1) | instskip(NEXT) | instid1(SALU_CYCLE_1)
	s_sub_co_i32 s5, s50, 32
	s_cmp_ge_i32 s5, s54
	s_wait_dscnt 0x4
	v_dual_mul_f32 v1, v17, v73 :: v_dual_mul_f32 v3, v16, v73
	v_dual_mul_f32 v5, v17, v75 :: v_dual_mul_f32 v6, v16, v75
	s_wait_dscnt 0x3
	v_dual_mul_f32 v7, v77, v73 :: v_dual_mul_f32 v51, v76, v73
	s_delay_alu instid0(VALU_DEP_3) | instskip(NEXT) | instid1(VALU_DEP_3)
	v_dual_mul_f32 v73, v77, v75 :: v_dual_fma_f32 v1, v16, v72, -v1
	v_dual_fmac_f32 v3, v17, v72 :: v_dual_fma_f32 v5, v16, v74, -v5
	s_delay_alu instid0(VALU_DEP_3) | instskip(NEXT) | instid1(VALU_DEP_3)
	v_dual_fmac_f32 v6, v17, v74 :: v_dual_fma_f32 v16, v76, v72, -v7
	v_dual_fmac_f32 v51, v77, v72 :: v_dual_add_f32 v17, v2, v1
	s_delay_alu instid0(VALU_DEP_4) | instskip(NEXT) | instid1(VALU_DEP_4)
	v_dual_mul_f32 v86, v76, v75 :: v_dual_fma_f32 v72, v76, v74, -v73
	v_add_f32_e32 v68, v68, v3
	s_delay_alu instid0(VALU_DEP_3) | instskip(NEXT) | instid1(VALU_DEP_3)
	v_dual_add_f32 v84, v0, v5 :: v_dual_add_f32 v51, v66, v51
	v_dual_add_f32 v85, v4, v6 :: v_dual_add_f32 v62, v62, v72
	ds_load_b128 v[4:7], v61 offset:32
	ds_load_b128 v[0:3], v61 offset:48
	v_dual_add_f32 v16, v64, v16 :: v_dual_fmac_f32 v86, v77, v74
	s_wait_dscnt 0x3
	v_mul_f32_e32 v64, v19, v81
	ds_load_2addr_b64 v[72:75], v24 offset0:64 offset1:80
	v_dual_mul_f32 v66, v18, v81 :: v_dual_mul_f32 v76, v19, v83
	v_dual_add_f32 v60, v60, v86 :: v_dual_fma_f32 v64, v18, v80, -v64
	s_delay_alu instid0(VALU_DEP_2) | instskip(NEXT) | instid1(VALU_DEP_2)
	v_dual_mul_f32 v77, v18, v83 :: v_dual_fmac_f32 v66, v19, v80
	v_dual_add_f32 v64, v17, v64 :: v_dual_fma_f32 v17, v18, v82, -v76
	s_delay_alu instid0(VALU_DEP_2) | instskip(NEXT) | instid1(VALU_DEP_3)
	v_dual_mul_f32 v18, v79, v81 :: v_dual_add_f32 v66, v68, v66
	v_dual_fmac_f32 v77, v19, v82 :: v_dual_mul_f32 v19, v78, v81
	s_delay_alu instid0(VALU_DEP_2) | instskip(NEXT) | instid1(VALU_DEP_2)
	v_dual_add_f32 v68, v84, v17 :: v_dual_fma_f32 v17, v78, v80, -v18
	v_dual_mul_f32 v18, v79, v83 :: v_dual_add_f32 v76, v85, v77
	s_delay_alu instid0(VALU_DEP_3) | instskip(NEXT) | instid1(VALU_DEP_2)
	v_dual_fmac_f32 v19, v79, v80 :: v_dual_mul_f32 v77, v78, v83
	v_dual_add_f32 v80, v16, v17 :: v_dual_fma_f32 v16, v78, v82, -v18
	s_wait_dscnt 0x0
	s_delay_alu instid0(VALU_DEP_2) | instskip(NEXT) | instid1(VALU_DEP_3)
	v_dual_mul_f32 v17, v9, v73 :: v_dual_add_f32 v51, v51, v19
	v_dual_fmac_f32 v77, v79, v82 :: v_dual_mul_f32 v78, v8, v73
	s_delay_alu instid0(VALU_DEP_3) | instskip(NEXT) | instid1(VALU_DEP_3)
	v_dual_add_f32 v62, v62, v16 :: v_dual_mul_f32 v81, v9, v75
	v_fma_f32 v79, v8, v72, -v17
	ds_load_2addr_b64 v[16:19], v24 offset0:96 offset1:112
	v_dual_fmac_f32 v78, v9, v72 :: v_dual_add_f32 v60, v60, v77
	v_dual_mul_f32 v77, v8, v75 :: v_dual_fma_f32 v8, v8, v74, -v81
	s_delay_alu instid0(VALU_DEP_2) | instskip(SKIP_1) | instid1(VALU_DEP_3)
	v_dual_add_f32 v64, v64, v79 :: v_dual_add_f32 v66, v66, v78
	v_dual_mul_f32 v78, v13, v73 :: v_dual_mul_f32 v73, v12, v73
	v_dual_fmac_f32 v77, v9, v74 :: v_dual_add_f32 v8, v68, v8
	s_delay_alu instid0(VALU_DEP_2) | instskip(NEXT) | instid1(VALU_DEP_3)
	v_dual_mul_f32 v9, v13, v75 :: v_dual_fma_f32 v68, v12, v72, -v78
	v_dual_fmac_f32 v73, v13, v72 :: v_dual_mul_f32 v78, v12, v75
	s_delay_alu instid0(VALU_DEP_2) | instskip(NEXT) | instid1(VALU_DEP_4)
	v_fma_f32 v9, v12, v74, -v9
	v_add_f32_e32 v76, v76, v77
	s_delay_alu instid0(VALU_DEP_3)
	v_dual_add_f32 v12, v80, v68 :: v_dual_add_f32 v51, v51, v73
	s_wait_dscnt 0x0
	v_dual_fmac_f32 v78, v13, v74 :: v_dual_mul_f32 v13, v11, v17
	ds_load_2addr_b64 v[72:75], v24 offset0:128 offset1:144
	v_dual_add_f32 v9, v62, v9 :: v_dual_mul_f32 v68, v11, v19
	v_dual_mul_f32 v62, v10, v17 :: v_dual_fma_f32 v13, v10, v16, -v13
	v_dual_add_f32 v60, v60, v78 :: v_dual_mul_f32 v77, v10, v19
	s_delay_alu instid0(VALU_DEP_2) | instskip(NEXT) | instid1(VALU_DEP_3)
	v_dual_fma_f32 v10, v10, v18, -v68 :: v_dual_fmac_f32 v62, v11, v16
	v_add_f32_e32 v64, v64, v13
	v_mul_f32_e32 v13, v15, v17
	s_delay_alu instid0(VALU_DEP_4) | instskip(NEXT) | instid1(VALU_DEP_4)
	v_fmac_f32_e32 v77, v11, v18
	v_add_f32_e32 v11, v66, v62
	s_delay_alu instid0(VALU_DEP_3) | instskip(SKIP_1) | instid1(VALU_DEP_4)
	v_dual_add_f32 v62, v8, v10 :: v_dual_fma_f32 v10, v14, v16, -v13
	v_mul_f32_e32 v8, v14, v17
	v_dual_add_f32 v17, v76, v77 :: v_dual_mul_f32 v13, v15, v19
	ds_load_b128 v[76:79], v61 offset:4128
	v_dual_fmac_f32 v8, v15, v16 :: v_dual_add_f32 v16, v12, v10
	v_dual_mul_f32 v10, v14, v19 :: v_dual_fma_f32 v12, v14, v18, -v13
	s_wait_dscnt 0x1
	s_delay_alu instid0(VALU_DEP_2) | instskip(NEXT) | instid1(VALU_DEP_2)
	v_dual_mul_f32 v13, v5, v73 :: v_dual_add_f32 v19, v51, v8
	v_dual_mul_f32 v8, v4, v73 :: v_dual_fmac_f32 v10, v15, v18
	s_delay_alu instid0(VALU_DEP_3) | instskip(NEXT) | instid1(VALU_DEP_3)
	v_add_f32_e32 v18, v9, v12
	v_fma_f32 v9, v4, v72, -v13
	ds_load_2addr_b64 v[12:15], v24 offset0:160 offset1:176
	v_dual_fmac_f32 v8, v5, v72 :: v_dual_mul_f32 v51, v5, v75
	v_add_f32_e32 v60, v60, v10
	v_add_f32_e32 v64, v64, v9
	s_delay_alu instid0(VALU_DEP_3) | instskip(SKIP_4) | instid1(VALU_DEP_2)
	v_dual_mul_f32 v66, v4, v75 :: v_dual_add_f32 v68, v11, v8
	ds_load_b128 v[8:11], v61 offset:4144
	s_wait_dscnt 0x2
	v_dual_fma_f32 v4, v4, v74, -v51 :: v_dual_mul_f32 v51, v77, v73
	v_dual_fmac_f32 v66, v5, v74 :: v_dual_mul_f32 v5, v76, v73
	v_dual_add_f32 v4, v62, v4 :: v_dual_mul_f32 v62, v77, v75
	s_delay_alu instid0(VALU_DEP_2) | instskip(NEXT) | instid1(VALU_DEP_3)
	v_dual_fma_f32 v51, v76, v72, -v51 :: v_dual_add_f32 v17, v17, v66
	v_dual_fmac_f32 v5, v77, v72 :: v_dual_mul_f32 v66, v76, v75
	s_delay_alu instid0(VALU_DEP_3) | instskip(SKIP_1) | instid1(VALU_DEP_3)
	v_fma_f32 v62, v76, v74, -v62
	s_wait_dscnt 0x1
	v_dual_add_f32 v16, v16, v51 :: v_dual_mul_f32 v51, v7, v13
	s_delay_alu instid0(VALU_DEP_3) | instskip(NEXT) | instid1(VALU_DEP_3)
	v_dual_add_f32 v5, v19, v5 :: v_dual_fmac_f32 v66, v77, v74
	v_add_f32_e32 v62, v18, v62
	s_delay_alu instid0(VALU_DEP_3) | instskip(SKIP_3) | instid1(VALU_DEP_2)
	v_dual_mul_f32 v18, v6, v13 :: v_dual_fma_f32 v19, v6, v12, -v51
	ds_load_2addr_b64 v[72:75], v24 offset0:192 offset1:208
	v_dual_mul_f32 v51, v7, v15 :: v_dual_add_f32 v60, v60, v66
	v_dual_fmac_f32 v18, v7, v12 :: v_dual_add_f32 v64, v64, v19
	v_dual_mul_f32 v19, v6, v15 :: v_dual_fma_f32 v6, v6, v14, -v51
	v_dual_mul_f32 v51, v79, v13 :: v_dual_mul_f32 v13, v78, v13
	s_delay_alu instid0(VALU_DEP_3) | instskip(NEXT) | instid1(VALU_DEP_3)
	v_add_f32_e32 v66, v68, v18
	v_fmac_f32_e32 v19, v7, v14
	s_delay_alu instid0(VALU_DEP_3) | instskip(NEXT) | instid1(VALU_DEP_4)
	v_dual_add_f32 v4, v4, v6 :: v_dual_fma_f32 v6, v78, v12, -v51
	v_dual_fmac_f32 v13, v79, v12 :: v_dual_mul_f32 v7, v79, v15
	s_delay_alu instid0(VALU_DEP_2) | instskip(NEXT) | instid1(VALU_DEP_2)
	v_dual_mul_f32 v15, v78, v15 :: v_dual_add_f32 v6, v16, v6
	v_dual_add_f32 v12, v17, v19 :: v_dual_fma_f32 v7, v78, v14, -v7
	ds_load_2addr_b64 v[16:19], v24 offset0:224 offset1:240
	v_dual_add_f32 v5, v5, v13 :: v_dual_fmac_f32 v15, v79, v14
	s_wait_dscnt 0x1
	v_dual_mul_f32 v13, v1, v73 :: v_dual_mul_f32 v14, v0, v73
	v_mul_f32_e32 v51, v1, v75
	s_delay_alu instid0(VALU_DEP_2) | instskip(NEXT) | instid1(VALU_DEP_3)
	v_dual_add_f32 v7, v62, v7 :: v_dual_fma_f32 v13, v0, v72, -v13
	v_dual_fmac_f32 v14, v1, v72 :: v_dual_mul_f32 v62, v0, v75
	s_delay_alu instid0(VALU_DEP_3) | instskip(SKIP_1) | instid1(VALU_DEP_4)
	v_fma_f32 v0, v0, v74, -v51
	v_add_f32_e32 v60, v60, v15
	v_add_f32_e32 v64, v64, v13
	s_delay_alu instid0(VALU_DEP_4) | instskip(NEXT) | instid1(VALU_DEP_4)
	v_dual_mul_f32 v13, v8, v73 :: v_dual_fmac_f32 v62, v1, v74
	v_dual_mul_f32 v1, v9, v73 :: v_dual_add_f32 v0, v4, v0
	v_dual_mul_f32 v4, v9, v75 :: v_dual_add_f32 v51, v66, v14
	s_delay_alu instid0(VALU_DEP_3) | instskip(NEXT) | instid1(VALU_DEP_3)
	v_dual_add_f32 v62, v12, v62 :: v_dual_fmac_f32 v13, v9, v72
	v_dual_fma_f32 v1, v8, v72, -v1 :: v_dual_mul_f32 v66, v8, v75
	s_wait_dscnt 0x0
	s_delay_alu instid0(VALU_DEP_3) | instskip(NEXT) | instid1(VALU_DEP_3)
	v_dual_fma_f32 v4, v8, v74, -v4 :: v_dual_mul_f32 v8, v3, v17
	v_add_f32_e32 v68, v5, v13
	s_delay_alu instid0(VALU_DEP_3) | instskip(NEXT) | instid1(VALU_DEP_3)
	v_dual_add_f32 v1, v6, v1 :: v_dual_fmac_f32 v66, v9, v74
	v_add_f32_e32 v9, v7, v4
	s_delay_alu instid0(VALU_DEP_4) | instskip(NEXT) | instid1(VALU_DEP_3)
	v_dual_fma_f32 v4, v2, v16, -v8 :: v_dual_mul_f32 v5, v2, v17
	v_dual_mul_f32 v6, v3, v19 :: v_dual_add_f32 v60, v60, v66
	ds_load_b128 v[12:15], v61 offset:64
	ds_load_2addr_b64 v[72:75], v69 offset1:16
	v_dual_mul_f32 v7, v2, v19 :: v_dual_fmac_f32 v5, v3, v16
	v_dual_add_f32 v64, v64, v4 :: v_dual_fma_f32 v2, v2, v18, -v6
	v_mul_f32_e32 v4, v11, v17
	s_delay_alu instid0(VALU_DEP_3) | instskip(NEXT) | instid1(VALU_DEP_4)
	v_fmac_f32_e32 v7, v3, v18
	v_add_f32_e32 v51, v51, v5
	s_delay_alu instid0(VALU_DEP_4) | instskip(NEXT) | instid1(VALU_DEP_4)
	v_dual_mul_f32 v3, v10, v17 :: v_dual_add_f32 v17, v0, v2
	v_dual_fma_f32 v0, v10, v16, -v4 :: v_dual_mul_f32 v2, v11, v19
	ds_load_b128 v[76:79], v61 offset:4160
	v_dual_add_f32 v62, v62, v7 :: v_dual_fmac_f32 v3, v11, v16
	v_dual_add_f32 v16, v1, v0 :: v_dual_fma_f32 v0, v10, v18, -v2
	v_mul_f32_e32 v1, v10, v19
	ds_load_b128 v[4:7], v61 offset:80
	s_wait_dscnt 0x2
	v_dual_add_f32 v19, v68, v3 :: v_dual_mul_f32 v2, v13, v73
	v_dual_mul_f32 v3, v12, v73 :: v_dual_fmac_f32 v1, v11, v18
	v_add_f32_e32 v18, v9, v0
	ds_load_2addr_b64 v[8:11], v69 offset0:32 offset1:48
	v_dual_fma_f32 v0, v12, v72, -v2 :: v_dual_fmac_f32 v3, v13, v72
	v_dual_mul_f32 v2, v13, v75 :: v_dual_add_f32 v60, v60, v1
	s_delay_alu instid0(VALU_DEP_2) | instskip(NEXT) | instid1(VALU_DEP_2)
	v_add_f32_e32 v64, v64, v0
	v_dual_mul_f32 v66, v12, v75 :: v_dual_fma_f32 v12, v12, v74, -v2
	s_wait_dscnt 0x2
	v_dual_add_f32 v51, v51, v3 :: v_dual_mul_f32 v68, v77, v73
	ds_load_b128 v[0:3], v61 offset:4176
	v_dual_fmac_f32 v66, v13, v74 :: v_dual_mul_f32 v13, v76, v73
	v_add_f32_e32 v12, v17, v12
	v_dual_mul_f32 v17, v77, v75 :: v_dual_fma_f32 v68, v76, v72, -v68
	s_delay_alu instid0(VALU_DEP_3) | instskip(NEXT) | instid1(VALU_DEP_2)
	v_dual_add_f32 v62, v62, v66 :: v_dual_fmac_f32 v13, v77, v72
	v_dual_mul_f32 v66, v76, v75 :: v_dual_fma_f32 v17, v76, v74, -v17
	s_wait_dscnt 0x1
	s_delay_alu instid0(VALU_DEP_3) | instskip(NEXT) | instid1(VALU_DEP_2)
	v_dual_add_f32 v68, v16, v68 :: v_dual_mul_f32 v16, v15, v9
	v_dual_add_f32 v13, v19, v13 :: v_dual_fmac_f32 v66, v77, v74
	s_delay_alu instid0(VALU_DEP_3) | instskip(NEXT) | instid1(VALU_DEP_3)
	v_add_f32_e32 v72, v18, v17
	v_dual_mul_f32 v73, v14, v9 :: v_dual_fma_f32 v74, v14, v8, -v16
	ds_load_2addr_b64 v[16:19], v69 offset0:64 offset1:80
	v_dual_mul_f32 v75, v15, v11 :: v_dual_add_f32 v60, v60, v66
	v_dual_fmac_f32 v73, v15, v8 :: v_dual_add_f32 v64, v64, v74
	s_delay_alu instid0(VALU_DEP_2) | instskip(SKIP_1) | instid1(VALU_DEP_3)
	v_dual_mul_f32 v66, v14, v11 :: v_dual_fma_f32 v14, v14, v10, -v75
	v_dual_mul_f32 v74, v79, v9 :: v_dual_mul_f32 v9, v78, v9
	v_add_f32_e32 v51, v51, v73
	s_delay_alu instid0(VALU_DEP_3) | instskip(NEXT) | instid1(VALU_DEP_3)
	v_fmac_f32_e32 v66, v15, v10
	v_dual_add_f32 v73, v12, v14 :: v_dual_fma_f32 v12, v78, v8, -v74
	s_delay_alu instid0(VALU_DEP_4) | instskip(SKIP_1) | instid1(VALU_DEP_3)
	v_dual_fmac_f32 v9, v79, v8 :: v_dual_mul_f32 v8, v79, v11
	v_mul_f32_e32 v11, v78, v11
	v_dual_add_f32 v62, v62, v66 :: v_dual_add_f32 v66, v68, v12
	s_delay_alu instid0(VALU_DEP_3) | instskip(SKIP_4) | instid1(VALU_DEP_2)
	v_add_f32_e32 v9, v13, v9
	ds_load_2addr_b64 v[12:15], v69 offset0:96 offset1:112
	s_wait_dscnt 0x1
	v_dual_fma_f32 v8, v78, v10, -v8 :: v_dual_mul_f32 v68, v5, v17
	v_dual_fmac_f32 v11, v79, v10 :: v_dual_mul_f32 v10, v4, v17
	v_dual_add_f32 v8, v72, v8 :: v_dual_mul_f32 v72, v5, v19
	s_delay_alu instid0(VALU_DEP_2) | instskip(SKIP_1) | instid1(VALU_DEP_4)
	v_dual_fma_f32 v68, v4, v16, -v68 :: v_dual_fmac_f32 v10, v5, v16
	v_mul_f32_e32 v74, v4, v19
	v_add_f32_e32 v60, v60, v11
	s_delay_alu instid0(VALU_DEP_4) | instskip(NEXT) | instid1(VALU_DEP_4)
	v_fma_f32 v4, v4, v18, -v72
	v_dual_add_f32 v64, v64, v68 :: v_dual_add_f32 v51, v51, v10
	s_delay_alu instid0(VALU_DEP_4) | instskip(SKIP_2) | instid1(VALU_DEP_3)
	v_fmac_f32_e32 v74, v5, v18
	v_dual_mul_f32 v5, v1, v17 :: v_dual_mul_f32 v10, v0, v17
	v_dual_mul_f32 v11, v1, v19 :: v_dual_mul_f32 v68, v0, v19
	v_dual_add_f32 v4, v73, v4 :: v_dual_add_f32 v62, v62, v74
	s_delay_alu instid0(VALU_DEP_3) | instskip(SKIP_1) | instid1(VALU_DEP_3)
	v_dual_fma_f32 v5, v0, v16, -v5 :: v_dual_fmac_f32 v10, v1, v16
	s_wait_dscnt 0x0
	v_dual_fma_f32 v0, v0, v18, -v11 :: v_dual_mul_f32 v11, v7, v13
	s_delay_alu instid0(VALU_DEP_2) | instskip(NEXT) | instid1(VALU_DEP_2)
	v_dual_fmac_f32 v68, v1, v18 :: v_dual_add_f32 v5, v66, v5
	v_dual_add_f32 v66, v9, v10 :: v_dual_add_f32 v0, v8, v0
	s_delay_alu instid0(VALU_DEP_3) | instskip(SKIP_4) | instid1(VALU_DEP_2)
	v_dual_fma_f32 v1, v6, v12, -v11 :: v_dual_mul_f32 v72, v6, v13
	ds_load_b128 v[8:11], v61 offset:96
	ds_load_2addr_b64 v[16:19], v69 offset0:128 offset1:144
	v_dual_mul_f32 v73, v7, v15 :: v_dual_add_f32 v60, v60, v68
	v_dual_mul_f32 v68, v6, v15 :: v_dual_fmac_f32 v72, v7, v12
	v_dual_add_f32 v1, v64, v1 :: v_dual_fma_f32 v6, v6, v14, -v73
	v_dual_mul_f32 v64, v3, v13 :: v_dual_mul_f32 v13, v2, v13
	s_delay_alu instid0(VALU_DEP_3)
	v_add_f32_e32 v51, v51, v72
	ds_load_b128 v[72:75], v61 offset:4192
	v_dual_add_f32 v76, v4, v6 :: v_dual_fma_f32 v4, v2, v12, -v64
	v_mul_f32_e32 v6, v3, v15
	v_fmac_f32_e32 v68, v7, v14
	v_fmac_f32_e32 v13, v3, v12
	s_delay_alu instid0(VALU_DEP_3) | instskip(NEXT) | instid1(VALU_DEP_3)
	v_dual_add_f32 v64, v5, v4 :: v_dual_fma_f32 v12, v2, v14, -v6
	v_add_f32_e32 v62, v62, v68
	s_wait_dscnt 0x1
	v_dual_mul_f32 v2, v2, v15 :: v_dual_mul_f32 v68, v8, v17
	v_mul_f32_e32 v15, v9, v17
	v_dual_add_f32 v66, v66, v13 :: v_dual_add_f32 v77, v0, v12
	s_delay_alu instid0(VALU_DEP_3) | instskip(NEXT) | instid1(VALU_DEP_3)
	v_dual_fmac_f32 v2, v3, v14 :: v_dual_mul_f32 v3, v9, v19
	v_dual_fma_f32 v0, v8, v16, -v15 :: v_dual_fmac_f32 v68, v9, v16
	ds_load_2addr_b64 v[12:15], v69 offset0:160 offset1:176
	ds_load_b128 v[4:7], v61 offset:112
	v_dual_mul_f32 v79, v8, v19 :: v_dual_fma_f32 v8, v8, v18, -v3
	s_wait_dscnt 0x2
	v_dual_add_f32 v51, v51, v68 :: v_dual_mul_f32 v68, v73, v17
	v_dual_add_f32 v60, v60, v2 :: v_dual_add_f32 v78, v1, v0
	s_delay_alu instid0(VALU_DEP_3) | instskip(SKIP_1) | instid1(VALU_DEP_2)
	v_dual_fmac_f32 v79, v9, v18 :: v_dual_mul_f32 v9, v72, v17
	v_dual_add_f32 v8, v76, v8 :: v_dual_mul_f32 v17, v73, v19
	v_dual_fma_f32 v68, v72, v16, -v68 :: v_dual_add_f32 v62, v62, v79
	s_delay_alu instid0(VALU_DEP_3) | instskip(NEXT) | instid1(VALU_DEP_3)
	v_dual_fmac_f32 v9, v73, v16 :: v_dual_mul_f32 v76, v72, v19
	v_fma_f32 v16, v72, v18, -v17
	s_delay_alu instid0(VALU_DEP_3)
	v_add_f32_e32 v64, v64, v68
	ds_load_b128 v[0:3], v61 offset:4208
	v_add_f32_e32 v9, v66, v9
	s_wait_dscnt 0x2
	v_dual_mul_f32 v17, v11, v13 :: v_dual_fmac_f32 v76, v73, v18
	v_dual_mul_f32 v68, v10, v13 :: v_dual_add_f32 v66, v77, v16
	s_delay_alu instid0(VALU_DEP_2)
	v_dual_mul_f32 v73, v11, v15 :: v_dual_fma_f32 v72, v10, v12, -v17
	ds_load_2addr_b64 v[16:19], v69 offset0:192 offset1:208
	v_dual_add_f32 v60, v60, v76 :: v_dual_mul_f32 v76, v10, v15
	v_fmac_f32_e32 v68, v11, v12
	v_add_f32_e32 v72, v78, v72
	v_dual_fma_f32 v10, v10, v14, -v73 :: v_dual_mul_f32 v73, v75, v13
	s_delay_alu instid0(VALU_DEP_4) | instskip(NEXT) | instid1(VALU_DEP_4)
	v_dual_mul_f32 v13, v74, v13 :: v_dual_fmac_f32 v76, v11, v14
	v_add_f32_e32 v51, v51, v68
	s_delay_alu instid0(VALU_DEP_3) | instskip(NEXT) | instid1(VALU_DEP_4)
	v_dual_mul_f32 v11, v75, v15 :: v_dual_add_f32 v8, v8, v10
	v_fma_f32 v10, v74, v12, -v73
	s_delay_alu instid0(VALU_DEP_4) | instskip(NEXT) | instid1(VALU_DEP_3)
	v_dual_fmac_f32 v13, v75, v12 :: v_dual_mul_f32 v68, v74, v15
	v_fma_f32 v11, v74, v14, -v11
	s_delay_alu instid0(VALU_DEP_3) | instskip(NEXT) | instid1(VALU_DEP_3)
	v_dual_add_f32 v62, v62, v76 :: v_dual_add_f32 v10, v64, v10
	v_dual_add_f32 v9, v9, v13 :: v_dual_fmac_f32 v68, v75, v14
	s_wait_dscnt 0x0
	v_mul_f32_e32 v73, v4, v17
	ds_load_2addr_b64 v[12:15], v69 offset0:224 offset1:240
	v_dual_mul_f32 v64, v5, v17 :: v_dual_add_f32 v11, v66, v11
	v_dual_mul_f32 v66, v5, v19 :: v_dual_fmac_f32 v73, v5, v16
	s_delay_alu instid0(VALU_DEP_2) | instskip(SKIP_1) | instid1(VALU_DEP_3)
	v_dual_mul_f32 v74, v4, v19 :: v_dual_fma_f32 v64, v4, v16, -v64
	v_add_f32_e32 v60, v60, v68
	v_fma_f32 v4, v4, v18, -v66
	s_delay_alu instid0(VALU_DEP_3) | instskip(NEXT) | instid1(VALU_DEP_4)
	v_dual_mul_f32 v66, v0, v19 :: v_dual_fmac_f32 v74, v5, v18
	v_dual_add_f32 v64, v72, v64 :: v_dual_mul_f32 v5, v1, v17
	v_mul_f32_e32 v17, v0, v17
	s_delay_alu instid0(VALU_DEP_4) | instskip(NEXT) | instid1(VALU_DEP_3)
	v_dual_add_f32 v4, v8, v4 :: v_dual_mul_f32 v8, v1, v19
	v_dual_add_f32 v62, v62, v74 :: v_dual_fma_f32 v5, v0, v16, -v5
	s_delay_alu instid0(VALU_DEP_3) | instskip(SKIP_1) | instid1(VALU_DEP_3)
	v_dual_fmac_f32 v17, v1, v16 :: v_dual_fmac_f32 v66, v1, v18
	s_wait_dscnt 0x0
	v_dual_fma_f32 v0, v0, v18, -v8 :: v_dual_mul_f32 v8, v7, v13
	s_delay_alu instid0(VALU_DEP_3) | instskip(NEXT) | instid1(VALU_DEP_3)
	v_add_f32_e32 v5, v10, v5
	v_add_f32_e32 v68, v9, v17
	;; [unrolled: 1-line block ×3, first 2 shown]
	s_delay_alu instid0(VALU_DEP_4)
	v_add_f32_e32 v0, v11, v0
	v_dual_fma_f32 v1, v6, v12, -v8 :: v_dual_mul_f32 v72, v6, v13
	ds_load_b128 v[8:11], v61 offset:128
	ds_load_2addr_b64 v[16:19], v70 offset1:16
	v_dual_mul_f32 v73, v7, v15 :: v_dual_add_f32 v60, v60, v66
	v_dual_mul_f32 v66, v6, v15 :: v_dual_fmac_f32 v72, v7, v12
	s_delay_alu instid0(VALU_DEP_2) | instskip(SKIP_1) | instid1(VALU_DEP_3)
	v_dual_add_f32 v1, v64, v1 :: v_dual_fma_f32 v6, v6, v14, -v73
	v_dual_mul_f32 v64, v3, v13 :: v_dual_mul_f32 v13, v2, v13
	v_add_f32_e32 v51, v51, v72
	s_delay_alu instid0(VALU_DEP_4) | instskip(NEXT) | instid1(VALU_DEP_3)
	v_fmac_f32_e32 v66, v7, v14
	v_dual_add_f32 v76, v4, v6 :: v_dual_fma_f32 v4, v2, v12, -v64
	v_mul_f32_e32 v6, v3, v15
	ds_load_b128 v[72:75], v61 offset:4224
	v_dual_add_f32 v62, v62, v66 :: v_dual_fmac_f32 v13, v3, v12
	v_dual_add_f32 v64, v5, v4 :: v_dual_fma_f32 v12, v2, v14, -v6
	s_wait_dscnt 0x1
	v_dual_mul_f32 v2, v2, v15 :: v_dual_mul_f32 v15, v9, v17
	s_delay_alu instid0(VALU_DEP_3) | instskip(SKIP_1) | instid1(VALU_DEP_3)
	v_add_f32_e32 v66, v68, v13
	v_mul_f32_e32 v68, v8, v17
	v_dual_add_f32 v77, v0, v12 :: v_dual_fmac_f32 v2, v3, v14
	s_delay_alu instid0(VALU_DEP_4)
	v_fma_f32 v0, v8, v16, -v15
	ds_load_2addr_b64 v[12:15], v70 offset0:32 offset1:48
	v_mul_f32_e32 v3, v9, v19
	ds_load_b128 v[4:7], v61 offset:144
	v_dual_fmac_f32 v68, v9, v16 :: v_dual_mul_f32 v79, v8, v19
	v_dual_add_f32 v60, v60, v2 :: v_dual_add_f32 v78, v1, v0
	s_delay_alu instid0(VALU_DEP_2) | instskip(SKIP_3) | instid1(VALU_DEP_3)
	v_dual_fma_f32 v8, v8, v18, -v3 :: v_dual_add_f32 v51, v51, v68
	s_wait_dscnt 0x2
	v_mul_f32_e32 v68, v73, v17
	v_dual_fmac_f32 v79, v9, v18 :: v_dual_mul_f32 v9, v72, v17
	v_dual_add_f32 v8, v76, v8 :: v_dual_mul_f32 v17, v73, v19
	s_delay_alu instid0(VALU_DEP_2) | instskip(NEXT) | instid1(VALU_DEP_3)
	v_dual_fma_f32 v68, v72, v16, -v68 :: v_dual_add_f32 v62, v62, v79
	v_dual_fmac_f32 v9, v73, v16 :: v_dual_mul_f32 v76, v72, v19
	s_delay_alu instid0(VALU_DEP_3) | instskip(SKIP_1) | instid1(VALU_DEP_3)
	v_fma_f32 v16, v72, v18, -v17
	s_wait_dscnt 0x1
	v_dual_add_f32 v64, v64, v68 :: v_dual_mul_f32 v17, v11, v13
	s_delay_alu instid0(VALU_DEP_3) | instskip(NEXT) | instid1(VALU_DEP_3)
	v_dual_add_f32 v9, v66, v9 :: v_dual_fmac_f32 v76, v73, v18
	v_dual_mul_f32 v68, v10, v13 :: v_dual_add_f32 v66, v77, v16
	s_delay_alu instid0(VALU_DEP_3)
	v_dual_mul_f32 v73, v11, v15 :: v_dual_fma_f32 v72, v10, v12, -v17
	ds_load_2addr_b64 v[16:19], v70 offset0:64 offset1:80
	v_dual_add_f32 v60, v60, v76 :: v_dual_mul_f32 v76, v10, v15
	v_fmac_f32_e32 v68, v11, v12
	v_add_f32_e32 v72, v78, v72
	v_dual_fma_f32 v10, v10, v14, -v73 :: v_dual_mul_f32 v73, v75, v13
	s_delay_alu instid0(VALU_DEP_4) | instskip(SKIP_4) | instid1(VALU_DEP_2)
	v_dual_mul_f32 v13, v74, v13 :: v_dual_fmac_f32 v76, v11, v14
	ds_load_b128 v[0:3], v61 offset:4240
	v_add_f32_e32 v51, v51, v68
	v_dual_mul_f32 v11, v75, v15 :: v_dual_fmac_f32 v13, v75, v12
	v_dual_mul_f32 v68, v74, v15 :: v_dual_add_f32 v8, v8, v10
	v_dual_fma_f32 v10, v74, v12, -v73 :: v_dual_fma_f32 v11, v74, v14, -v11
	s_delay_alu instid0(VALU_DEP_2)
	v_dual_add_f32 v9, v9, v13 :: v_dual_fmac_f32 v68, v75, v14
	ds_load_2addr_b64 v[12:15], v70 offset0:96 offset1:112
	v_dual_add_f32 v62, v62, v76 :: v_dual_add_f32 v10, v64, v10
	s_wait_dscnt 0x2
	v_dual_mul_f32 v64, v5, v17 :: v_dual_mul_f32 v73, v4, v17
	v_add_f32_e32 v11, v66, v11
	s_delay_alu instid0(VALU_DEP_2) | instskip(NEXT) | instid1(VALU_DEP_3)
	v_dual_mul_f32 v66, v5, v19 :: v_dual_fma_f32 v64, v4, v16, -v64
	v_dual_fmac_f32 v73, v5, v16 :: v_dual_mul_f32 v74, v4, v19
	s_delay_alu instid0(VALU_DEP_2)
	v_fma_f32 v4, v4, v18, -v66
	s_wait_dscnt 0x1
	v_mul_f32_e32 v66, v0, v19
	v_add_f32_e32 v64, v72, v64
	v_dual_add_f32 v60, v60, v68 :: v_dual_add_f32 v51, v51, v73
	v_fmac_f32_e32 v74, v5, v18
	v_dual_mul_f32 v5, v1, v17 :: v_dual_mul_f32 v17, v0, v17
	v_dual_add_f32 v4, v8, v4 :: v_dual_mul_f32 v8, v1, v19
	s_delay_alu instid0(VALU_DEP_2) | instskip(NEXT) | instid1(VALU_DEP_3)
	v_dual_add_f32 v62, v62, v74 :: v_dual_fma_f32 v5, v0, v16, -v5
	v_dual_fmac_f32 v17, v1, v16 :: v_dual_fmac_f32 v66, v1, v18
	s_wait_dscnt 0x0
	s_delay_alu instid0(VALU_DEP_3) | instskip(NEXT) | instid1(VALU_DEP_3)
	v_dual_fma_f32 v0, v0, v18, -v8 :: v_dual_mul_f32 v8, v7, v13
	v_add_f32_e32 v5, v10, v5
	s_delay_alu instid0(VALU_DEP_3) | instskip(NEXT) | instid1(VALU_DEP_3)
	v_add_f32_e32 v68, v9, v17
	v_dual_mul_f32 v72, v6, v13 :: v_dual_add_f32 v0, v11, v0
	s_delay_alu instid0(VALU_DEP_4) | instskip(SKIP_4) | instid1(VALU_DEP_2)
	v_fma_f32 v1, v6, v12, -v8
	ds_load_b128 v[8:11], v61 offset:160
	ds_load_2addr_b64 v[16:19], v70 offset0:128 offset1:144
	v_dual_mul_f32 v73, v7, v15 :: v_dual_add_f32 v60, v60, v66
	v_dual_fmac_f32 v72, v7, v12 :: v_dual_mul_f32 v66, v6, v15
	v_dual_add_f32 v1, v64, v1 :: v_dual_fma_f32 v6, v6, v14, -v73
	v_dual_mul_f32 v64, v3, v13 :: v_dual_mul_f32 v13, v2, v13
	s_delay_alu instid0(VALU_DEP_3) | instskip(NEXT) | instid1(VALU_DEP_4)
	v_add_f32_e32 v51, v51, v72
	v_fmac_f32_e32 v66, v7, v14
	s_delay_alu instid0(VALU_DEP_3)
	v_dual_add_f32 v76, v4, v6 :: v_dual_fma_f32 v4, v2, v12, -v64
	v_mul_f32_e32 v6, v3, v15
	ds_load_b128 v[72:75], v61 offset:4256
	v_dual_add_f32 v62, v62, v66 :: v_dual_fmac_f32 v13, v3, v12
	v_dual_add_f32 v64, v5, v4 :: v_dual_fma_f32 v12, v2, v14, -v6
	s_wait_dscnt 0x1
	v_dual_mul_f32 v2, v2, v15 :: v_dual_mul_f32 v15, v9, v17
	s_delay_alu instid0(VALU_DEP_3) | instskip(SKIP_1) | instid1(VALU_DEP_3)
	v_add_f32_e32 v66, v68, v13
	v_mul_f32_e32 v68, v8, v17
	v_dual_add_f32 v77, v0, v12 :: v_dual_fmac_f32 v2, v3, v14
	s_delay_alu instid0(VALU_DEP_4)
	v_fma_f32 v0, v8, v16, -v15
	ds_load_2addr_b64 v[12:15], v70 offset0:160 offset1:176
	v_mul_f32_e32 v3, v9, v19
	ds_load_b128 v[4:7], v61 offset:176
	v_dual_fmac_f32 v68, v9, v16 :: v_dual_mul_f32 v79, v8, v19
	v_dual_add_f32 v60, v60, v2 :: v_dual_add_f32 v78, v1, v0
	s_delay_alu instid0(VALU_DEP_2) | instskip(SKIP_3) | instid1(VALU_DEP_3)
	v_dual_fma_f32 v8, v8, v18, -v3 :: v_dual_add_f32 v51, v51, v68
	s_wait_dscnt 0x2
	v_mul_f32_e32 v68, v73, v17
	v_dual_fmac_f32 v79, v9, v18 :: v_dual_mul_f32 v9, v72, v17
	v_dual_add_f32 v8, v76, v8 :: v_dual_mul_f32 v17, v73, v19
	s_delay_alu instid0(VALU_DEP_2) | instskip(NEXT) | instid1(VALU_DEP_3)
	v_dual_fma_f32 v68, v72, v16, -v68 :: v_dual_add_f32 v62, v62, v79
	v_dual_fmac_f32 v9, v73, v16 :: v_dual_mul_f32 v76, v72, v19
	s_delay_alu instid0(VALU_DEP_3) | instskip(SKIP_1) | instid1(VALU_DEP_3)
	v_fma_f32 v16, v72, v18, -v17
	s_wait_dscnt 0x1
	v_dual_add_f32 v64, v64, v68 :: v_dual_mul_f32 v17, v11, v13
	s_delay_alu instid0(VALU_DEP_3) | instskip(NEXT) | instid1(VALU_DEP_3)
	v_dual_add_f32 v9, v66, v9 :: v_dual_fmac_f32 v76, v73, v18
	v_dual_mul_f32 v68, v10, v13 :: v_dual_add_f32 v66, v77, v16
	s_delay_alu instid0(VALU_DEP_3)
	v_dual_mul_f32 v73, v11, v15 :: v_dual_fma_f32 v72, v10, v12, -v17
	ds_load_2addr_b64 v[16:19], v70 offset0:192 offset1:208
	v_dual_add_f32 v60, v60, v76 :: v_dual_mul_f32 v76, v10, v15
	v_fmac_f32_e32 v68, v11, v12
	v_add_f32_e32 v72, v78, v72
	v_dual_fma_f32 v10, v10, v14, -v73 :: v_dual_mul_f32 v73, v75, v13
	s_delay_alu instid0(VALU_DEP_4) | instskip(SKIP_4) | instid1(VALU_DEP_2)
	v_dual_mul_f32 v13, v74, v13 :: v_dual_fmac_f32 v76, v11, v14
	ds_load_b128 v[0:3], v61 offset:4272
	v_add_f32_e32 v51, v51, v68
	v_dual_mul_f32 v11, v75, v15 :: v_dual_fmac_f32 v13, v75, v12
	v_dual_mul_f32 v68, v74, v15 :: v_dual_add_f32 v8, v8, v10
	v_dual_fma_f32 v10, v74, v12, -v73 :: v_dual_fma_f32 v11, v74, v14, -v11
	s_delay_alu instid0(VALU_DEP_2)
	v_dual_add_f32 v9, v9, v13 :: v_dual_fmac_f32 v68, v75, v14
	ds_load_2addr_b64 v[12:15], v70 offset0:224 offset1:240
	v_dual_add_f32 v62, v62, v76 :: v_dual_add_f32 v10, v64, v10
	s_wait_dscnt 0x2
	v_dual_mul_f32 v64, v5, v17 :: v_dual_mul_f32 v73, v4, v17
	v_add_f32_e32 v11, v66, v11
	s_delay_alu instid0(VALU_DEP_2) | instskip(NEXT) | instid1(VALU_DEP_3)
	v_dual_mul_f32 v66, v5, v19 :: v_dual_fma_f32 v64, v4, v16, -v64
	v_dual_fmac_f32 v73, v5, v16 :: v_dual_mul_f32 v74, v4, v19
	s_delay_alu instid0(VALU_DEP_2)
	v_fma_f32 v4, v4, v18, -v66
	s_wait_dscnt 0x1
	v_mul_f32_e32 v66, v0, v19
	v_add_f32_e32 v64, v72, v64
	v_dual_add_f32 v60, v60, v68 :: v_dual_add_f32 v51, v51, v73
	v_fmac_f32_e32 v74, v5, v18
	v_dual_mul_f32 v5, v1, v17 :: v_dual_mul_f32 v17, v0, v17
	v_dual_add_f32 v4, v8, v4 :: v_dual_mul_f32 v8, v1, v19
	s_delay_alu instid0(VALU_DEP_2) | instskip(NEXT) | instid1(VALU_DEP_3)
	v_dual_add_f32 v62, v62, v74 :: v_dual_fma_f32 v5, v0, v16, -v5
	v_dual_fmac_f32 v17, v1, v16 :: v_dual_fmac_f32 v66, v1, v18
	s_wait_dscnt 0x0
	s_delay_alu instid0(VALU_DEP_3) | instskip(NEXT) | instid1(VALU_DEP_3)
	v_dual_fma_f32 v0, v0, v18, -v8 :: v_dual_mul_f32 v8, v7, v13
	v_add_f32_e32 v5, v10, v5
	s_delay_alu instid0(VALU_DEP_3) | instskip(NEXT) | instid1(VALU_DEP_3)
	v_add_f32_e32 v68, v9, v17
	v_dual_mul_f32 v72, v6, v13 :: v_dual_add_f32 v0, v11, v0
	s_delay_alu instid0(VALU_DEP_4) | instskip(SKIP_4) | instid1(VALU_DEP_2)
	v_fma_f32 v1, v6, v12, -v8
	ds_load_b128 v[8:11], v61 offset:192
	ds_load_2addr_b64 v[16:19], v71 offset1:16
	v_dual_mul_f32 v73, v7, v15 :: v_dual_add_f32 v60, v60, v66
	v_dual_fmac_f32 v72, v7, v12 :: v_dual_mul_f32 v66, v6, v15
	v_dual_add_f32 v1, v64, v1 :: v_dual_fma_f32 v6, v6, v14, -v73
	v_dual_mul_f32 v64, v3, v13 :: v_dual_mul_f32 v13, v2, v13
	s_delay_alu instid0(VALU_DEP_3) | instskip(NEXT) | instid1(VALU_DEP_4)
	v_add_f32_e32 v51, v51, v72
	v_fmac_f32_e32 v66, v7, v14
	s_delay_alu instid0(VALU_DEP_3)
	v_dual_add_f32 v76, v4, v6 :: v_dual_fma_f32 v4, v2, v12, -v64
	v_mul_f32_e32 v6, v3, v15
	ds_load_b128 v[72:75], v61 offset:4288
	v_dual_add_f32 v62, v62, v66 :: v_dual_fmac_f32 v13, v3, v12
	v_dual_add_f32 v64, v5, v4 :: v_dual_fma_f32 v12, v2, v14, -v6
	s_wait_dscnt 0x1
	v_dual_mul_f32 v2, v2, v15 :: v_dual_mul_f32 v15, v9, v17
	s_delay_alu instid0(VALU_DEP_3) | instskip(SKIP_1) | instid1(VALU_DEP_3)
	v_add_f32_e32 v66, v68, v13
	v_mul_f32_e32 v68, v8, v17
	v_dual_add_f32 v77, v0, v12 :: v_dual_fmac_f32 v2, v3, v14
	s_delay_alu instid0(VALU_DEP_4)
	v_fma_f32 v0, v8, v16, -v15
	ds_load_2addr_b64 v[12:15], v71 offset0:32 offset1:48
	v_mul_f32_e32 v3, v9, v19
	ds_load_b128 v[4:7], v61 offset:208
	v_dual_fmac_f32 v68, v9, v16 :: v_dual_mul_f32 v79, v8, v19
	v_dual_add_f32 v60, v60, v2 :: v_dual_add_f32 v78, v1, v0
	s_delay_alu instid0(VALU_DEP_2) | instskip(SKIP_3) | instid1(VALU_DEP_3)
	v_dual_fma_f32 v8, v8, v18, -v3 :: v_dual_add_f32 v51, v51, v68
	s_wait_dscnt 0x2
	v_mul_f32_e32 v68, v73, v17
	v_dual_fmac_f32 v79, v9, v18 :: v_dual_mul_f32 v9, v72, v17
	v_dual_add_f32 v8, v76, v8 :: v_dual_mul_f32 v17, v73, v19
	s_delay_alu instid0(VALU_DEP_2) | instskip(NEXT) | instid1(VALU_DEP_3)
	v_dual_fma_f32 v68, v72, v16, -v68 :: v_dual_add_f32 v62, v62, v79
	v_dual_fmac_f32 v9, v73, v16 :: v_dual_mul_f32 v76, v72, v19
	s_delay_alu instid0(VALU_DEP_3) | instskip(SKIP_1) | instid1(VALU_DEP_3)
	v_fma_f32 v16, v72, v18, -v17
	s_wait_dscnt 0x1
	v_dual_add_f32 v64, v64, v68 :: v_dual_mul_f32 v17, v11, v13
	s_delay_alu instid0(VALU_DEP_3) | instskip(NEXT) | instid1(VALU_DEP_3)
	v_dual_add_f32 v9, v66, v9 :: v_dual_fmac_f32 v76, v73, v18
	v_dual_mul_f32 v68, v10, v13 :: v_dual_add_f32 v66, v77, v16
	s_delay_alu instid0(VALU_DEP_3)
	v_dual_mul_f32 v73, v11, v15 :: v_dual_fma_f32 v72, v10, v12, -v17
	ds_load_2addr_b64 v[16:19], v71 offset0:64 offset1:80
	v_dual_add_f32 v60, v60, v76 :: v_dual_mul_f32 v76, v10, v15
	v_fmac_f32_e32 v68, v11, v12
	v_add_f32_e32 v72, v78, v72
	v_dual_fma_f32 v10, v10, v14, -v73 :: v_dual_mul_f32 v73, v75, v13
	s_delay_alu instid0(VALU_DEP_4) | instskip(SKIP_4) | instid1(VALU_DEP_2)
	v_dual_mul_f32 v13, v74, v13 :: v_dual_fmac_f32 v76, v11, v14
	ds_load_b128 v[0:3], v61 offset:4304
	v_add_f32_e32 v51, v51, v68
	v_dual_mul_f32 v11, v75, v15 :: v_dual_fmac_f32 v13, v75, v12
	v_dual_mul_f32 v68, v74, v15 :: v_dual_add_f32 v8, v8, v10
	v_dual_fma_f32 v10, v74, v12, -v73 :: v_dual_fma_f32 v11, v74, v14, -v11
	s_delay_alu instid0(VALU_DEP_2)
	v_dual_add_f32 v9, v9, v13 :: v_dual_fmac_f32 v68, v75, v14
	ds_load_2addr_b64 v[12:15], v71 offset0:96 offset1:112
	v_dual_add_f32 v62, v62, v76 :: v_dual_add_f32 v10, v64, v10
	s_wait_dscnt 0x2
	v_dual_mul_f32 v64, v5, v17 :: v_dual_mul_f32 v73, v4, v17
	v_add_f32_e32 v11, v66, v11
	s_delay_alu instid0(VALU_DEP_2) | instskip(NEXT) | instid1(VALU_DEP_3)
	v_dual_mul_f32 v66, v5, v19 :: v_dual_fma_f32 v64, v4, v16, -v64
	v_dual_fmac_f32 v73, v5, v16 :: v_dual_mul_f32 v74, v4, v19
	s_delay_alu instid0(VALU_DEP_2)
	v_fma_f32 v4, v4, v18, -v66
	s_wait_dscnt 0x1
	v_mul_f32_e32 v66, v0, v19
	v_add_f32_e32 v64, v72, v64
	v_dual_add_f32 v60, v60, v68 :: v_dual_add_f32 v51, v51, v73
	v_fmac_f32_e32 v74, v5, v18
	v_dual_mul_f32 v5, v1, v17 :: v_dual_mul_f32 v17, v0, v17
	v_dual_add_f32 v4, v8, v4 :: v_dual_mul_f32 v8, v1, v19
	s_delay_alu instid0(VALU_DEP_2) | instskip(NEXT) | instid1(VALU_DEP_3)
	v_dual_add_f32 v62, v62, v74 :: v_dual_fma_f32 v5, v0, v16, -v5
	v_dual_fmac_f32 v17, v1, v16 :: v_dual_fmac_f32 v66, v1, v18
	s_wait_dscnt 0x0
	s_delay_alu instid0(VALU_DEP_3) | instskip(NEXT) | instid1(VALU_DEP_3)
	v_dual_fma_f32 v0, v0, v18, -v8 :: v_dual_mul_f32 v8, v7, v13
	v_add_f32_e32 v5, v10, v5
	s_delay_alu instid0(VALU_DEP_3) | instskip(NEXT) | instid1(VALU_DEP_3)
	v_add_f32_e32 v68, v9, v17
	v_dual_mul_f32 v72, v6, v13 :: v_dual_add_f32 v0, v11, v0
	s_delay_alu instid0(VALU_DEP_4) | instskip(SKIP_4) | instid1(VALU_DEP_2)
	v_fma_f32 v1, v6, v12, -v8
	ds_load_b128 v[8:11], v61 offset:224
	ds_load_2addr_b64 v[16:19], v71 offset0:128 offset1:144
	v_dual_mul_f32 v73, v7, v15 :: v_dual_add_f32 v60, v60, v66
	v_dual_mul_f32 v66, v6, v15 :: v_dual_fmac_f32 v72, v7, v12
	v_dual_add_f32 v64, v64, v1 :: v_dual_fma_f32 v6, v6, v14, -v73
	v_mul_f32_e32 v1, v3, v13
	s_delay_alu instid0(VALU_DEP_3) | instskip(NEXT) | instid1(VALU_DEP_3)
	v_dual_fmac_f32 v66, v7, v14 :: v_dual_mul_f32 v13, v2, v13
	v_dual_add_f32 v51, v51, v72 :: v_dual_add_f32 v76, v4, v6
	s_delay_alu instid0(VALU_DEP_3)
	v_dual_fma_f32 v1, v2, v12, -v1 :: v_dual_mul_f32 v4, v3, v15
	ds_load_b128 v[72:75], v61 offset:4320
	v_dual_add_f32 v62, v62, v66 :: v_dual_fmac_f32 v13, v3, v12
	v_dual_add_f32 v66, v5, v1 :: v_dual_mul_f32 v12, v2, v15
	s_wait_dscnt 0x1
	v_dual_fma_f32 v1, v2, v14, -v4 :: v_dual_mul_f32 v2, v9, v17
	s_delay_alu instid0(VALU_DEP_3)
	v_add_f32_e32 v68, v68, v13
	ds_load_b128 v[4:7], v61 offset:240
	v_dual_fmac_f32 v12, v3, v14 :: v_dual_mul_f32 v78, v8, v17
	v_fma_f32 v13, v8, v16, -v2
	v_add_f32_e32 v77, v0, v1
	ds_load_2addr_b64 v[0:3], v71 offset0:160 offset1:176
	v_dual_mul_f32 v14, v9, v19 :: v_dual_add_f32 v60, v60, v12
	v_dual_mul_f32 v79, v8, v19 :: v_dual_fmac_f32 v78, v9, v16
	v_add_f32_e32 v64, v64, v13
	s_wait_dscnt 0x2
	s_delay_alu instid0(VALU_DEP_3) | instskip(NEXT) | instid1(VALU_DEP_3)
	v_dual_fma_f32 v8, v8, v18, -v14 :: v_dual_mul_f32 v80, v73, v17
	v_dual_fmac_f32 v79, v9, v18 :: v_dual_mul_f32 v9, v72, v17
	s_delay_alu instid0(VALU_DEP_2) | instskip(NEXT) | instid1(VALU_DEP_3)
	v_dual_add_f32 v51, v51, v78 :: v_dual_add_f32 v8, v76, v8
	v_dual_mul_f32 v76, v73, v19 :: v_dual_fma_f32 v17, v72, v16, -v80
	s_delay_alu instid0(VALU_DEP_3) | instskip(NEXT) | instid1(VALU_DEP_2)
	v_dual_add_f32 v62, v62, v79 :: v_dual_fmac_f32 v9, v73, v16
	v_dual_mul_f32 v78, v72, v19 :: v_dual_fma_f32 v16, v72, v18, -v76
	s_delay_alu instid0(VALU_DEP_3) | instskip(SKIP_4) | instid1(VALU_DEP_2)
	v_add_f32_e32 v66, v66, v17
	ds_load_b128 v[12:15], v61 offset:4336
	s_wait_dscnt 0x1
	v_dual_mul_f32 v17, v11, v1 :: v_dual_fmac_f32 v78, v73, v18
	v_dual_add_f32 v9, v68, v9 :: v_dual_add_f32 v72, v77, v16
	v_dual_mul_f32 v68, v10, v1 :: v_dual_fma_f32 v73, v10, v0, -v17
	ds_load_2addr_b64 v[16:19], v71 offset0:192 offset1:208
	v_dual_mul_f32 v76, v11, v3 :: v_dual_add_f32 v60, v60, v78
	v_dual_fmac_f32 v68, v11, v0 :: v_dual_add_f32 v64, v64, v73
	s_delay_alu instid0(VALU_DEP_2) | instskip(NEXT) | instid1(VALU_DEP_2)
	v_dual_mul_f32 v73, v10, v3 :: v_dual_fma_f32 v10, v10, v2, -v76
	v_add_f32_e32 v51, v51, v68
	v_dual_mul_f32 v68, v75, v1 :: v_dual_mul_f32 v1, v74, v1
	s_delay_alu instid0(VALU_DEP_3) | instskip(NEXT) | instid1(VALU_DEP_2)
	v_dual_add_f32 v76, v8, v10 :: v_dual_mul_f32 v8, v75, v3
	v_dual_fmac_f32 v73, v11, v2 :: v_dual_fma_f32 v10, v74, v0, -v68
	s_delay_alu instid0(VALU_DEP_3) | instskip(NEXT) | instid1(VALU_DEP_3)
	v_dual_fmac_f32 v1, v75, v0 :: v_dual_mul_f32 v3, v74, v3
	v_fma_f32 v8, v74, v2, -v8
	s_delay_alu instid0(VALU_DEP_3) | instskip(NEXT) | instid1(VALU_DEP_3)
	v_add_f32_e32 v0, v62, v73
	v_dual_add_f32 v62, v66, v10 :: v_dual_add_f32 v1, v9, v1
	s_wait_dscnt 0x0
	v_dual_mul_f32 v66, v5, v17 :: v_dual_fmac_f32 v3, v75, v2
	v_add_f32_e32 v2, v72, v8
	ds_load_2addr_b64 v[8:11], v71 offset0:224 offset1:240
	v_dual_mul_f32 v68, v4, v17 :: v_dual_fma_f32 v66, v4, v16, -v66
	v_add_f32_e32 v3, v60, v3
	v_dual_mul_f32 v60, v5, v19 :: v_dual_mul_f32 v72, v4, v19
	s_delay_alu instid0(VALU_DEP_3) | instskip(NEXT) | instid1(VALU_DEP_2)
	v_dual_fmac_f32 v68, v5, v16 :: v_dual_add_f32 v64, v64, v66
	v_dual_mul_f32 v66, v13, v17 :: v_dual_fma_f32 v4, v4, v18, -v60
	s_delay_alu instid0(VALU_DEP_3) | instskip(NEXT) | instid1(VALU_DEP_2)
	v_dual_fmac_f32 v72, v5, v18 :: v_dual_mul_f32 v5, v12, v17
	v_dual_mul_f32 v60, v13, v19 :: v_dual_fma_f32 v17, v12, v16, -v66
	s_delay_alu instid0(VALU_DEP_4) | instskip(NEXT) | instid1(VALU_DEP_4)
	v_add_f32_e32 v51, v51, v68
	v_add_f32_e32 v4, v76, v4
	s_delay_alu instid0(VALU_DEP_4) | instskip(SKIP_4) | instid1(VALU_DEP_3)
	v_add_f32_e32 v66, v0, v72
	v_dual_fmac_f32 v5, v13, v16 :: v_dual_mul_f32 v0, v12, v19
	v_dual_add_f32 v16, v62, v17 :: v_dual_fma_f32 v12, v12, v18, -v60
	s_wait_dscnt 0x0
	v_dual_mul_f32 v19, v6, v9 :: v_dual_mul_f32 v17, v7, v9
	v_add_f32_e32 v1, v1, v5
	s_delay_alu instid0(VALU_DEP_3) | instskip(NEXT) | instid1(VALU_DEP_3)
	v_dual_fmac_f32 v0, v13, v18 :: v_dual_add_f32 v5, v2, v12
	v_dual_fmac_f32 v19, v7, v8 :: v_dual_mul_f32 v12, v7, v11
	s_delay_alu instid0(VALU_DEP_4) | instskip(NEXT) | instid1(VALU_DEP_3)
	v_dual_fma_f32 v2, v6, v8, -v17 :: v_dual_mul_f32 v13, v6, v11
	v_add_f32_e32 v3, v3, v0
	s_delay_alu instid0(VALU_DEP_3) | instskip(SKIP_1) | instid1(VALU_DEP_4)
	v_dual_add_f32 v68, v51, v19 :: v_dual_fma_f32 v0, v6, v10, -v12
	v_mul_f32_e32 v6, v15, v9
	v_dual_fmac_f32 v13, v7, v10 :: v_dual_mul_f32 v7, v14, v9
	v_dual_mul_f32 v9, v15, v11 :: v_dual_mul_f32 v11, v14, v11
	s_delay_alu instid0(VALU_DEP_4) | instskip(NEXT) | instid1(VALU_DEP_3)
	v_add_f32_e32 v0, v4, v0
	v_dual_fma_f32 v6, v14, v8, -v6 :: v_dual_fmac_f32 v7, v15, v8
	s_delay_alu instid0(VALU_DEP_3) | instskip(SKIP_1) | instid1(VALU_DEP_3)
	v_dual_fma_f32 v8, v14, v10, -v9 :: v_dual_fmac_f32 v11, v15, v10
	v_dual_add_f32 v4, v66, v13 :: v_dual_add_f32 v2, v64, v2
	v_dual_add_f32 v64, v16, v6 :: v_dual_add_f32 v66, v1, v7
	s_delay_alu instid0(VALU_DEP_3)
	v_dual_add_f32 v62, v5, v8 :: v_dual_add_f32 v60, v3, v11
	s_barrier_signal -1
	s_barrier_wait -1
	s_cbranch_scc1 .LBB72_55
.LBB72_11:                              ;   Parent Loop BB72_4 Depth=1
                                        ;     Parent Loop BB72_8 Depth=2
                                        ; =>    This Inner Loop Header: Depth=3
	v_add_nc_u64_e32 v[6:7], s[50:51], v[20:21]
	v_cmp_eq_u64_e64 s7, s[50:51], v[34:35]
	v_add_nc_u64_e32 v[8:9], v[58:59], v[38:39]
	s_delay_alu instid0(VALU_DEP_3) | instskip(SKIP_3) | instid1(SALU_CYCLE_1)
	v_cmp_le_i64_e64 s6, s[42:43], v[6:7]
	v_cmp_gt_i64_e64 s5, v[6:7], v[26:27]
	s_and_b32 s60, s56, s7
	s_or_b32 s7, s6, s5
	s_or_b32 s7, s7, s60
	s_delay_alu instid0(SALU_CYCLE_1) | instskip(NEXT) | instid1(SALU_CYCLE_1)
	s_nor_b32 s7, s0, s7
	s_and_saveexec_b32 s8, s7
	s_delay_alu instid0(SALU_CYCLE_1)
	s_xor_b32 s7, exec_lo, s8
	s_cbranch_execz .LBB72_13
; %bb.12:                               ;   in Loop: Header=BB72_11 Depth=3
	global_load_b64 v[10:11], v[8:9], off
	s_wait_loadcnt 0x0
	ds_store_b64 v63, v[10:11]
.LBB72_13:                              ;   in Loop: Header=BB72_11 Depth=3
	s_wait_xcnt 0x0
	s_or_saveexec_b32 s7, s7
	s_xor_b32 s59, s60, -1
	s_xor_b32 exec_lo, exec_lo, s7
	s_cbranch_execz .LBB72_19
; %bb.14:                               ;   in Loop: Header=BB72_11 Depth=3
	s_and_saveexec_b32 s8, s59
	s_delay_alu instid0(SALU_CYCLE_1)
	s_xor_b32 s8, exec_lo, s8
; %bb.15:                               ;   in Loop: Header=BB72_11 Depth=3
	ds_store_b64 v63, v[40:41]
; %bb.16:                               ;   in Loop: Header=BB72_11 Depth=3
	s_and_not1_saveexec_b32 s8, s8
; %bb.17:                               ;   in Loop: Header=BB72_11 Depth=3
	ds_store_b64 v63, v[42:43]
; %bb.18:                               ;   in Loop: Header=BB72_11 Depth=3
	s_or_b32 exec_lo, exec_lo, s8
.LBB72_19:                              ;   in Loop: Header=BB72_11 Depth=3
	s_delay_alu instid0(SALU_CYCLE_1) | instskip(SKIP_2) | instid1(VALU_DEP_2)
	s_or_b32 exec_lo, exec_lo, s7
	v_add_nc_u64_e32 v[10:11], 16, v[34:35]
	v_cmp_lt_i64_e64 s8, v[30:31], v[6:7]
	v_cmp_eq_u64_e64 s7, s[50:51], v[10:11]
	s_or_b32 s6, s6, s8
	s_and_b32 s7, s56, s7
	s_delay_alu instid0(SALU_CYCLE_1) | instskip(NEXT) | instid1(SALU_CYCLE_1)
	s_or_b32 s6, s6, s7
	s_nor_b32 s6, s1, s6
	s_delay_alu instid0(SALU_CYCLE_1) | instskip(NEXT) | instid1(SALU_CYCLE_1)
	s_and_saveexec_b32 s8, s6
	s_xor_b32 s6, exec_lo, s8
	s_cbranch_execz .LBB72_21
; %bb.20:                               ;   in Loop: Header=BB72_11 Depth=3
	global_load_b64 v[8:9], v[8:9], off offset:128
	s_wait_loadcnt 0x0
	ds_store_b64 v63, v[8:9] offset:128
.LBB72_21:                              ;   in Loop: Header=BB72_11 Depth=3
	s_wait_xcnt 0x0
	s_and_not1_saveexec_b32 s6, s6
	s_cbranch_execz .LBB72_27
; %bb.22:                               ;   in Loop: Header=BB72_11 Depth=3
	s_xor_b32 s7, s7, -1
	s_delay_alu instid0(SALU_CYCLE_1) | instskip(NEXT) | instid1(SALU_CYCLE_1)
	s_and_saveexec_b32 s8, s7
	s_xor_b32 s7, exec_lo, s8
; %bb.23:                               ;   in Loop: Header=BB72_11 Depth=3
	ds_store_b64 v63, v[40:41] offset:128
; %bb.24:                               ;   in Loop: Header=BB72_11 Depth=3
	s_and_not1_saveexec_b32 s7, s7
; %bb.25:                               ;   in Loop: Header=BB72_11 Depth=3
	ds_store_b64 v63, v[42:43] offset:128
; %bb.26:                               ;   in Loop: Header=BB72_11 Depth=3
	s_or_b32 exec_lo, exec_lo, s7
.LBB72_27:                              ;   in Loop: Header=BB72_11 Depth=3
	s_delay_alu instid0(SALU_CYCLE_1) | instskip(SKIP_2) | instid1(VALU_DEP_2)
	s_or_b32 exec_lo, exec_lo, s6
	v_add_nc_u64_e32 v[8:9], -16, v[34:35]
	v_add_nc_u64_e32 v[6:7], 16, v[6:7]
	v_cmp_eq_u64_e64 s7, s[50:51], v[8:9]
	s_delay_alu instid0(VALU_DEP_2) | instskip(SKIP_4) | instid1(SALU_CYCLE_1)
	v_cmp_le_i64_e64 s6, s[42:43], v[6:7]
	v_cmp_gt_i64_e64 s8, v[6:7], v[26:27]
	v_add_nc_u64_e32 v[6:7], v[58:59], v[28:29]
	s_and_b32 s61, s56, s7
	s_or_b32 s7, s6, s8
	s_or_b32 s7, s7, s61
	s_delay_alu instid0(SALU_CYCLE_1) | instskip(NEXT) | instid1(SALU_CYCLE_1)
	s_nor_b32 s7, s0, s7
	s_and_saveexec_b32 s8, s7
	s_delay_alu instid0(SALU_CYCLE_1)
	s_xor_b32 s7, exec_lo, s8
	s_cbranch_execz .LBB72_29
; %bb.28:                               ;   in Loop: Header=BB72_11 Depth=3
	global_load_b64 v[8:9], v[6:7], off
	s_wait_loadcnt 0x0
	ds_store_b64 v63, v[8:9] offset:4096
.LBB72_29:                              ;   in Loop: Header=BB72_11 Depth=3
	s_wait_xcnt 0x0
	s_and_not1_saveexec_b32 s7, s7
	s_cbranch_execz .LBB72_35
; %bb.30:                               ;   in Loop: Header=BB72_11 Depth=3
	s_xor_b32 s8, s61, -1
	s_delay_alu instid0(SALU_CYCLE_1) | instskip(NEXT) | instid1(SALU_CYCLE_1)
	s_and_saveexec_b32 s61, s8
	s_xor_b32 s8, exec_lo, s61
; %bb.31:                               ;   in Loop: Header=BB72_11 Depth=3
	ds_store_b64 v63, v[40:41] offset:4096
; %bb.32:                               ;   in Loop: Header=BB72_11 Depth=3
	s_and_not1_saveexec_b32 s8, s8
; %bb.33:                               ;   in Loop: Header=BB72_11 Depth=3
	ds_store_b64 v63, v[42:43] offset:4096
; %bb.34:                               ;   in Loop: Header=BB72_11 Depth=3
	s_or_b32 exec_lo, exec_lo, s8
.LBB72_35:                              ;   in Loop: Header=BB72_11 Depth=3
	s_delay_alu instid0(SALU_CYCLE_1) | instskip(SKIP_1) | instid1(SALU_CYCLE_1)
	s_or_b32 exec_lo, exec_lo, s7
	s_or_b32 s5, s6, s5
	s_or_b32 s5, s5, s60
	s_delay_alu instid0(SALU_CYCLE_1) | instskip(NEXT) | instid1(SALU_CYCLE_1)
	s_nor_b32 s5, s1, s5
	s_and_saveexec_b32 s6, s5
	s_delay_alu instid0(SALU_CYCLE_1)
	s_xor_b32 s5, exec_lo, s6
	s_cbranch_execz .LBB72_37
; %bb.36:                               ;   in Loop: Header=BB72_11 Depth=3
	global_load_b64 v[6:7], v[6:7], off offset:128
	s_wait_loadcnt 0x0
	ds_store_b64 v63, v[6:7] offset:4224
.LBB72_37:                              ;   in Loop: Header=BB72_11 Depth=3
	s_wait_xcnt 0x0
	s_and_not1_saveexec_b32 s5, s5
	s_cbranch_execz .LBB72_43
; %bb.38:                               ;   in Loop: Header=BB72_11 Depth=3
	s_and_saveexec_b32 s6, s59
	s_delay_alu instid0(SALU_CYCLE_1)
	s_xor_b32 s6, exec_lo, s6
; %bb.39:                               ;   in Loop: Header=BB72_11 Depth=3
	ds_store_b64 v63, v[40:41] offset:4224
; %bb.40:                               ;   in Loop: Header=BB72_11 Depth=3
	s_and_not1_saveexec_b32 s6, s6
; %bb.41:                               ;   in Loop: Header=BB72_11 Depth=3
	ds_store_b64 v63, v[42:43] offset:4224
; %bb.42:                               ;   in Loop: Header=BB72_11 Depth=3
	s_or_b32 exec_lo, exec_lo, s6
.LBB72_43:                              ;   in Loop: Header=BB72_11 Depth=3
	s_delay_alu instid0(SALU_CYCLE_1) | instskip(SKIP_3) | instid1(VALU_DEP_3)
	s_or_b32 exec_lo, exec_lo, s5
	v_add_nc_u64_e32 v[8:9], s[50:51], v[22:23]
	v_add_nc_u64_e32 v[6:7], v[54:55], v[24:25]
	v_dual_mov_b32 v10, 0 :: v_dual_mov_b32 v11, 0
	v_cmp_gt_i64_e64 s5, s[42:43], v[8:9]
	s_and_b32 s7, vcc_lo, s5
	s_delay_alu instid0(SALU_CYCLE_1)
	s_and_saveexec_b32 s6, s7
	s_cbranch_execz .LBB72_45
; %bb.44:                               ;   in Loop: Header=BB72_11 Depth=3
	global_load_b64 v[10:11], v[6:7], off
.LBB72_45:                              ;   in Loop: Header=BB72_11 Depth=3
	s_wait_xcnt 0x0
	s_or_b32 exec_lo, exec_lo, s6
	v_cmp_gt_i64_e64 s6, s[48:49], v[8:9]
	s_wait_loadcnt 0x0
	ds_store_b64 v65, v[10:11]
	s_and_b32 s7, vcc_lo, s6
	s_delay_alu instid0(SALU_CYCLE_1) | instskip(NEXT) | instid1(SALU_CYCLE_1)
	s_xor_b32 s7, s7, -1
	s_and_saveexec_b32 s8, s7
	s_delay_alu instid0(SALU_CYCLE_1)
	s_xor_b32 s7, exec_lo, s8
; %bb.46:                               ;   in Loop: Header=BB72_11 Depth=3
	ds_store_b64 v65, v[40:41] offset:128
                                        ; implicit-def: $vgpr6_vgpr7
; %bb.47:                               ;   in Loop: Header=BB72_11 Depth=3
	s_and_not1_saveexec_b32 s7, s7
	s_cbranch_execz .LBB72_49
; %bb.48:                               ;   in Loop: Header=BB72_11 Depth=3
	global_load_b64 v[6:7], v[6:7], off offset:128
	s_wait_loadcnt 0x0
	ds_store_b64 v65, v[6:7] offset:128
.LBB72_49:                              ;   in Loop: Header=BB72_11 Depth=3
	s_wait_xcnt 0x0
	s_or_b32 exec_lo, exec_lo, s7
	v_add_nc_u64_e32 v[6:7], v[56:57], v[24:25]
	v_dual_mov_b32 v8, 0 :: v_dual_mov_b32 v9, 0
	s_and_b32 s7, s4, s5
	s_delay_alu instid0(SALU_CYCLE_1)
	s_and_saveexec_b32 s5, s7
	s_cbranch_execz .LBB72_51
; %bb.50:                               ;   in Loop: Header=BB72_11 Depth=3
	global_load_b64 v[8:9], v[6:7], off
.LBB72_51:                              ;   in Loop: Header=BB72_11 Depth=3
	s_wait_xcnt 0x0
	s_or_b32 exec_lo, exec_lo, s5
	s_and_b32 s5, s4, s6
	s_wait_loadcnt 0x0
	ds_store_b64 v65, v[8:9] offset:4096
	s_xor_b32 s5, s5, -1
	s_delay_alu instid0(SALU_CYCLE_1) | instskip(NEXT) | instid1(SALU_CYCLE_1)
	s_and_saveexec_b32 s6, s5
	s_xor_b32 s5, exec_lo, s6
; %bb.52:                               ;   in Loop: Header=BB72_11 Depth=3
	ds_store_b64 v65, v[40:41] offset:4224
                                        ; implicit-def: $vgpr6_vgpr7
; %bb.53:                               ;   in Loop: Header=BB72_11 Depth=3
	s_and_not1_saveexec_b32 s5, s5
	s_cbranch_execz .LBB72_10
; %bb.54:                               ;   in Loop: Header=BB72_11 Depth=3
	global_load_b64 v[6:7], v[6:7], off offset:128
	s_wait_loadcnt 0x0
	ds_store_b64 v65, v[6:7] offset:4224
	s_branch .LBB72_10
.LBB72_55:                              ;   in Loop: Header=BB72_8 Depth=2
	v_mul_u64_e32 v[6:7], s[28:29], v[52:53]
	v_cmp_gt_i32_e32 vcc_lo, s10, v52
	s_and_b32 s5, s2, vcc_lo
	s_delay_alu instid0(VALU_DEP_2)
	v_lshl_add_u64 v[6:7], v[6:7], 3, s[38:39]
	s_and_saveexec_b32 s4, s5
	s_cbranch_execz .LBB72_57
; %bb.56:                               ;   in Loop: Header=BB72_8 Depth=2
	s_delay_alu instid0(VALU_DEP_1) | instskip(SKIP_4) | instid1(VALU_DEP_2)
	v_lshl_add_u64 v[8:9], v[26:27], 3, v[6:7]
	v_pk_mul_f32 v[12:13], v[68:69], v[48:49] op_sel_hi:[0,1]
	global_load_b64 v[10:11], v[8:9], off
	v_pk_fma_f32 v[14:15], v[2:3], v[44:45], v[12:13] op_sel_hi:[0,1,1]
	v_pk_fma_f32 v[2:3], v[2:3], v[44:45], v[12:13] neg_lo:[0,0,1] neg_hi:[0,0,1]
	v_mov_b32_e32 v3, v15
	s_wait_loadcnt 0x0
	s_delay_alu instid0(VALU_DEP_1)
	v_pk_add_f32 v[2:3], v[10:11], v[2:3]
	global_store_b64 v[8:9], v[2:3], off
.LBB72_57:                              ;   in Loop: Header=BB72_8 Depth=2
	s_wait_xcnt 0x0
	s_or_b32 exec_lo, exec_lo, s4
	s_and_b32 s5, s3, vcc_lo
	s_delay_alu instid0(SALU_CYCLE_1)
	s_and_saveexec_b32 s4, s5
	s_cbranch_execz .LBB72_59
; %bb.58:                               ;   in Loop: Header=BB72_8 Depth=2
	v_lshl_add_u64 v[2:3], v[32:33], 3, v[6:7]
	v_pk_mul_f32 v[4:5], v[4:5], v[48:49] op_sel_hi:[0,1]
	global_load_b64 v[6:7], v[2:3], off
	v_pk_fma_f32 v[8:9], v[0:1], v[44:45], v[4:5] op_sel_hi:[0,1,1]
	v_pk_fma_f32 v[0:1], v[0:1], v[44:45], v[4:5] neg_lo:[0,0,1] neg_hi:[0,0,1]
	s_delay_alu instid0(VALU_DEP_2) | instskip(SKIP_1) | instid1(VALU_DEP_1)
	v_mov_b32_e32 v1, v9
	s_wait_loadcnt 0x0
	v_pk_add_f32 v[0:1], v[6:7], v[0:1]
	global_store_b64 v[2:3], v[0:1], off
.LBB72_59:                              ;   in Loop: Header=BB72_8 Depth=2
	s_wait_xcnt 0x0
	s_or_b32 exec_lo, exec_lo, s4
	v_add_nc_u32_e32 v0, 16, v52
	s_delay_alu instid0(VALU_DEP_1) | instskip(SKIP_1) | instid1(VALU_DEP_2)
	v_ashrrev_i32_e32 v1, 31, v0
	v_cmp_gt_i32_e32 vcc_lo, s10, v0
	v_mul_u64_e32 v[2:3], s[28:29], v[0:1]
	s_and_b32 s5, s2, vcc_lo
	s_delay_alu instid0(VALU_DEP_1)
	v_lshl_add_u64 v[0:1], v[2:3], 3, s[38:39]
	s_and_saveexec_b32 s4, s5
	s_cbranch_execz .LBB72_61
; %bb.60:                               ;   in Loop: Header=BB72_8 Depth=2
	s_delay_alu instid0(VALU_DEP_1) | instskip(SKIP_4) | instid1(VALU_DEP_2)
	v_lshl_add_u64 v[2:3], v[26:27], 3, v[0:1]
	v_pk_mul_f32 v[6:7], v[66:67], v[48:49] op_sel_hi:[0,1]
	global_load_b64 v[4:5], v[2:3], off
	v_pk_fma_f32 v[8:9], v[64:65], v[44:45], v[6:7] op_sel_hi:[0,1,1]
	v_pk_fma_f32 v[6:7], v[64:65], v[44:45], v[6:7] neg_lo:[0,0,1] neg_hi:[0,0,1]
	v_mov_b32_e32 v7, v9
	s_wait_loadcnt 0x0
	s_delay_alu instid0(VALU_DEP_1)
	v_pk_add_f32 v[4:5], v[4:5], v[6:7]
	global_store_b64 v[2:3], v[4:5], off
.LBB72_61:                              ;   in Loop: Header=BB72_8 Depth=2
	s_wait_xcnt 0x0
	s_or_b32 exec_lo, exec_lo, s4
	s_and_b32 s5, s3, vcc_lo
	s_delay_alu instid0(SALU_CYCLE_1)
	s_and_saveexec_b32 s4, s5
	s_cbranch_execz .LBB72_7
; %bb.62:                               ;   in Loop: Header=BB72_8 Depth=2
	v_lshl_add_u64 v[0:1], v[32:33], 3, v[0:1]
	v_pk_mul_f32 v[4:5], v[60:61], v[48:49] op_sel_hi:[0,1]
	global_load_b64 v[2:3], v[0:1], off
	v_pk_fma_f32 v[6:7], v[62:63], v[44:45], v[4:5] op_sel_hi:[0,1,1]
	v_pk_fma_f32 v[4:5], v[62:63], v[44:45], v[4:5] neg_lo:[0,0,1] neg_hi:[0,0,1]
	s_delay_alu instid0(VALU_DEP_2) | instskip(SKIP_1) | instid1(VALU_DEP_1)
	v_mov_b32_e32 v5, v7
	s_wait_loadcnt 0x0
	v_pk_add_f32 v[2:3], v[2:3], v[4:5]
	global_store_b64 v[0:1], v[2:3], off
	s_branch .LBB72_7
.LBB72_63:
	s_sendmsg sendmsg(MSG_DEALLOC_VGPRS)
	s_endpgm
	.section	.rodata,"a",@progbits
	.p2align	6, 0x0
	.amdhsa_kernel _ZL30rocblas_trmm_outofplace_kernelI19rocblas_complex_numIfELi32ELi2ELb1ELb0ELb0ELb0EPKS1_S2_S1_Ev17rocblas_diagonal_iiT6_lPT7_lllS7_lllPT8_llli
		.amdhsa_group_segment_fixed_size 16384
		.amdhsa_private_segment_fixed_size 0
		.amdhsa_kernarg_size 392
		.amdhsa_user_sgpr_count 2
		.amdhsa_user_sgpr_dispatch_ptr 0
		.amdhsa_user_sgpr_queue_ptr 0
		.amdhsa_user_sgpr_kernarg_segment_ptr 1
		.amdhsa_user_sgpr_dispatch_id 0
		.amdhsa_user_sgpr_kernarg_preload_length 0
		.amdhsa_user_sgpr_kernarg_preload_offset 0
		.amdhsa_user_sgpr_private_segment_size 0
		.amdhsa_wavefront_size32 1
		.amdhsa_uses_dynamic_stack 0
		.amdhsa_enable_private_segment 0
		.amdhsa_system_sgpr_workgroup_id_x 1
		.amdhsa_system_sgpr_workgroup_id_y 1
		.amdhsa_system_sgpr_workgroup_id_z 1
		.amdhsa_system_sgpr_workgroup_info 0
		.amdhsa_system_vgpr_workitem_id 1
		.amdhsa_next_free_vgpr 87
		.amdhsa_next_free_sgpr 62
		.amdhsa_named_barrier_count 0
		.amdhsa_reserve_vcc 1
		.amdhsa_float_round_mode_32 0
		.amdhsa_float_round_mode_16_64 0
		.amdhsa_float_denorm_mode_32 3
		.amdhsa_float_denorm_mode_16_64 3
		.amdhsa_fp16_overflow 0
		.amdhsa_memory_ordered 1
		.amdhsa_forward_progress 1
		.amdhsa_inst_pref_size 59
		.amdhsa_round_robin_scheduling 0
		.amdhsa_exception_fp_ieee_invalid_op 0
		.amdhsa_exception_fp_denorm_src 0
		.amdhsa_exception_fp_ieee_div_zero 0
		.amdhsa_exception_fp_ieee_overflow 0
		.amdhsa_exception_fp_ieee_underflow 0
		.amdhsa_exception_fp_ieee_inexact 0
		.amdhsa_exception_int_div_zero 0
	.end_amdhsa_kernel
	.section	.text._ZL30rocblas_trmm_outofplace_kernelI19rocblas_complex_numIfELi32ELi2ELb1ELb0ELb0ELb0EPKS1_S2_S1_Ev17rocblas_diagonal_iiT6_lPT7_lllS7_lllPT8_llli,"axG",@progbits,_ZL30rocblas_trmm_outofplace_kernelI19rocblas_complex_numIfELi32ELi2ELb1ELb0ELb0ELb0EPKS1_S2_S1_Ev17rocblas_diagonal_iiT6_lPT7_lllS7_lllPT8_llli,comdat
.Lfunc_end72:
	.size	_ZL30rocblas_trmm_outofplace_kernelI19rocblas_complex_numIfELi32ELi2ELb1ELb0ELb0ELb0EPKS1_S2_S1_Ev17rocblas_diagonal_iiT6_lPT7_lllS7_lllPT8_llli, .Lfunc_end72-_ZL30rocblas_trmm_outofplace_kernelI19rocblas_complex_numIfELi32ELi2ELb1ELb0ELb0ELb0EPKS1_S2_S1_Ev17rocblas_diagonal_iiT6_lPT7_lllS7_lllPT8_llli
                                        ; -- End function
	.set _ZL30rocblas_trmm_outofplace_kernelI19rocblas_complex_numIfELi32ELi2ELb1ELb0ELb0ELb0EPKS1_S2_S1_Ev17rocblas_diagonal_iiT6_lPT7_lllS7_lllPT8_llli.num_vgpr, 87
	.set _ZL30rocblas_trmm_outofplace_kernelI19rocblas_complex_numIfELi32ELi2ELb1ELb0ELb0ELb0EPKS1_S2_S1_Ev17rocblas_diagonal_iiT6_lPT7_lllS7_lllPT8_llli.num_agpr, 0
	.set _ZL30rocblas_trmm_outofplace_kernelI19rocblas_complex_numIfELi32ELi2ELb1ELb0ELb0ELb0EPKS1_S2_S1_Ev17rocblas_diagonal_iiT6_lPT7_lllS7_lllPT8_llli.numbered_sgpr, 62
	.set _ZL30rocblas_trmm_outofplace_kernelI19rocblas_complex_numIfELi32ELi2ELb1ELb0ELb0ELb0EPKS1_S2_S1_Ev17rocblas_diagonal_iiT6_lPT7_lllS7_lllPT8_llli.num_named_barrier, 0
	.set _ZL30rocblas_trmm_outofplace_kernelI19rocblas_complex_numIfELi32ELi2ELb1ELb0ELb0ELb0EPKS1_S2_S1_Ev17rocblas_diagonal_iiT6_lPT7_lllS7_lllPT8_llli.private_seg_size, 0
	.set _ZL30rocblas_trmm_outofplace_kernelI19rocblas_complex_numIfELi32ELi2ELb1ELb0ELb0ELb0EPKS1_S2_S1_Ev17rocblas_diagonal_iiT6_lPT7_lllS7_lllPT8_llli.uses_vcc, 1
	.set _ZL30rocblas_trmm_outofplace_kernelI19rocblas_complex_numIfELi32ELi2ELb1ELb0ELb0ELb0EPKS1_S2_S1_Ev17rocblas_diagonal_iiT6_lPT7_lllS7_lllPT8_llli.uses_flat_scratch, 0
	.set _ZL30rocblas_trmm_outofplace_kernelI19rocblas_complex_numIfELi32ELi2ELb1ELb0ELb0ELb0EPKS1_S2_S1_Ev17rocblas_diagonal_iiT6_lPT7_lllS7_lllPT8_llli.has_dyn_sized_stack, 0
	.set _ZL30rocblas_trmm_outofplace_kernelI19rocblas_complex_numIfELi32ELi2ELb1ELb0ELb0ELb0EPKS1_S2_S1_Ev17rocblas_diagonal_iiT6_lPT7_lllS7_lllPT8_llli.has_recursion, 0
	.set _ZL30rocblas_trmm_outofplace_kernelI19rocblas_complex_numIfELi32ELi2ELb1ELb0ELb0ELb0EPKS1_S2_S1_Ev17rocblas_diagonal_iiT6_lPT7_lllS7_lllPT8_llli.has_indirect_call, 0
	.section	.AMDGPU.csdata,"",@progbits
; Kernel info:
; codeLenInByte = 7480
; TotalNumSgprs: 64
; NumVgprs: 87
; ScratchSize: 0
; MemoryBound: 1
; FloatMode: 240
; IeeeMode: 1
; LDSByteSize: 16384 bytes/workgroup (compile time only)
; SGPRBlocks: 0
; VGPRBlocks: 5
; NumSGPRsForWavesPerEU: 64
; NumVGPRsForWavesPerEU: 87
; NamedBarCnt: 0
; Occupancy: 10
; WaveLimiterHint : 0
; COMPUTE_PGM_RSRC2:SCRATCH_EN: 0
; COMPUTE_PGM_RSRC2:USER_SGPR: 2
; COMPUTE_PGM_RSRC2:TRAP_HANDLER: 0
; COMPUTE_PGM_RSRC2:TGID_X_EN: 1
; COMPUTE_PGM_RSRC2:TGID_Y_EN: 1
; COMPUTE_PGM_RSRC2:TGID_Z_EN: 1
; COMPUTE_PGM_RSRC2:TIDIG_COMP_CNT: 1
	.section	.text._ZL30rocblas_trmm_outofplace_kernelI19rocblas_complex_numIfELi32ELi2ELb1ELb0ELb0ELb0ES1_KS1_S1_Ev17rocblas_diagonal_iiT6_lPT7_lllS6_lllPT8_llli,"axG",@progbits,_ZL30rocblas_trmm_outofplace_kernelI19rocblas_complex_numIfELi32ELi2ELb1ELb0ELb0ELb0ES1_KS1_S1_Ev17rocblas_diagonal_iiT6_lPT7_lllS6_lllPT8_llli,comdat
	.globl	_ZL30rocblas_trmm_outofplace_kernelI19rocblas_complex_numIfELi32ELi2ELb1ELb0ELb0ELb0ES1_KS1_S1_Ev17rocblas_diagonal_iiT6_lPT7_lllS6_lllPT8_llli ; -- Begin function _ZL30rocblas_trmm_outofplace_kernelI19rocblas_complex_numIfELi32ELi2ELb1ELb0ELb0ELb0ES1_KS1_S1_Ev17rocblas_diagonal_iiT6_lPT7_lllS6_lllPT8_llli
	.p2align	8
	.type	_ZL30rocblas_trmm_outofplace_kernelI19rocblas_complex_numIfELi32ELi2ELb1ELb0ELb0ELb0ES1_KS1_S1_Ev17rocblas_diagonal_iiT6_lPT7_lllS6_lllPT8_llli,@function
_ZL30rocblas_trmm_outofplace_kernelI19rocblas_complex_numIfELi32ELi2ELb1ELb0ELb0ELb0ES1_KS1_S1_Ev17rocblas_diagonal_iiT6_lPT7_lllS6_lllPT8_llli: ; @_ZL30rocblas_trmm_outofplace_kernelI19rocblas_complex_numIfELi32ELi2ELb1ELb0ELb0ELb0ES1_KS1_S1_Ev17rocblas_diagonal_iiT6_lPT7_lllS6_lllPT8_llli
; %bb.0:
	s_load_b32 s31, s[0:1], 0x80
	s_bfe_u32 s2, ttmp6, 0x40014
	s_lshr_b32 s3, ttmp7, 16
	s_add_co_i32 s2, s2, 1
	s_bfe_u32 s5, ttmp6, 0x40008
	s_mul_i32 s4, s3, s2
	s_getreg_b32 s2, hwreg(HW_REG_IB_STS2, 6, 4)
	s_add_co_i32 s5, s5, s4
	s_cmp_eq_u32 s2, 0
	s_cselect_b32 s34, s3, s5
	s_wait_kmcnt 0x0
	s_cmp_ge_u32 s34, s31
	s_cbranch_scc1 .LBB73_62
; %bb.1:
	s_load_b64 s[36:37], s[0:1], 0xc
	s_wait_kmcnt 0x0
	s_or_b32 s3, s36, s37
	s_delay_alu instid0(SALU_CYCLE_1) | instskip(NEXT) | instid1(SALU_CYCLE_1)
	s_bitset0_b32 s3, 31
	s_cmp_eq_u32 s3, 0
	s_cbranch_scc1 .LBB73_62
; %bb.2:
	s_clause 0x1
	s_load_b96 s[28:30], s[0:1], 0x0
	s_load_b512 s[4:19], s[0:1], 0x20
	v_bfe_u32 v24, v0, 10, 10
	v_mov_b32_e32 v25, 0
	v_and_b32_e32 v26, 0x3ff, v0
	s_bfe_u32 s33, ttmp6, 0x4000c
	s_bfe_u32 s39, ttmp6, 0x40010
	v_dual_lshlrev_b32 v4, 8, v24 :: v_dual_lshlrev_b32 v0, 3, v24
	v_mov_b32_e32 v1, v25
	s_and_b32 s38, ttmp7, 0xffff
	s_add_co_i32 s33, s33, 1
	s_add_co_i32 s39, s39, 1
	s_and_b32 s3, ttmp6, 15
	v_add_nc_u64_e32 v[0:1], 0x80, v[0:1]
	s_bfe_u32 s40, ttmp6, 0x40004
	s_mul_i32 s33, ttmp9, s33
	s_mul_i32 s39, s38, s39
	s_add_co_i32 s3, s3, s33
	s_add_co_i32 s40, s40, s39
	s_wait_kmcnt 0x0
	s_add_co_i32 s41, s30, -1
	v_mul_u64_e32 v[2:3], s[8:9], v[24:25]
	s_ashr_i32 s42, s41, 31
	v_mul_u64_e32 v[34:35], s[8:9], v[0:1]
	s_lshr_b32 s42, s42, 27
	s_load_b256 s[20:27], s[0:1], 0x60
	s_add_co_i32 s41, s41, s42
	v_dual_mov_b32 v27, v25 :: v_dual_lshlrev_b32 v28, 3, v26
	s_ashr_i32 s33, s41, 5
	s_cmp_eq_u32 s2, 0
	v_add_nc_u32_e32 v65, 0x2000, v4
	s_cselect_b32 s52, s38, s40
	s_cselect_b32 s2, ttmp9, s3
	s_cmp_le_i32 s52, s33
	s_mov_b32 s38, s29
	s_cselect_b32 s53, -1, 0
	s_lshl_b32 s54, s2, 5
	s_delay_alu instid0(SALU_CYCLE_1)
	v_dual_add_nc_u32 v67, v28, v4 :: v_dual_add_nc_u32 v30, s54, v26
	s_cmp_gt_i32 s2, -1
	v_mov_b64_e32 v[48:49], 0
	v_add_nc_u32_e32 v69, v65, v28
	s_cselect_b32 s55, -1, 0
	v_ashrrev_i32_e32 v31, 31, v30
	s_cmp_eq_u32 s28, 0x84
	v_dual_mov_b32 v29, v25 :: v_dual_add_nc_u32 v36, 16, v30
	s_cselect_b32 s56, -1, 0
	s_delay_alu instid0(VALU_DEP_2)
	v_add_nc_u64_e32 v[32:33], 16, v[30:31]
	v_sub_nc_u64_e32 v[38:39], v[30:31], v[24:25]
	s_ashr_i32 s39, s29, 31
	s_lshl_b64 s[6:7], s[6:7], 3
	s_wait_kmcnt 0x0
	s_lshl_b64 s[2:3], s[22:23], 3
	s_add_nc_u64 s[22:23], s[0:1], 0x88
	s_add_nc_u64 s[4:5], s[4:5], s[6:7]
	v_cmp_le_i64_e64 s1, s[38:39], v[32:33]
	v_add_nc_u64_e32 v[40:41], 16, v[38:39]
	v_add_nc_u64_e32 v[42:43], -16, v[38:39]
	v_lshlrev_b64_e32 v[46:47], 3, v[2:3]
	v_mov_b64_e32 v[50:51], 0x3f800000
	s_add_nc_u64 s[20:21], s[20:21], s[2:3]
	v_cmp_le_i32_e64 s0, s29, v30
	v_cmp_gt_i32_e64 s2, s29, v30
	v_cmp_gt_i32_e64 s3, s29, v36
	v_ashrrev_i32_e32 v37, 31, v36
	v_lshl_add_u32 v71, s52, 5, v24
	v_lshl_add_u64 v[44:45], v[30:31], 3, s[4:5]
	v_add_nc_u32_e32 v73, 0x800, v28
	v_add_nc_u32_e32 v75, 0x1000, v28
	;; [unrolled: 1-line block ×3, first 2 shown]
	s_lshl_b64 s[42:43], s[8:9], 8
	s_lshl_b64 s[8:9], s[14:15], 3
	s_mov_b32 s35, 0
	s_ashr_i32 s41, s30, 31
	s_mov_b32 s40, s30
	s_add_nc_u64 s[44:45], s[38:39], -16
	s_mov_b32 s28, s37
	s_mov_b32 s29, s36
	s_add_nc_u64 s[12:13], s[12:13], s[8:9]
	s_lshl_b64 s[14:15], s[18:19], 3
	s_lshl_b64 s[18:19], s[16:17], 3
	;; [unrolled: 1-line block ×3, first 2 shown]
	s_branch .LBB73_4
.LBB73_3:                               ;   in Loop: Header=BB73_4 Depth=1
	s_add_co_i32 s34, s34, 0x10000
	s_delay_alu instid0(SALU_CYCLE_1)
	s_cmp_ge_u32 s34, s31
	s_cbranch_scc1 .LBB73_62
.LBB73_4:                               ; =>This Loop Header: Depth=1
                                        ;     Child Loop BB73_7 Depth 2
                                        ;       Child Loop BB73_10 Depth 3
	s_and_not1_b32 vcc_lo, exec_lo, s53
	s_cbranch_vccnz .LBB73_3
; %bb.5:                                ;   in Loop: Header=BB73_4 Depth=1
	s_load_b32 s9, s[22:23], 0x4
	v_mad_nc_u64_u32 v[52:53], s10, s34, v[44:45]
	s_mul_u64 s[6:7], s[26:27], s[34:35]
	v_mov_b32_e32 v54, v71
	s_mul_u64 s[4:5], s[14:15], s[34:35]
	s_lshl_b64 s[6:7], s[6:7], 3
	s_add_nc_u64 s[46:47], s[12:13], s[4:5]
	s_add_nc_u64 s[48:49], s[20:21], s[6:7]
	s_mov_b32 s58, s52
	s_delay_alu instid0(VALU_DEP_2)
	v_mad_u32 v53, s11, s34, v53
	s_wait_kmcnt 0x0
	s_lshl_b32 s57, s9, 5
	s_branch .LBB73_7
.LBB73_6:                               ;   in Loop: Header=BB73_7 Depth=2
	s_wait_xcnt 0x0
	s_or_b32 exec_lo, exec_lo, s4
	v_add_nc_u32_e32 v54, s57, v54
	s_add_co_i32 s58, s9, s58
	s_delay_alu instid0(SALU_CYCLE_1)
	s_cmp_gt_i32 s58, s33
	s_cbranch_scc1 .LBB73_3
.LBB73_7:                               ;   Parent Loop BB73_4 Depth=1
                                        ; =>  This Loop Header: Depth=2
                                        ;       Child Loop BB73_10 Depth 3
	v_lshl_add_u32 v56, s58, 5, v24
	v_dual_mov_b32 v76, 0 :: v_dual_mov_b32 v78, 0
	v_dual_mov_b32 v72, 0 :: v_dual_mov_b32 v74, 0
	s_delay_alu instid0(VALU_DEP_3)
	v_dual_mov_b32 v68, 0 :: v_dual_ashrrev_i32 v57, 31, v56
	v_dual_mov_b32 v70, 0 :: v_dual_mov_b32 v66, 0
	v_mov_b32_e32 v64, 0
	s_and_not1_b32 vcc_lo, exec_lo, s55
	s_cbranch_vccnz .LBB73_54
; %bb.8:                                ;   in Loop: Header=BB73_7 Depth=2
	v_dual_mov_b32 v64, 0 :: v_dual_ashrrev_i32 v55, 31, v54
	v_mad_nc_u64_u32 v[58:59], s18, v54, s[46:47]
	v_sub_nc_u64_e32 v[2:3], s[40:41], v[56:57]
	v_mov_b64_e32 v[62:63], v[52:53]
	s_delay_alu instid0(VALU_DEP_4) | instskip(SKIP_2) | instid1(VALU_DEP_3)
	v_lshl_add_u64 v[0:1], v[54:55], 3, 0x80
	v_dual_mov_b32 v66, 0 :: v_dual_mov_b32 v70, 0
	v_dual_mov_b32 v68, 0 :: v_dual_mov_b32 v74, 0
	v_mad_nc_u64_u32 v[60:61], s16, v0, s[46:47]
	v_cmp_lt_i64_e64 s4, 16, v[2:3]
	v_dual_mov_b32 v72, 0 :: v_dual_mov_b32 v78, 0
	v_mad_u32 v4, s19, v54, v59
	v_mov_b32_e32 v76, 0
	s_mov_b64 s[50:51], 0
	v_cmp_lt_i64_e32 vcc_lo, 0, v[2:3]
	v_mad_u32 v0, s17, v0, v61
	s_delay_alu instid0(VALU_DEP_4) | instskip(NEXT) | instid1(VALU_DEP_2)
	v_mad_u32 v59, s18, v55, v4
	v_mad_u32 v61, s16, v1, v0
	s_branch .LBB73_10
.LBB73_9:                               ;   in Loop: Header=BB73_10 Depth=3
	s_wait_xcnt 0x0
	s_or_b32 exec_lo, exec_lo, s5
	s_wait_dscnt 0x0
	s_barrier_signal -1
	s_barrier_wait -1
	ds_load_b128 v[16:19], v65
	ds_load_2addr_b64 v[80:83], v28 offset1:16
	ds_load_b128 v[20:23], v65 offset:4096
	ds_load_b128 v[8:11], v65 offset:16
	ds_load_2addr_b64 v[84:87], v28 offset0:32 offset1:48
	ds_load_b128 v[12:15], v65 offset:4112
	ds_load_b128 v[4:7], v65 offset:32
	;; [unrolled: 1-line block ×3, first 2 shown]
	v_add_nc_u64_e32 v[58:59], 0x100, v[58:59]
	v_add_nc_u64_e32 v[62:63], s[42:43], v[62:63]
	v_add_nc_u64_e32 v[60:61], 0x100, v[60:61]
	s_add_nc_u64 s[50:51], s[50:51], 32
	s_delay_alu instid0(SALU_CYCLE_1) | instskip(NEXT) | instid1(SALU_CYCLE_1)
	s_sub_co_i32 s5, s50, 32
	s_cmp_ge_i32 s5, s54
	s_wait_dscnt 0x6
	v_dual_mul_f32 v55, v17, v81 :: v_dual_mul_f32 v79, v16, v81
	v_dual_mul_f32 v88, v17, v83 :: v_dual_mul_f32 v89, v16, v83
	s_wait_dscnt 0x5
	v_dual_mul_f32 v90, v21, v81 :: v_dual_mul_f32 v81, v20, v81
	v_dual_mul_f32 v91, v21, v83 :: v_dual_mul_f32 v83, v20, v83
	s_delay_alu instid0(VALU_DEP_3) | instskip(SKIP_1) | instid1(VALU_DEP_4)
	v_dual_fma_f32 v55, v16, v80, -v55 :: v_dual_fma_f32 v16, v16, v82, -v88
	v_dual_fmac_f32 v79, v17, v80 :: v_dual_fmac_f32 v89, v17, v82
	v_dual_fma_f32 v17, v20, v80, -v90 :: v_dual_fmac_f32 v81, v21, v80
	s_delay_alu instid0(VALU_DEP_4) | instskip(NEXT) | instid1(VALU_DEP_4)
	v_fma_f32 v20, v20, v82, -v91
	v_add_f32_e32 v55, v76, v55
	s_delay_alu instid0(VALU_DEP_4) | instskip(NEXT) | instid1(VALU_DEP_4)
	v_dual_add_f32 v76, v78, v79 :: v_dual_add_f32 v16, v72, v16
	v_dual_add_f32 v17, v68, v17 :: v_dual_fmac_f32 v83, v21, v82
	v_add_f32_e32 v68, v70, v81
	s_wait_dscnt 0x3
	v_dual_mul_f32 v70, v19, v85 :: v_dual_add_f32 v20, v66, v20
	ds_load_2addr_b64 v[78:81], v28 offset0:64 offset1:80
	v_mul_f32_e32 v21, v18, v85
	v_add_f32_e32 v72, v74, v89
	v_dual_fma_f32 v66, v18, v84, -v70 :: v_dual_mul_f32 v70, v19, v87
	s_delay_alu instid0(VALU_DEP_3) | instskip(NEXT) | instid1(VALU_DEP_2)
	v_dual_add_f32 v64, v64, v83 :: v_dual_fmac_f32 v21, v19, v84
	v_dual_mul_f32 v74, v18, v87 :: v_dual_add_f32 v55, v55, v66
	s_delay_alu instid0(VALU_DEP_3) | instskip(NEXT) | instid1(VALU_DEP_2)
	v_dual_fma_f32 v18, v18, v86, -v70 :: v_dual_mul_f32 v66, v23, v85
	v_dual_add_f32 v21, v76, v21 :: v_dual_fmac_f32 v74, v19, v86
	s_delay_alu instid0(VALU_DEP_2) | instskip(NEXT) | instid1(VALU_DEP_3)
	v_dual_mul_f32 v19, v22, v85 :: v_dual_add_f32 v70, v16, v18
	v_dual_fma_f32 v16, v22, v84, -v66 :: v_dual_mul_f32 v18, v23, v87
	s_delay_alu instid0(VALU_DEP_2) | instskip(NEXT) | instid1(VALU_DEP_2)
	v_dual_add_f32 v66, v72, v74 :: v_dual_fmac_f32 v19, v23, v84
	v_dual_mul_f32 v72, v22, v87 :: v_dual_add_f32 v74, v17, v16
	s_wait_dscnt 0x0
	s_delay_alu instid0(VALU_DEP_3) | instskip(NEXT) | instid1(VALU_DEP_3)
	v_dual_fma_f32 v16, v22, v86, -v18 :: v_dual_mul_f32 v17, v9, v79
	v_dual_add_f32 v22, v68, v19 :: v_dual_mul_f32 v76, v9, v81
	s_delay_alu instid0(VALU_DEP_3) | instskip(NEXT) | instid1(VALU_DEP_3)
	v_dual_fmac_f32 v72, v23, v86 :: v_dual_mul_f32 v23, v8, v79
	v_fma_f32 v68, v8, v78, -v17
	s_delay_alu instid0(VALU_DEP_4) | instskip(SKIP_3) | instid1(VALU_DEP_2)
	v_add_f32_e32 v20, v20, v16
	ds_load_2addr_b64 v[16:19], v28 offset0:96 offset1:112
	v_dual_fmac_f32 v23, v9, v78 :: v_dual_add_f32 v55, v55, v68
	v_dual_mul_f32 v68, v8, v81 :: v_dual_fma_f32 v8, v8, v80, -v76
	v_dual_add_f32 v64, v64, v72 :: v_dual_add_f32 v72, v21, v23
	v_dual_mul_f32 v21, v13, v79 :: v_dual_mul_f32 v23, v12, v79
	s_delay_alu instid0(VALU_DEP_3) | instskip(NEXT) | instid1(VALU_DEP_4)
	v_fmac_f32_e32 v68, v9, v80
	v_dual_add_f32 v8, v70, v8 :: v_dual_mul_f32 v9, v13, v81
	s_delay_alu instid0(VALU_DEP_3) | instskip(NEXT) | instid1(VALU_DEP_3)
	v_dual_fma_f32 v21, v12, v78, -v21 :: v_dual_fmac_f32 v23, v13, v78
	v_dual_mul_f32 v70, v12, v81 :: v_dual_add_f32 v66, v66, v68
	s_delay_alu instid0(VALU_DEP_2) | instskip(NEXT) | instid1(VALU_DEP_2)
	v_dual_fma_f32 v9, v12, v80, -v9 :: v_dual_add_f32 v12, v74, v21
	v_dual_add_f32 v68, v22, v23 :: v_dual_fmac_f32 v70, v13, v80
	s_wait_dscnt 0x0
	v_dual_mul_f32 v13, v11, v17 :: v_dual_mul_f32 v74, v10, v17
	s_delay_alu instid0(VALU_DEP_3) | instskip(SKIP_3) | instid1(VALU_DEP_2)
	v_dual_add_f32 v9, v20, v9 :: v_dual_mul_f32 v76, v11, v19
	ds_load_2addr_b64 v[20:23], v28 offset0:128 offset1:144
	v_dual_fma_f32 v13, v10, v16, -v13 :: v_dual_add_f32 v64, v64, v70
	v_dual_mul_f32 v70, v10, v19 :: v_dual_fmac_f32 v74, v11, v16
	v_dual_fma_f32 v10, v10, v18, -v76 :: v_dual_add_f32 v55, v55, v13
	v_mul_f32_e32 v13, v15, v17
	s_delay_alu instid0(VALU_DEP_3) | instskip(NEXT) | instid1(VALU_DEP_4)
	v_fmac_f32_e32 v70, v11, v18
	v_add_f32_e32 v11, v72, v74
	s_delay_alu instid0(VALU_DEP_4) | instskip(NEXT) | instid1(VALU_DEP_4)
	v_dual_add_f32 v72, v8, v10 :: v_dual_mul_f32 v8, v14, v17
	v_fma_f32 v10, v14, v16, -v13
	s_delay_alu instid0(VALU_DEP_4) | instskip(SKIP_4) | instid1(VALU_DEP_2)
	v_dual_add_f32 v17, v66, v70 :: v_dual_mul_f32 v13, v15, v19
	ds_load_b128 v[78:81], v65 offset:4128
	v_dual_fmac_f32 v8, v15, v16 :: v_dual_add_f32 v16, v12, v10
	v_dual_mul_f32 v10, v14, v19 :: v_dual_fma_f32 v12, v14, v18, -v13
	s_wait_dscnt 0x1
	v_dual_mul_f32 v13, v5, v21 :: v_dual_add_f32 v19, v68, v8
	s_delay_alu instid0(VALU_DEP_2) | instskip(NEXT) | instid1(VALU_DEP_3)
	v_dual_mul_f32 v8, v4, v21 :: v_dual_fmac_f32 v10, v15, v18
	v_add_f32_e32 v18, v9, v12
	s_delay_alu instid0(VALU_DEP_3) | instskip(SKIP_3) | instid1(VALU_DEP_2)
	v_fma_f32 v9, v4, v20, -v13
	ds_load_2addr_b64 v[12:15], v28 offset0:160 offset1:176
	v_dual_fmac_f32 v8, v5, v20 :: v_dual_mul_f32 v66, v5, v23
	v_dual_add_f32 v64, v64, v10 :: v_dual_add_f32 v55, v55, v9
	v_dual_mul_f32 v68, v4, v23 :: v_dual_add_f32 v70, v11, v8
	ds_load_b128 v[8:11], v65 offset:4144
	s_wait_dscnt 0x2
	v_dual_fma_f32 v4, v4, v22, -v66 :: v_dual_mul_f32 v66, v79, v21
	v_dual_fmac_f32 v68, v5, v22 :: v_dual_mul_f32 v5, v78, v21
	s_delay_alu instid0(VALU_DEP_2) | instskip(NEXT) | instid1(VALU_DEP_3)
	v_dual_mul_f32 v21, v79, v23 :: v_dual_add_f32 v4, v72, v4
	v_fma_f32 v66, v78, v20, -v66
	s_delay_alu instid0(VALU_DEP_3) | instskip(NEXT) | instid1(VALU_DEP_4)
	v_dual_add_f32 v17, v17, v68 :: v_dual_mul_f32 v68, v78, v23
	v_fmac_f32_e32 v5, v79, v20
	s_delay_alu instid0(VALU_DEP_4) | instskip(SKIP_3) | instid1(VALU_DEP_3)
	v_fma_f32 v20, v78, v22, -v21
	s_wait_dscnt 0x1
	v_dual_add_f32 v16, v16, v66 :: v_dual_mul_f32 v21, v7, v13
	v_fmac_f32_e32 v68, v79, v22
	v_dual_add_f32 v5, v19, v5 :: v_dual_add_f32 v66, v18, v20
	s_delay_alu instid0(VALU_DEP_3) | instskip(SKIP_4) | instid1(VALU_DEP_3)
	v_dual_mul_f32 v18, v6, v13 :: v_dual_fma_f32 v19, v6, v12, -v21
	ds_load_2addr_b64 v[20:23], v28 offset0:192 offset1:208
	v_dual_mul_f32 v72, v7, v15 :: v_dual_add_f32 v64, v64, v68
	v_fmac_f32_e32 v18, v7, v12
	v_add_f32_e32 v55, v55, v19
	v_dual_mul_f32 v19, v6, v15 :: v_dual_fma_f32 v6, v6, v14, -v72
	v_dual_mul_f32 v68, v81, v13 :: v_dual_mul_f32 v13, v80, v13
	s_delay_alu instid0(VALU_DEP_4) | instskip(NEXT) | instid1(VALU_DEP_3)
	v_add_f32_e32 v70, v70, v18
	v_fmac_f32_e32 v19, v7, v14
	s_delay_alu instid0(VALU_DEP_4) | instskip(NEXT) | instid1(VALU_DEP_4)
	v_dual_add_f32 v4, v4, v6 :: v_dual_mul_f32 v7, v81, v15
	v_dual_fma_f32 v6, v80, v12, -v68 :: v_dual_fmac_f32 v13, v81, v12
	s_delay_alu instid0(VALU_DEP_3) | instskip(NEXT) | instid1(VALU_DEP_3)
	v_add_f32_e32 v12, v17, v19
	v_dual_mul_f32 v15, v80, v15 :: v_dual_fma_f32 v7, v80, v14, -v7
	s_delay_alu instid0(VALU_DEP_3)
	v_dual_add_f32 v6, v16, v6 :: v_dual_add_f32 v5, v5, v13
	s_wait_dscnt 0x0
	v_mul_f32_e32 v13, v1, v21
	ds_load_2addr_b64 v[16:19], v28 offset0:224 offset1:240
	v_dual_fmac_f32 v15, v81, v14 :: v_dual_mul_f32 v14, v0, v21
	v_dual_add_f32 v7, v66, v7 :: v_dual_fma_f32 v13, v0, v20, -v13
	v_dual_mul_f32 v66, v1, v23 :: v_dual_mul_f32 v68, v0, v23
	s_delay_alu instid0(VALU_DEP_3) | instskip(NEXT) | instid1(VALU_DEP_2)
	v_dual_fmac_f32 v14, v1, v20 :: v_dual_add_f32 v64, v64, v15
	v_dual_add_f32 v55, v55, v13 :: v_dual_fma_f32 v0, v0, v22, -v66
	s_delay_alu instid0(VALU_DEP_3) | instskip(SKIP_1) | instid1(VALU_DEP_3)
	v_fmac_f32_e32 v68, v1, v22
	v_dual_mul_f32 v1, v9, v21 :: v_dual_mul_f32 v13, v8, v21
	v_dual_add_f32 v66, v70, v14 :: v_dual_add_f32 v0, v4, v0
	s_delay_alu instid0(VALU_DEP_3) | instskip(NEXT) | instid1(VALU_DEP_3)
	v_dual_mul_f32 v4, v9, v23 :: v_dual_add_f32 v68, v12, v68
	v_dual_fma_f32 v1, v8, v20, -v1 :: v_dual_mul_f32 v70, v8, v23
	s_delay_alu instid0(VALU_DEP_2) | instskip(SKIP_2) | instid1(VALU_DEP_3)
	v_dual_fmac_f32 v13, v9, v20 :: v_dual_fma_f32 v4, v8, v22, -v4
	s_wait_dscnt 0x0
	v_mul_f32_e32 v8, v3, v17
	v_dual_add_f32 v1, v6, v1 :: v_dual_fmac_f32 v70, v9, v22
	s_delay_alu instid0(VALU_DEP_3) | instskip(NEXT) | instid1(VALU_DEP_3)
	v_dual_add_f32 v72, v5, v13 :: v_dual_add_f32 v9, v7, v4
	v_dual_fma_f32 v4, v2, v16, -v8 :: v_dual_mul_f32 v5, v2, v17
	s_delay_alu instid0(VALU_DEP_3)
	v_dual_mul_f32 v6, v3, v19 :: v_dual_add_f32 v64, v64, v70
	ds_load_b128 v[12:15], v65 offset:64
	ds_load_2addr_b64 v[20:23], v73 offset1:16
	v_dual_mul_f32 v7, v2, v19 :: v_dual_fmac_f32 v5, v3, v16
	v_dual_add_f32 v55, v55, v4 :: v_dual_fma_f32 v2, v2, v18, -v6
	v_mul_f32_e32 v4, v11, v17
	s_delay_alu instid0(VALU_DEP_3) | instskip(NEXT) | instid1(VALU_DEP_3)
	v_dual_fmac_f32 v7, v3, v18 :: v_dual_add_f32 v66, v66, v5
	v_dual_mul_f32 v3, v10, v17 :: v_dual_add_f32 v17, v0, v2
	s_delay_alu instid0(VALU_DEP_3)
	v_dual_fma_f32 v0, v10, v16, -v4 :: v_dual_mul_f32 v2, v11, v19
	ds_load_b128 v[78:81], v65 offset:4160
	v_dual_add_f32 v68, v68, v7 :: v_dual_fmac_f32 v3, v11, v16
	v_dual_add_f32 v16, v1, v0 :: v_dual_fma_f32 v0, v10, v18, -v2
	v_mul_f32_e32 v1, v10, v19
	ds_load_b128 v[4:7], v65 offset:80
	s_wait_dscnt 0x2
	v_dual_add_f32 v19, v72, v3 :: v_dual_mul_f32 v2, v13, v21
	v_dual_mul_f32 v3, v12, v21 :: v_dual_fmac_f32 v1, v11, v18
	v_add_f32_e32 v18, v9, v0
	ds_load_2addr_b64 v[8:11], v73 offset0:32 offset1:48
	v_dual_fma_f32 v0, v12, v20, -v2 :: v_dual_fmac_f32 v3, v13, v20
	v_dual_mul_f32 v2, v13, v23 :: v_dual_add_f32 v64, v64, v1
	s_delay_alu instid0(VALU_DEP_2) | instskip(NEXT) | instid1(VALU_DEP_2)
	v_dual_add_f32 v55, v55, v0 :: v_dual_mul_f32 v70, v12, v23
	v_dual_fma_f32 v12, v12, v22, -v2 :: v_dual_add_f32 v66, v66, v3
	s_wait_dscnt 0x2
	v_mul_f32_e32 v72, v79, v21
	ds_load_b128 v[0:3], v65 offset:4176
	v_dual_fmac_f32 v70, v13, v22 :: v_dual_mul_f32 v13, v78, v21
	v_dual_add_f32 v12, v17, v12 :: v_dual_mul_f32 v17, v79, v23
	s_delay_alu instid0(VALU_DEP_2) | instskip(NEXT) | instid1(VALU_DEP_3)
	v_dual_fma_f32 v21, v78, v20, -v72 :: v_dual_add_f32 v68, v68, v70
	v_dual_fmac_f32 v13, v79, v20 :: v_dual_mul_f32 v20, v78, v23
	s_delay_alu instid0(VALU_DEP_2) | instskip(SKIP_2) | instid1(VALU_DEP_3)
	v_dual_fma_f32 v17, v78, v22, -v17 :: v_dual_add_f32 v21, v16, v21
	s_wait_dscnt 0x1
	v_dual_mul_f32 v16, v15, v9 :: v_dual_mul_f32 v23, v14, v9
	v_add_f32_e32 v13, v19, v13
	s_delay_alu instid0(VALU_DEP_3) | instskip(NEXT) | instid1(VALU_DEP_3)
	v_dual_fmac_f32 v20, v79, v22 :: v_dual_add_f32 v22, v18, v17
	v_fma_f32 v70, v14, v8, -v16
	ds_load_2addr_b64 v[16:19], v73 offset0:64 offset1:80
	v_dual_mul_f32 v72, v15, v11 :: v_dual_add_f32 v20, v64, v20
	v_dual_fmac_f32 v23, v15, v8 :: v_dual_mul_f32 v64, v14, v11
	v_dual_add_f32 v55, v55, v70 :: v_dual_mul_f32 v70, v81, v9
	s_delay_alu instid0(VALU_DEP_3) | instskip(NEXT) | instid1(VALU_DEP_3)
	v_dual_fma_f32 v14, v14, v10, -v72 :: v_dual_mul_f32 v9, v80, v9
	v_dual_add_f32 v23, v66, v23 :: v_dual_fmac_f32 v64, v15, v10
	s_delay_alu instid0(VALU_DEP_2) | instskip(NEXT) | instid1(VALU_DEP_4)
	v_dual_add_f32 v66, v12, v14 :: v_dual_fmac_f32 v9, v81, v8
	v_dual_fma_f32 v12, v80, v8, -v70 :: v_dual_mul_f32 v8, v81, v11
	s_delay_alu instid0(VALU_DEP_3) | instskip(NEXT) | instid1(VALU_DEP_3)
	v_add_f32_e32 v64, v68, v64
	v_dual_mul_f32 v11, v80, v11 :: v_dual_add_f32 v9, v13, v9
	s_delay_alu instid0(VALU_DEP_3)
	v_dual_add_f32 v21, v21, v12 :: v_dual_fma_f32 v8, v80, v10, -v8
	s_wait_dscnt 0x0
	v_mul_f32_e32 v68, v5, v17
	ds_load_2addr_b64 v[12:15], v73 offset0:96 offset1:112
	v_dual_fmac_f32 v11, v81, v10 :: v_dual_mul_f32 v10, v4, v17
	v_add_f32_e32 v8, v22, v8
	v_dual_fma_f32 v22, v4, v16, -v68 :: v_dual_mul_f32 v68, v5, v19
	s_delay_alu instid0(VALU_DEP_3) | instskip(NEXT) | instid1(VALU_DEP_2)
	v_dual_fmac_f32 v10, v5, v16 :: v_dual_mul_f32 v70, v4, v19
	v_add_f32_e32 v22, v55, v22
	s_delay_alu instid0(VALU_DEP_3) | instskip(NEXT) | instid1(VALU_DEP_3)
	v_fma_f32 v4, v4, v18, -v68
	v_dual_add_f32 v20, v20, v11 :: v_dual_add_f32 v23, v23, v10
	s_delay_alu instid0(VALU_DEP_4) | instskip(SKIP_1) | instid1(VALU_DEP_4)
	v_fmac_f32_e32 v70, v5, v18
	v_dual_mul_f32 v5, v1, v17 :: v_dual_mul_f32 v10, v0, v17
	v_dual_add_f32 v4, v66, v4 :: v_dual_mul_f32 v11, v1, v19
	s_delay_alu instid0(VALU_DEP_3) | instskip(NEXT) | instid1(VALU_DEP_3)
	v_add_f32_e32 v55, v64, v70
	v_dual_fma_f32 v5, v0, v16, -v5 :: v_dual_mul_f32 v64, v0, v19
	s_delay_alu instid0(VALU_DEP_3) | instskip(SKIP_2) | instid1(VALU_DEP_3)
	v_dual_fmac_f32 v10, v1, v16 :: v_dual_fma_f32 v0, v0, v18, -v11
	s_wait_dscnt 0x0
	v_mul_f32_e32 v11, v7, v13
	v_add_f32_e32 v5, v21, v5
	v_dual_fmac_f32 v64, v1, v18 :: v_dual_mul_f32 v21, v6, v13
	s_delay_alu instid0(VALU_DEP_3)
	v_dual_add_f32 v66, v9, v10 :: v_dual_fma_f32 v1, v6, v12, -v11
	v_add_f32_e32 v0, v8, v0
	ds_load_b128 v[8:11], v65 offset:96
	ds_load_2addr_b64 v[16:19], v73 offset0:128 offset1:144
	v_dual_mul_f32 v68, v7, v15 :: v_dual_add_f32 v64, v20, v64
	v_dual_fmac_f32 v21, v7, v12 :: v_dual_mul_f32 v20, v6, v15
	v_add_f32_e32 v1, v22, v1
	s_delay_alu instid0(VALU_DEP_3) | instskip(NEXT) | instid1(VALU_DEP_3)
	v_dual_fma_f32 v6, v6, v14, -v68 :: v_dual_mul_f32 v22, v3, v13
	v_add_f32_e32 v68, v23, v21
	s_delay_alu instid0(VALU_DEP_4) | instskip(NEXT) | instid1(VALU_DEP_3)
	v_dual_fmac_f32 v20, v7, v14 :: v_dual_mul_f32 v13, v2, v13
	v_dual_add_f32 v70, v4, v6 :: v_dual_fma_f32 v4, v2, v12, -v22
	v_mul_f32_e32 v6, v3, v15
	s_delay_alu instid0(VALU_DEP_3) | instskip(NEXT) | instid1(VALU_DEP_4)
	v_add_f32_e32 v55, v55, v20
	v_fmac_f32_e32 v13, v3, v12
	ds_load_b128 v[20:23], v65 offset:4192
	v_dual_add_f32 v72, v5, v4 :: v_dual_fma_f32 v12, v2, v14, -v6
	s_wait_dscnt 0x1
	v_dual_mul_f32 v2, v2, v15 :: v_dual_mul_f32 v15, v9, v17
	v_mul_f32_e32 v74, v8, v17
	s_delay_alu instid0(VALU_DEP_3) | instskip(NEXT) | instid1(VALU_DEP_3)
	v_dual_add_f32 v66, v66, v13 :: v_dual_add_f32 v76, v0, v12
	v_dual_fmac_f32 v2, v3, v14 :: v_dual_fma_f32 v0, v8, v16, -v15
	s_delay_alu instid0(VALU_DEP_3)
	v_fmac_f32_e32 v74, v9, v16
	ds_load_2addr_b64 v[12:15], v73 offset0:160 offset1:176
	v_dual_mul_f32 v3, v9, v19 :: v_dual_mul_f32 v79, v8, v19
	ds_load_b128 v[4:7], v65 offset:112
	v_add_f32_e32 v68, v68, v74
	v_dual_add_f32 v64, v64, v2 :: v_dual_add_f32 v78, v1, v0
	v_fma_f32 v8, v8, v18, -v3
	s_wait_dscnt 0x2
	v_dual_fmac_f32 v79, v9, v18 :: v_dual_mul_f32 v9, v20, v17
	v_dual_mul_f32 v74, v21, v17 :: v_dual_mul_f32 v17, v21, v19
	s_delay_alu instid0(VALU_DEP_2) | instskip(NEXT) | instid1(VALU_DEP_2)
	v_dual_add_f32 v8, v70, v8 :: v_dual_add_f32 v55, v55, v79
	v_dual_fmac_f32 v9, v21, v16 :: v_dual_fma_f32 v70, v20, v16, -v74
	s_delay_alu instid0(VALU_DEP_3)
	v_dual_mul_f32 v74, v20, v19 :: v_dual_fma_f32 v16, v20, v18, -v17
	ds_load_b128 v[0:3], v65 offset:4208
	v_dual_add_f32 v9, v66, v9 :: v_dual_add_f32 v20, v72, v70
	s_wait_dscnt 0x2
	v_dual_mul_f32 v17, v11, v13 :: v_dual_fmac_f32 v74, v21, v18
	v_dual_add_f32 v21, v76, v16 :: v_dual_mul_f32 v66, v10, v13
	s_delay_alu instid0(VALU_DEP_2)
	v_dual_mul_f32 v72, v11, v15 :: v_dual_fma_f32 v70, v10, v12, -v17
	ds_load_2addr_b64 v[16:19], v73 offset0:192 offset1:208
	v_dual_add_f32 v64, v64, v74 :: v_dual_fmac_f32 v66, v11, v12
	v_dual_mul_f32 v74, v10, v15 :: v_dual_fma_f32 v10, v10, v14, -v72
	v_dual_mul_f32 v72, v23, v13 :: v_dual_mul_f32 v13, v22, v13
	v_add_f32_e32 v70, v78, v70
	s_delay_alu instid0(VALU_DEP_4) | instskip(NEXT) | instid1(VALU_DEP_4)
	v_add_f32_e32 v66, v68, v66
	v_dual_fmac_f32 v74, v11, v14 :: v_dual_mul_f32 v68, v22, v15
	s_delay_alu instid0(VALU_DEP_4) | instskip(SKIP_1) | instid1(VALU_DEP_3)
	v_dual_add_f32 v8, v8, v10 :: v_dual_fmac_f32 v13, v23, v12
	v_dual_fma_f32 v10, v22, v12, -v72 :: v_dual_mul_f32 v11, v23, v15
	v_add_f32_e32 v55, v55, v74
	s_delay_alu instid0(VALU_DEP_3) | instskip(NEXT) | instid1(VALU_DEP_3)
	v_dual_fmac_f32 v68, v23, v14 :: v_dual_add_f32 v9, v9, v13
	v_add_f32_e32 v10, v20, v10
	s_wait_dscnt 0x0
	v_dual_fma_f32 v11, v22, v14, -v11 :: v_dual_mul_f32 v20, v5, v17
	ds_load_2addr_b64 v[12:15], v73 offset0:224 offset1:240
	v_dual_mul_f32 v22, v4, v17 :: v_dual_add_f32 v11, v21, v11
	v_dual_fma_f32 v20, v4, v16, -v20 :: v_dual_mul_f32 v21, v5, v19
	s_delay_alu instid0(VALU_DEP_2) | instskip(SKIP_1) | instid1(VALU_DEP_3)
	v_dual_fmac_f32 v22, v5, v16 :: v_dual_mul_f32 v23, v4, v19
	v_add_f32_e32 v64, v64, v68
	v_dual_add_f32 v20, v70, v20 :: v_dual_fma_f32 v4, v4, v18, -v21
	s_delay_alu instid0(VALU_DEP_3) | instskip(NEXT) | instid1(VALU_DEP_4)
	v_add_f32_e32 v21, v66, v22
	v_fmac_f32_e32 v23, v5, v18
	v_dual_mul_f32 v5, v1, v17 :: v_dual_mul_f32 v17, v0, v17
	s_delay_alu instid0(VALU_DEP_4) | instskip(NEXT) | instid1(VALU_DEP_2)
	v_dual_add_f32 v4, v8, v4 :: v_dual_mul_f32 v8, v1, v19
	v_dual_add_f32 v22, v55, v23 :: v_dual_fma_f32 v5, v0, v16, -v5
	s_delay_alu instid0(VALU_DEP_3) | instskip(SKIP_1) | instid1(VALU_DEP_3)
	v_dual_fmac_f32 v17, v1, v16 :: v_dual_mul_f32 v23, v0, v19
	s_wait_dscnt 0x0
	v_dual_fma_f32 v0, v0, v18, -v8 :: v_dual_mul_f32 v8, v7, v13
	s_delay_alu instid0(VALU_DEP_3) | instskip(NEXT) | instid1(VALU_DEP_3)
	v_add_f32_e32 v5, v10, v5
	v_add_f32_e32 v55, v9, v17
	s_delay_alu instid0(VALU_DEP_3) | instskip(NEXT) | instid1(VALU_DEP_4)
	v_dual_fmac_f32 v23, v1, v18 :: v_dual_add_f32 v0, v11, v0
	v_dual_fma_f32 v1, v6, v12, -v8 :: v_dual_mul_f32 v66, v6, v13
	ds_load_b128 v[8:11], v65 offset:128
	ds_load_2addr_b64 v[16:19], v75 offset1:16
	v_dual_mul_f32 v68, v7, v15 :: v_dual_add_f32 v1, v20, v1
	v_dual_fmac_f32 v66, v7, v12 :: v_dual_add_f32 v64, v64, v23
	s_delay_alu instid0(VALU_DEP_2) | instskip(NEXT) | instid1(VALU_DEP_2)
	v_dual_mul_f32 v23, v6, v15 :: v_dual_fma_f32 v6, v6, v14, -v68
	v_dual_mul_f32 v20, v3, v13 :: v_dual_add_f32 v66, v21, v66
	s_delay_alu instid0(VALU_DEP_2) | instskip(NEXT) | instid1(VALU_DEP_2)
	v_dual_mul_f32 v13, v2, v13 :: v_dual_fmac_f32 v23, v7, v14
	v_dual_add_f32 v68, v4, v6 :: v_dual_fma_f32 v4, v2, v12, -v20
	s_delay_alu instid0(VALU_DEP_2) | instskip(NEXT) | instid1(VALU_DEP_3)
	v_dual_mul_f32 v6, v3, v15 :: v_dual_fmac_f32 v13, v3, v12
	v_add_f32_e32 v70, v22, v23
	ds_load_b128 v[20:23], v65 offset:4224
	v_dual_add_f32 v72, v5, v4 :: v_dual_fma_f32 v12, v2, v14, -v6
	s_wait_dscnt 0x1
	v_dual_mul_f32 v2, v2, v15 :: v_dual_mul_f32 v15, v9, v17
	v_mul_f32_e32 v74, v8, v17
	s_delay_alu instid0(VALU_DEP_3) | instskip(NEXT) | instid1(VALU_DEP_3)
	v_dual_add_f32 v55, v55, v13 :: v_dual_add_f32 v76, v0, v12
	v_dual_fmac_f32 v2, v3, v14 :: v_dual_fma_f32 v0, v8, v16, -v15
	ds_load_2addr_b64 v[12:15], v75 offset0:32 offset1:48
	v_dual_fmac_f32 v74, v9, v16 :: v_dual_mul_f32 v3, v9, v19
	v_mul_f32_e32 v79, v8, v19
	ds_load_b128 v[4:7], v65 offset:144
	v_dual_add_f32 v64, v64, v2 :: v_dual_add_f32 v78, v1, v0
	v_add_f32_e32 v66, v66, v74
	v_fma_f32 v8, v8, v18, -v3
	s_wait_dscnt 0x2
	v_dual_fmac_f32 v79, v9, v18 :: v_dual_mul_f32 v9, v20, v17
	v_dual_mul_f32 v74, v21, v17 :: v_dual_mul_f32 v17, v21, v19
	s_delay_alu instid0(VALU_DEP_2) | instskip(NEXT) | instid1(VALU_DEP_2)
	v_dual_add_f32 v8, v68, v8 :: v_dual_add_f32 v70, v70, v79
	v_dual_fmac_f32 v9, v21, v16 :: v_dual_fma_f32 v68, v20, v16, -v74
	s_delay_alu instid0(VALU_DEP_3)
	v_dual_mul_f32 v74, v20, v19 :: v_dual_fma_f32 v16, v20, v18, -v17
	ds_load_b128 v[0:3], v65 offset:4240
	s_wait_dscnt 0x2
	v_dual_mul_f32 v17, v11, v13 :: v_dual_add_f32 v20, v72, v68
	v_dual_add_f32 v9, v55, v9 :: v_dual_fmac_f32 v74, v21, v18
	v_dual_add_f32 v21, v76, v16 :: v_dual_mul_f32 v55, v10, v13
	s_delay_alu instid0(VALU_DEP_3) | instskip(SKIP_4) | instid1(VALU_DEP_3)
	v_fma_f32 v68, v10, v12, -v17
	ds_load_2addr_b64 v[16:19], v75 offset0:64 offset1:80
	v_dual_mul_f32 v72, v11, v15 :: v_dual_add_f32 v64, v64, v74
	v_dual_fmac_f32 v55, v11, v12 :: v_dual_mul_f32 v74, v10, v15
	v_add_f32_e32 v68, v78, v68
	v_dual_fma_f32 v10, v10, v14, -v72 :: v_dual_mul_f32 v72, v23, v13
	s_delay_alu instid0(VALU_DEP_3) | instskip(NEXT) | instid1(VALU_DEP_2)
	v_dual_fmac_f32 v74, v11, v14 :: v_dual_mul_f32 v13, v22, v13
	v_dual_add_f32 v8, v8, v10 :: v_dual_add_f32 v55, v66, v55
	s_delay_alu instid0(VALU_DEP_3) | instskip(NEXT) | instid1(VALU_DEP_3)
	v_dual_fma_f32 v10, v22, v12, -v72 :: v_dual_mul_f32 v11, v23, v15
	v_dual_fmac_f32 v13, v23, v12 :: v_dual_add_f32 v66, v70, v74
	s_delay_alu instid0(VALU_DEP_2) | instskip(SKIP_1) | instid1(VALU_DEP_3)
	v_dual_mul_f32 v70, v22, v15 :: v_dual_add_f32 v10, v20, v10
	s_wait_dscnt 0x0
	v_dual_fma_f32 v11, v22, v14, -v11 :: v_dual_mul_f32 v20, v5, v17
	s_delay_alu instid0(VALU_DEP_2)
	v_dual_add_f32 v9, v9, v13 :: v_dual_fmac_f32 v70, v23, v14
	v_mul_f32_e32 v22, v4, v17
	ds_load_2addr_b64 v[12:15], v75 offset0:96 offset1:112
	v_dual_add_f32 v11, v21, v11 :: v_dual_fma_f32 v20, v4, v16, -v20
	v_dual_mul_f32 v21, v5, v19 :: v_dual_fmac_f32 v22, v5, v16
	v_mul_f32_e32 v23, v4, v19
	v_add_f32_e32 v64, v64, v70
	s_delay_alu instid0(VALU_DEP_4) | instskip(NEXT) | instid1(VALU_DEP_4)
	v_add_f32_e32 v20, v68, v20
	v_fma_f32 v4, v4, v18, -v21
	v_add_f32_e32 v21, v55, v22
	v_fmac_f32_e32 v23, v5, v18
	v_dual_mul_f32 v5, v1, v17 :: v_dual_mul_f32 v17, v0, v17
	s_delay_alu instid0(VALU_DEP_4) | instskip(NEXT) | instid1(VALU_DEP_2)
	v_dual_add_f32 v4, v8, v4 :: v_dual_mul_f32 v8, v1, v19
	v_dual_add_f32 v22, v66, v23 :: v_dual_fma_f32 v5, v0, v16, -v5
	s_delay_alu instid0(VALU_DEP_3) | instskip(SKIP_1) | instid1(VALU_DEP_3)
	v_dual_fmac_f32 v17, v1, v16 :: v_dual_mul_f32 v23, v0, v19
	s_wait_dscnt 0x0
	v_dual_fma_f32 v0, v0, v18, -v8 :: v_dual_mul_f32 v8, v7, v13
	s_delay_alu instid0(VALU_DEP_3) | instskip(NEXT) | instid1(VALU_DEP_3)
	v_add_f32_e32 v5, v10, v5
	v_add_f32_e32 v55, v9, v17
	s_delay_alu instid0(VALU_DEP_3) | instskip(NEXT) | instid1(VALU_DEP_4)
	v_dual_fmac_f32 v23, v1, v18 :: v_dual_add_f32 v0, v11, v0
	v_dual_fma_f32 v1, v6, v12, -v8 :: v_dual_mul_f32 v66, v6, v13
	ds_load_b128 v[8:11], v65 offset:160
	ds_load_2addr_b64 v[16:19], v75 offset0:128 offset1:144
	v_dual_mul_f32 v68, v7, v15 :: v_dual_add_f32 v1, v20, v1
	v_dual_fmac_f32 v66, v7, v12 :: v_dual_add_f32 v64, v64, v23
	s_delay_alu instid0(VALU_DEP_2) | instskip(NEXT) | instid1(VALU_DEP_2)
	v_dual_mul_f32 v23, v6, v15 :: v_dual_fma_f32 v6, v6, v14, -v68
	v_dual_mul_f32 v20, v3, v13 :: v_dual_add_f32 v66, v21, v66
	s_delay_alu instid0(VALU_DEP_2) | instskip(NEXT) | instid1(VALU_DEP_2)
	v_dual_mul_f32 v13, v2, v13 :: v_dual_fmac_f32 v23, v7, v14
	v_dual_add_f32 v68, v4, v6 :: v_dual_fma_f32 v4, v2, v12, -v20
	s_delay_alu instid0(VALU_DEP_2) | instskip(NEXT) | instid1(VALU_DEP_3)
	v_dual_mul_f32 v6, v3, v15 :: v_dual_fmac_f32 v13, v3, v12
	v_add_f32_e32 v70, v22, v23
	ds_load_b128 v[20:23], v65 offset:4256
	v_dual_add_f32 v72, v5, v4 :: v_dual_fma_f32 v12, v2, v14, -v6
	s_wait_dscnt 0x1
	v_dual_mul_f32 v2, v2, v15 :: v_dual_mul_f32 v15, v9, v17
	v_mul_f32_e32 v74, v8, v17
	s_delay_alu instid0(VALU_DEP_3) | instskip(NEXT) | instid1(VALU_DEP_3)
	v_dual_add_f32 v55, v55, v13 :: v_dual_add_f32 v76, v0, v12
	v_dual_fmac_f32 v2, v3, v14 :: v_dual_fma_f32 v0, v8, v16, -v15
	ds_load_2addr_b64 v[12:15], v75 offset0:160 offset1:176
	v_dual_fmac_f32 v74, v9, v16 :: v_dual_mul_f32 v3, v9, v19
	v_mul_f32_e32 v79, v8, v19
	ds_load_b128 v[4:7], v65 offset:176
	v_dual_add_f32 v64, v64, v2 :: v_dual_add_f32 v78, v1, v0
	v_add_f32_e32 v66, v66, v74
	v_fma_f32 v8, v8, v18, -v3
	s_wait_dscnt 0x2
	v_dual_fmac_f32 v79, v9, v18 :: v_dual_mul_f32 v9, v20, v17
	v_dual_mul_f32 v74, v21, v17 :: v_dual_mul_f32 v17, v21, v19
	s_delay_alu instid0(VALU_DEP_2) | instskip(NEXT) | instid1(VALU_DEP_2)
	v_dual_add_f32 v8, v68, v8 :: v_dual_add_f32 v70, v70, v79
	v_dual_fmac_f32 v9, v21, v16 :: v_dual_fma_f32 v68, v20, v16, -v74
	s_delay_alu instid0(VALU_DEP_3)
	v_dual_mul_f32 v74, v20, v19 :: v_dual_fma_f32 v16, v20, v18, -v17
	ds_load_b128 v[0:3], v65 offset:4272
	s_wait_dscnt 0x2
	v_dual_mul_f32 v17, v11, v13 :: v_dual_add_f32 v20, v72, v68
	v_dual_add_f32 v9, v55, v9 :: v_dual_fmac_f32 v74, v21, v18
	v_dual_add_f32 v21, v76, v16 :: v_dual_mul_f32 v55, v10, v13
	s_delay_alu instid0(VALU_DEP_3) | instskip(SKIP_4) | instid1(VALU_DEP_3)
	v_fma_f32 v68, v10, v12, -v17
	ds_load_2addr_b64 v[16:19], v75 offset0:192 offset1:208
	v_dual_mul_f32 v72, v11, v15 :: v_dual_add_f32 v64, v64, v74
	v_dual_fmac_f32 v55, v11, v12 :: v_dual_mul_f32 v74, v10, v15
	v_add_f32_e32 v68, v78, v68
	v_dual_fma_f32 v10, v10, v14, -v72 :: v_dual_mul_f32 v72, v23, v13
	s_delay_alu instid0(VALU_DEP_3) | instskip(NEXT) | instid1(VALU_DEP_2)
	v_dual_fmac_f32 v74, v11, v14 :: v_dual_mul_f32 v13, v22, v13
	v_dual_add_f32 v8, v8, v10 :: v_dual_add_f32 v55, v66, v55
	s_delay_alu instid0(VALU_DEP_3) | instskip(NEXT) | instid1(VALU_DEP_3)
	v_dual_fma_f32 v10, v22, v12, -v72 :: v_dual_mul_f32 v11, v23, v15
	v_dual_fmac_f32 v13, v23, v12 :: v_dual_add_f32 v66, v70, v74
	s_delay_alu instid0(VALU_DEP_2) | instskip(SKIP_1) | instid1(VALU_DEP_3)
	v_dual_mul_f32 v70, v22, v15 :: v_dual_add_f32 v10, v20, v10
	s_wait_dscnt 0x0
	v_dual_fma_f32 v11, v22, v14, -v11 :: v_dual_mul_f32 v20, v5, v17
	s_delay_alu instid0(VALU_DEP_2)
	v_dual_add_f32 v9, v9, v13 :: v_dual_fmac_f32 v70, v23, v14
	v_mul_f32_e32 v22, v4, v17
	ds_load_2addr_b64 v[12:15], v75 offset0:224 offset1:240
	v_dual_add_f32 v11, v21, v11 :: v_dual_fma_f32 v20, v4, v16, -v20
	v_dual_mul_f32 v21, v5, v19 :: v_dual_fmac_f32 v22, v5, v16
	v_mul_f32_e32 v23, v4, v19
	v_add_f32_e32 v64, v64, v70
	s_delay_alu instid0(VALU_DEP_4) | instskip(NEXT) | instid1(VALU_DEP_4)
	v_add_f32_e32 v20, v68, v20
	v_fma_f32 v4, v4, v18, -v21
	v_add_f32_e32 v21, v55, v22
	v_fmac_f32_e32 v23, v5, v18
	v_dual_mul_f32 v5, v1, v17 :: v_dual_mul_f32 v17, v0, v17
	s_delay_alu instid0(VALU_DEP_4) | instskip(NEXT) | instid1(VALU_DEP_2)
	v_dual_add_f32 v4, v8, v4 :: v_dual_mul_f32 v8, v1, v19
	v_dual_add_f32 v22, v66, v23 :: v_dual_fma_f32 v5, v0, v16, -v5
	s_delay_alu instid0(VALU_DEP_3) | instskip(SKIP_1) | instid1(VALU_DEP_3)
	v_dual_fmac_f32 v17, v1, v16 :: v_dual_mul_f32 v23, v0, v19
	s_wait_dscnt 0x0
	v_dual_fma_f32 v0, v0, v18, -v8 :: v_dual_mul_f32 v8, v7, v13
	s_delay_alu instid0(VALU_DEP_3) | instskip(NEXT) | instid1(VALU_DEP_3)
	v_add_f32_e32 v5, v10, v5
	v_add_f32_e32 v55, v9, v17
	s_delay_alu instid0(VALU_DEP_3) | instskip(NEXT) | instid1(VALU_DEP_4)
	v_dual_fmac_f32 v23, v1, v18 :: v_dual_add_f32 v0, v11, v0
	v_dual_fma_f32 v1, v6, v12, -v8 :: v_dual_mul_f32 v66, v6, v13
	ds_load_b128 v[8:11], v65 offset:192
	ds_load_2addr_b64 v[16:19], v77 offset1:16
	v_dual_mul_f32 v68, v7, v15 :: v_dual_add_f32 v1, v20, v1
	v_dual_fmac_f32 v66, v7, v12 :: v_dual_add_f32 v64, v64, v23
	s_delay_alu instid0(VALU_DEP_2) | instskip(NEXT) | instid1(VALU_DEP_2)
	v_dual_mul_f32 v23, v6, v15 :: v_dual_fma_f32 v6, v6, v14, -v68
	v_dual_mul_f32 v20, v3, v13 :: v_dual_add_f32 v66, v21, v66
	s_delay_alu instid0(VALU_DEP_2) | instskip(NEXT) | instid1(VALU_DEP_2)
	v_dual_mul_f32 v13, v2, v13 :: v_dual_fmac_f32 v23, v7, v14
	v_dual_add_f32 v68, v4, v6 :: v_dual_fma_f32 v4, v2, v12, -v20
	s_delay_alu instid0(VALU_DEP_2) | instskip(NEXT) | instid1(VALU_DEP_3)
	v_dual_mul_f32 v6, v3, v15 :: v_dual_fmac_f32 v13, v3, v12
	v_add_f32_e32 v70, v22, v23
	ds_load_b128 v[20:23], v65 offset:4288
	v_dual_add_f32 v72, v5, v4 :: v_dual_fma_f32 v12, v2, v14, -v6
	s_wait_dscnt 0x1
	v_dual_mul_f32 v2, v2, v15 :: v_dual_mul_f32 v15, v9, v17
	v_mul_f32_e32 v74, v8, v17
	s_delay_alu instid0(VALU_DEP_3) | instskip(NEXT) | instid1(VALU_DEP_3)
	v_dual_add_f32 v55, v55, v13 :: v_dual_add_f32 v76, v0, v12
	v_dual_fmac_f32 v2, v3, v14 :: v_dual_fma_f32 v0, v8, v16, -v15
	ds_load_2addr_b64 v[12:15], v77 offset0:32 offset1:48
	v_dual_fmac_f32 v74, v9, v16 :: v_dual_mul_f32 v3, v9, v19
	v_mul_f32_e32 v79, v8, v19
	ds_load_b128 v[4:7], v65 offset:208
	v_dual_add_f32 v64, v64, v2 :: v_dual_add_f32 v78, v1, v0
	v_add_f32_e32 v66, v66, v74
	v_fma_f32 v8, v8, v18, -v3
	s_wait_dscnt 0x2
	v_dual_fmac_f32 v79, v9, v18 :: v_dual_mul_f32 v9, v20, v17
	v_dual_mul_f32 v74, v21, v17 :: v_dual_mul_f32 v17, v21, v19
	s_delay_alu instid0(VALU_DEP_2) | instskip(NEXT) | instid1(VALU_DEP_2)
	v_dual_add_f32 v8, v68, v8 :: v_dual_add_f32 v70, v70, v79
	v_dual_fmac_f32 v9, v21, v16 :: v_dual_fma_f32 v68, v20, v16, -v74
	s_delay_alu instid0(VALU_DEP_3)
	v_dual_mul_f32 v74, v20, v19 :: v_dual_fma_f32 v16, v20, v18, -v17
	ds_load_b128 v[0:3], v65 offset:4304
	s_wait_dscnt 0x2
	v_dual_mul_f32 v17, v11, v13 :: v_dual_add_f32 v20, v72, v68
	v_dual_add_f32 v9, v55, v9 :: v_dual_fmac_f32 v74, v21, v18
	v_dual_add_f32 v21, v76, v16 :: v_dual_mul_f32 v55, v10, v13
	s_delay_alu instid0(VALU_DEP_3) | instskip(SKIP_4) | instid1(VALU_DEP_3)
	v_fma_f32 v68, v10, v12, -v17
	ds_load_2addr_b64 v[16:19], v77 offset0:64 offset1:80
	v_dual_mul_f32 v72, v11, v15 :: v_dual_add_f32 v64, v64, v74
	v_dual_fmac_f32 v55, v11, v12 :: v_dual_mul_f32 v74, v10, v15
	v_add_f32_e32 v68, v78, v68
	v_dual_fma_f32 v10, v10, v14, -v72 :: v_dual_mul_f32 v72, v23, v13
	s_delay_alu instid0(VALU_DEP_3) | instskip(NEXT) | instid1(VALU_DEP_2)
	v_dual_fmac_f32 v74, v11, v14 :: v_dual_mul_f32 v13, v22, v13
	v_dual_add_f32 v8, v8, v10 :: v_dual_add_f32 v55, v66, v55
	s_delay_alu instid0(VALU_DEP_3) | instskip(NEXT) | instid1(VALU_DEP_3)
	v_dual_fma_f32 v10, v22, v12, -v72 :: v_dual_mul_f32 v11, v23, v15
	v_dual_fmac_f32 v13, v23, v12 :: v_dual_add_f32 v66, v70, v74
	s_delay_alu instid0(VALU_DEP_2) | instskip(SKIP_1) | instid1(VALU_DEP_3)
	v_dual_mul_f32 v70, v22, v15 :: v_dual_add_f32 v10, v20, v10
	s_wait_dscnt 0x0
	v_dual_fma_f32 v11, v22, v14, -v11 :: v_dual_mul_f32 v20, v5, v17
	s_delay_alu instid0(VALU_DEP_2)
	v_dual_add_f32 v9, v9, v13 :: v_dual_fmac_f32 v70, v23, v14
	v_mul_f32_e32 v22, v4, v17
	ds_load_2addr_b64 v[12:15], v77 offset0:96 offset1:112
	v_dual_add_f32 v11, v21, v11 :: v_dual_fma_f32 v20, v4, v16, -v20
	v_dual_mul_f32 v21, v5, v19 :: v_dual_fmac_f32 v22, v5, v16
	v_mul_f32_e32 v23, v4, v19
	v_add_f32_e32 v64, v64, v70
	s_delay_alu instid0(VALU_DEP_4) | instskip(NEXT) | instid1(VALU_DEP_4)
	v_add_f32_e32 v20, v68, v20
	v_fma_f32 v4, v4, v18, -v21
	v_add_f32_e32 v21, v55, v22
	v_fmac_f32_e32 v23, v5, v18
	v_dual_mul_f32 v5, v1, v17 :: v_dual_mul_f32 v17, v0, v17
	s_delay_alu instid0(VALU_DEP_4) | instskip(NEXT) | instid1(VALU_DEP_2)
	v_dual_add_f32 v4, v8, v4 :: v_dual_mul_f32 v8, v1, v19
	v_dual_add_f32 v22, v66, v23 :: v_dual_fma_f32 v5, v0, v16, -v5
	s_delay_alu instid0(VALU_DEP_3) | instskip(SKIP_1) | instid1(VALU_DEP_3)
	v_dual_fmac_f32 v17, v1, v16 :: v_dual_mul_f32 v23, v0, v19
	s_wait_dscnt 0x0
	v_dual_fma_f32 v0, v0, v18, -v8 :: v_dual_mul_f32 v8, v7, v13
	s_delay_alu instid0(VALU_DEP_3) | instskip(NEXT) | instid1(VALU_DEP_3)
	v_add_f32_e32 v5, v10, v5
	v_add_f32_e32 v55, v9, v17
	s_delay_alu instid0(VALU_DEP_3) | instskip(NEXT) | instid1(VALU_DEP_4)
	v_dual_fmac_f32 v23, v1, v18 :: v_dual_add_f32 v0, v11, v0
	v_dual_fma_f32 v1, v6, v12, -v8 :: v_dual_mul_f32 v66, v6, v13
	ds_load_b128 v[8:11], v65 offset:224
	ds_load_2addr_b64 v[16:19], v77 offset0:128 offset1:144
	v_mul_f32_e32 v68, v7, v15
	v_add_f32_e32 v64, v64, v23
	v_dual_mul_f32 v23, v6, v15 :: v_dual_fmac_f32 v66, v7, v12
	s_delay_alu instid0(VALU_DEP_3) | instskip(NEXT) | instid1(VALU_DEP_2)
	v_dual_fma_f32 v6, v6, v14, -v68 :: v_dual_add_f32 v68, v20, v1
	v_dual_mul_f32 v1, v3, v13 :: v_dual_add_f32 v66, v21, v66
	s_delay_alu instid0(VALU_DEP_3) | instskip(NEXT) | instid1(VALU_DEP_2)
	v_dual_fmac_f32 v23, v7, v14 :: v_dual_mul_f32 v13, v2, v13
	v_dual_add_f32 v70, v4, v6 :: v_dual_fma_f32 v1, v2, v12, -v1
	v_mul_f32_e32 v4, v3, v15
	s_delay_alu instid0(VALU_DEP_3)
	v_dual_add_f32 v72, v22, v23 :: v_dual_fmac_f32 v13, v3, v12
	ds_load_b128 v[20:23], v65 offset:4320
	v_dual_add_f32 v74, v5, v1 :: v_dual_mul_f32 v12, v2, v15
	s_wait_dscnt 0x1
	v_dual_fma_f32 v1, v2, v14, -v4 :: v_dual_mul_f32 v2, v9, v17
	v_dual_mul_f32 v78, v8, v17 :: v_dual_mul_f32 v79, v8, v19
	s_delay_alu instid0(VALU_DEP_3) | instskip(NEXT) | instid1(VALU_DEP_3)
	v_fmac_f32_e32 v12, v3, v14
	v_dual_add_f32 v55, v55, v13 :: v_dual_fma_f32 v13, v8, v16, -v2
	s_delay_alu instid0(VALU_DEP_4)
	v_dual_add_f32 v76, v0, v1 :: v_dual_mul_f32 v14, v9, v19
	ds_load_2addr_b64 v[0:3], v77 offset0:160 offset1:176
	ds_load_b128 v[4:7], v65 offset:240
	v_add_f32_e32 v64, v64, v12
	v_dual_fmac_f32 v78, v9, v16 :: v_dual_add_f32 v68, v68, v13
	v_dual_fma_f32 v8, v8, v18, -v14 :: v_dual_fmac_f32 v79, v9, v18
	ds_load_b128 v[12:15], v65 offset:4336
	s_wait_dscnt 0x3
	v_dual_mul_f32 v80, v21, v17 :: v_dual_add_f32 v66, v66, v78
	v_dual_mul_f32 v9, v20, v17 :: v_dual_add_f32 v8, v70, v8
	s_delay_alu instid0(VALU_DEP_2) | instskip(NEXT) | instid1(VALU_DEP_2)
	v_dual_mul_f32 v70, v21, v19 :: v_dual_fma_f32 v17, v20, v16, -v80
	v_dual_mul_f32 v78, v20, v19 :: v_dual_fmac_f32 v9, v21, v16
	v_add_f32_e32 v72, v72, v79
	s_delay_alu instid0(VALU_DEP_3) | instskip(SKIP_1) | instid1(VALU_DEP_3)
	v_dual_fma_f32 v16, v20, v18, -v70 :: v_dual_add_f32 v74, v74, v17
	s_wait_dscnt 0x2
	v_dual_fmac_f32 v78, v21, v18 :: v_dual_mul_f32 v17, v11, v1
	s_delay_alu instid0(VALU_DEP_2) | instskip(NEXT) | instid1(VALU_DEP_2)
	v_dual_add_f32 v9, v55, v9 :: v_dual_add_f32 v21, v76, v16
	v_dual_mul_f32 v20, v10, v1 :: v_dual_add_f32 v64, v64, v78
	s_delay_alu instid0(VALU_DEP_3) | instskip(SKIP_3) | instid1(VALU_DEP_2)
	v_fma_f32 v55, v10, v0, -v17
	ds_load_2addr_b64 v[16:19], v77 offset0:192 offset1:208
	v_dual_mul_f32 v70, v11, v3 :: v_dual_fmac_f32 v20, v11, v0
	v_add_f32_e32 v55, v68, v55
	v_dual_mul_f32 v68, v10, v3 :: v_dual_fma_f32 v10, v10, v2, -v70
	s_delay_alu instid0(VALU_DEP_3) | instskip(NEXT) | instid1(VALU_DEP_2)
	v_dual_add_f32 v20, v66, v20 :: v_dual_mul_f32 v66, v23, v1
	v_dual_mul_f32 v1, v22, v1 :: v_dual_fmac_f32 v68, v11, v2
	s_delay_alu instid0(VALU_DEP_3) | instskip(NEXT) | instid1(VALU_DEP_2)
	v_dual_add_f32 v8, v8, v10 :: v_dual_mul_f32 v10, v23, v3
	v_dual_fma_f32 v11, v22, v0, -v66 :: v_dual_fmac_f32 v1, v23, v0
	s_delay_alu instid0(VALU_DEP_3) | instskip(NEXT) | instid1(VALU_DEP_3)
	v_dual_add_f32 v66, v72, v68 :: v_dual_mul_f32 v68, v22, v3
	v_fma_f32 v0, v22, v2, -v10
	s_delay_alu instid0(VALU_DEP_3) | instskip(SKIP_1) | instid1(VALU_DEP_3)
	v_dual_add_f32 v10, v74, v11 :: v_dual_add_f32 v9, v9, v1
	s_wait_dscnt 0x0
	v_dual_mul_f32 v11, v5, v17 :: v_dual_fmac_f32 v68, v23, v2
	s_delay_alu instid0(VALU_DEP_3) | instskip(SKIP_4) | instid1(VALU_DEP_3)
	v_dual_add_f32 v21, v21, v0 :: v_dual_mul_f32 v22, v4, v17
	ds_load_2addr_b64 v[0:3], v77 offset0:224 offset1:240
	v_fma_f32 v11, v4, v16, -v11
	v_dual_add_f32 v23, v64, v68 :: v_dual_mul_f32 v64, v5, v19
	v_dual_fmac_f32 v22, v5, v16 :: v_dual_mul_f32 v68, v4, v19
	v_dual_add_f32 v11, v55, v11 :: v_dual_mul_f32 v55, v13, v17
	s_delay_alu instid0(VALU_DEP_3) | instskip(SKIP_1) | instid1(VALU_DEP_3)
	v_fma_f32 v4, v4, v18, -v64
	s_wait_dscnt 0x0
	v_dual_fmac_f32 v68, v5, v18 :: v_dual_mul_f32 v5, v12, v17
	s_delay_alu instid0(VALU_DEP_3) | instskip(SKIP_2) | instid1(VALU_DEP_3)
	v_fma_f32 v17, v12, v16, -v55
	v_add_f32_e32 v20, v20, v22
	s_barrier_signal -1
	v_add_f32_e32 v22, v66, v68
	v_fmac_f32_e32 v5, v13, v16
	v_dual_add_f32 v4, v8, v4 :: v_dual_add_f32 v10, v10, v17
	v_dual_mul_f32 v8, v13, v19 :: v_dual_mul_f32 v16, v12, v19
	v_mul_f32_e32 v17, v6, v1
	s_barrier_wait -1
	s_delay_alu instid0(VALU_DEP_2) | instskip(SKIP_1) | instid1(VALU_DEP_3)
	v_dual_fma_f32 v8, v12, v18, -v8 :: v_dual_mul_f32 v12, v7, v1
	v_add_f32_e32 v5, v9, v5
	v_dual_fmac_f32 v16, v13, v18 :: v_dual_fmac_f32 v17, v7, v0
	s_delay_alu instid0(VALU_DEP_3) | instskip(NEXT) | instid1(VALU_DEP_4)
	v_add_f32_e32 v8, v21, v8
	v_dual_fma_f32 v9, v6, v0, -v12 :: v_dual_mul_f32 v12, v7, v3
	s_delay_alu instid0(VALU_DEP_3) | instskip(NEXT) | instid1(VALU_DEP_4)
	v_dual_mul_f32 v13, v6, v3 :: v_dual_add_f32 v16, v23, v16
	v_add_f32_e32 v78, v20, v17
	s_delay_alu instid0(VALU_DEP_3) | instskip(NEXT) | instid1(VALU_DEP_3)
	v_dual_add_f32 v76, v11, v9 :: v_dual_fma_f32 v6, v6, v2, -v12
	v_fmac_f32_e32 v13, v7, v2
	v_dual_mul_f32 v7, v15, v1 :: v_dual_mul_f32 v1, v14, v1
	v_dual_mul_f32 v9, v15, v3 :: v_dual_mul_f32 v3, v14, v3
	s_delay_alu instid0(VALU_DEP_2) | instskip(NEXT) | instid1(VALU_DEP_2)
	v_dual_add_f32 v72, v4, v6 :: v_dual_fma_f32 v4, v14, v0, -v7
	v_dual_fmac_f32 v1, v15, v0 :: v_dual_fmac_f32 v3, v15, v2
	s_delay_alu instid0(VALU_DEP_3) | instskip(NEXT) | instid1(VALU_DEP_2)
	v_fma_f32 v0, v14, v2, -v9
	v_dual_add_f32 v68, v10, v4 :: v_dual_add_f32 v70, v5, v1
	s_delay_alu instid0(VALU_DEP_3) | instskip(NEXT) | instid1(VALU_DEP_3)
	v_dual_add_f32 v74, v22, v13 :: v_dual_add_f32 v64, v16, v3
	v_add_f32_e32 v66, v8, v0
	s_cbranch_scc1 .LBB73_54
.LBB73_10:                              ;   Parent Loop BB73_4 Depth=1
                                        ;     Parent Loop BB73_7 Depth=2
                                        ; =>    This Inner Loop Header: Depth=3
	v_add_nc_u64_e32 v[0:1], s[50:51], v[24:25]
	v_cmp_eq_u64_e64 s7, s[50:51], v[38:39]
	v_add_nc_u64_e32 v[2:3], v[62:63], v[46:47]
	s_delay_alu instid0(VALU_DEP_3) | instskip(SKIP_3) | instid1(SALU_CYCLE_1)
	v_cmp_le_i64_e64 s6, s[38:39], v[0:1]
	v_cmp_gt_i64_e64 s5, v[0:1], v[30:31]
	s_and_b32 s60, s56, s7
	s_or_b32 s7, s6, s5
	s_or_b32 s7, s7, s60
	s_delay_alu instid0(SALU_CYCLE_1) | instskip(NEXT) | instid1(SALU_CYCLE_1)
	s_nor_b32 s7, s0, s7
	s_and_saveexec_b32 s8, s7
	s_delay_alu instid0(SALU_CYCLE_1)
	s_xor_b32 s7, exec_lo, s8
	s_cbranch_execz .LBB73_12
; %bb.11:                               ;   in Loop: Header=BB73_10 Depth=3
	global_load_b64 v[4:5], v[2:3], off
	s_wait_loadcnt 0x0
	ds_store_b64 v67, v[4:5]
.LBB73_12:                              ;   in Loop: Header=BB73_10 Depth=3
	s_wait_xcnt 0x0
	s_or_saveexec_b32 s7, s7
	s_xor_b32 s59, s60, -1
	s_xor_b32 exec_lo, exec_lo, s7
	s_cbranch_execz .LBB73_18
; %bb.13:                               ;   in Loop: Header=BB73_10 Depth=3
	s_and_saveexec_b32 s8, s59
	s_delay_alu instid0(SALU_CYCLE_1)
	s_xor_b32 s8, exec_lo, s8
; %bb.14:                               ;   in Loop: Header=BB73_10 Depth=3
	ds_store_b64 v67, v[48:49]
; %bb.15:                               ;   in Loop: Header=BB73_10 Depth=3
	s_and_not1_saveexec_b32 s8, s8
; %bb.16:                               ;   in Loop: Header=BB73_10 Depth=3
	ds_store_b64 v67, v[50:51]
; %bb.17:                               ;   in Loop: Header=BB73_10 Depth=3
	s_or_b32 exec_lo, exec_lo, s8
.LBB73_18:                              ;   in Loop: Header=BB73_10 Depth=3
	s_delay_alu instid0(SALU_CYCLE_1) | instskip(SKIP_4) | instid1(SALU_CYCLE_1)
	s_or_b32 exec_lo, exec_lo, s7
	v_cmp_eq_u64_e64 s7, s[50:51], v[40:41]
	v_cmp_lt_i64_e64 s8, v[32:33], v[0:1]
	s_and_b32 s7, s56, s7
	s_or_b32 s6, s6, s8
	s_or_b32 s6, s6, s7
	s_delay_alu instid0(SALU_CYCLE_1) | instskip(NEXT) | instid1(SALU_CYCLE_1)
	s_nor_b32 s6, s1, s6
	s_and_saveexec_b32 s8, s6
	s_delay_alu instid0(SALU_CYCLE_1)
	s_xor_b32 s6, exec_lo, s8
	s_cbranch_execz .LBB73_20
; %bb.19:                               ;   in Loop: Header=BB73_10 Depth=3
	global_load_b64 v[2:3], v[2:3], off offset:128
	s_wait_loadcnt 0x0
	ds_store_b64 v67, v[2:3] offset:128
.LBB73_20:                              ;   in Loop: Header=BB73_10 Depth=3
	s_wait_xcnt 0x0
	s_and_not1_saveexec_b32 s6, s6
	s_cbranch_execz .LBB73_26
; %bb.21:                               ;   in Loop: Header=BB73_10 Depth=3
	s_xor_b32 s7, s7, -1
	s_delay_alu instid0(SALU_CYCLE_1) | instskip(NEXT) | instid1(SALU_CYCLE_1)
	s_and_saveexec_b32 s8, s7
	s_xor_b32 s7, exec_lo, s8
; %bb.22:                               ;   in Loop: Header=BB73_10 Depth=3
	ds_store_b64 v67, v[48:49] offset:128
; %bb.23:                               ;   in Loop: Header=BB73_10 Depth=3
	s_and_not1_saveexec_b32 s7, s7
; %bb.24:                               ;   in Loop: Header=BB73_10 Depth=3
	ds_store_b64 v67, v[50:51] offset:128
; %bb.25:                               ;   in Loop: Header=BB73_10 Depth=3
	s_or_b32 exec_lo, exec_lo, s7
.LBB73_26:                              ;   in Loop: Header=BB73_10 Depth=3
	s_delay_alu instid0(SALU_CYCLE_1) | instskip(SKIP_2) | instid1(VALU_DEP_2)
	s_or_b32 exec_lo, exec_lo, s6
	v_add_nc_u64_e32 v[0:1], 16, v[0:1]
	v_cmp_eq_u64_e64 s7, s[50:51], v[42:43]
	v_cmp_le_i64_e64 s6, s[38:39], v[0:1]
	v_cmp_gt_i64_e64 s8, v[0:1], v[30:31]
	v_add_nc_u64_e32 v[0:1], v[62:63], v[34:35]
	s_and_b32 s61, s56, s7
	s_or_b32 s7, s6, s8
	s_delay_alu instid0(SALU_CYCLE_1) | instskip(NEXT) | instid1(SALU_CYCLE_1)
	s_or_b32 s7, s7, s61
	s_nor_b32 s7, s0, s7
	s_delay_alu instid0(SALU_CYCLE_1) | instskip(NEXT) | instid1(SALU_CYCLE_1)
	s_and_saveexec_b32 s8, s7
	s_xor_b32 s7, exec_lo, s8
	s_cbranch_execz .LBB73_28
; %bb.27:                               ;   in Loop: Header=BB73_10 Depth=3
	global_load_b64 v[2:3], v[0:1], off
	s_wait_loadcnt 0x0
	ds_store_b64 v67, v[2:3] offset:4096
.LBB73_28:                              ;   in Loop: Header=BB73_10 Depth=3
	s_wait_xcnt 0x0
	s_and_not1_saveexec_b32 s7, s7
	s_cbranch_execz .LBB73_34
; %bb.29:                               ;   in Loop: Header=BB73_10 Depth=3
	s_xor_b32 s8, s61, -1
	s_delay_alu instid0(SALU_CYCLE_1) | instskip(NEXT) | instid1(SALU_CYCLE_1)
	s_and_saveexec_b32 s61, s8
	s_xor_b32 s8, exec_lo, s61
; %bb.30:                               ;   in Loop: Header=BB73_10 Depth=3
	ds_store_b64 v67, v[48:49] offset:4096
; %bb.31:                               ;   in Loop: Header=BB73_10 Depth=3
	s_and_not1_saveexec_b32 s8, s8
; %bb.32:                               ;   in Loop: Header=BB73_10 Depth=3
	ds_store_b64 v67, v[50:51] offset:4096
; %bb.33:                               ;   in Loop: Header=BB73_10 Depth=3
	s_or_b32 exec_lo, exec_lo, s8
.LBB73_34:                              ;   in Loop: Header=BB73_10 Depth=3
	s_delay_alu instid0(SALU_CYCLE_1) | instskip(SKIP_1) | instid1(SALU_CYCLE_1)
	s_or_b32 exec_lo, exec_lo, s7
	s_or_b32 s5, s6, s5
	s_or_b32 s5, s5, s60
	s_delay_alu instid0(SALU_CYCLE_1) | instskip(NEXT) | instid1(SALU_CYCLE_1)
	s_nor_b32 s5, s1, s5
	s_and_saveexec_b32 s6, s5
	s_delay_alu instid0(SALU_CYCLE_1)
	s_xor_b32 s5, exec_lo, s6
	s_cbranch_execz .LBB73_36
; %bb.35:                               ;   in Loop: Header=BB73_10 Depth=3
	global_load_b64 v[0:1], v[0:1], off offset:128
	s_wait_loadcnt 0x0
	ds_store_b64 v67, v[0:1] offset:4224
.LBB73_36:                              ;   in Loop: Header=BB73_10 Depth=3
	s_wait_xcnt 0x0
	s_and_not1_saveexec_b32 s5, s5
	s_cbranch_execz .LBB73_42
; %bb.37:                               ;   in Loop: Header=BB73_10 Depth=3
	s_and_saveexec_b32 s6, s59
	s_delay_alu instid0(SALU_CYCLE_1)
	s_xor_b32 s6, exec_lo, s6
; %bb.38:                               ;   in Loop: Header=BB73_10 Depth=3
	ds_store_b64 v67, v[48:49] offset:4224
; %bb.39:                               ;   in Loop: Header=BB73_10 Depth=3
	s_and_not1_saveexec_b32 s6, s6
; %bb.40:                               ;   in Loop: Header=BB73_10 Depth=3
	ds_store_b64 v67, v[50:51] offset:4224
; %bb.41:                               ;   in Loop: Header=BB73_10 Depth=3
	s_or_b32 exec_lo, exec_lo, s6
.LBB73_42:                              ;   in Loop: Header=BB73_10 Depth=3
	s_delay_alu instid0(SALU_CYCLE_1) | instskip(SKIP_3) | instid1(VALU_DEP_3)
	s_or_b32 exec_lo, exec_lo, s5
	v_add_nc_u64_e32 v[2:3], s[50:51], v[26:27]
	v_add_nc_u64_e32 v[0:1], v[58:59], v[28:29]
	v_dual_mov_b32 v4, 0 :: v_dual_mov_b32 v5, 0
	v_cmp_gt_i64_e64 s5, s[38:39], v[2:3]
	s_and_b32 s7, vcc_lo, s5
	s_delay_alu instid0(SALU_CYCLE_1)
	s_and_saveexec_b32 s6, s7
	s_cbranch_execz .LBB73_44
; %bb.43:                               ;   in Loop: Header=BB73_10 Depth=3
	global_load_b64 v[4:5], v[0:1], off
.LBB73_44:                              ;   in Loop: Header=BB73_10 Depth=3
	s_wait_xcnt 0x0
	s_or_b32 exec_lo, exec_lo, s6
	v_cmp_gt_i64_e64 s6, s[44:45], v[2:3]
	s_wait_loadcnt 0x0
	ds_store_b64 v69, v[4:5]
	s_and_b32 s7, vcc_lo, s6
	s_delay_alu instid0(SALU_CYCLE_1) | instskip(NEXT) | instid1(SALU_CYCLE_1)
	s_xor_b32 s7, s7, -1
	s_and_saveexec_b32 s8, s7
	s_delay_alu instid0(SALU_CYCLE_1)
	s_xor_b32 s7, exec_lo, s8
; %bb.45:                               ;   in Loop: Header=BB73_10 Depth=3
	ds_store_b64 v69, v[48:49] offset:128
                                        ; implicit-def: $vgpr0_vgpr1
; %bb.46:                               ;   in Loop: Header=BB73_10 Depth=3
	s_and_not1_saveexec_b32 s7, s7
	s_cbranch_execz .LBB73_48
; %bb.47:                               ;   in Loop: Header=BB73_10 Depth=3
	global_load_b64 v[0:1], v[0:1], off offset:128
	s_wait_loadcnt 0x0
	ds_store_b64 v69, v[0:1] offset:128
.LBB73_48:                              ;   in Loop: Header=BB73_10 Depth=3
	s_wait_xcnt 0x0
	s_or_b32 exec_lo, exec_lo, s7
	v_add_nc_u64_e32 v[0:1], v[60:61], v[28:29]
	v_dual_mov_b32 v2, 0 :: v_dual_mov_b32 v3, 0
	s_and_b32 s7, s4, s5
	s_delay_alu instid0(SALU_CYCLE_1)
	s_and_saveexec_b32 s5, s7
	s_cbranch_execz .LBB73_50
; %bb.49:                               ;   in Loop: Header=BB73_10 Depth=3
	global_load_b64 v[2:3], v[0:1], off
.LBB73_50:                              ;   in Loop: Header=BB73_10 Depth=3
	s_wait_xcnt 0x0
	s_or_b32 exec_lo, exec_lo, s5
	s_and_b32 s5, s4, s6
	s_wait_loadcnt 0x0
	ds_store_b64 v69, v[2:3] offset:4096
	s_xor_b32 s5, s5, -1
	s_delay_alu instid0(SALU_CYCLE_1) | instskip(NEXT) | instid1(SALU_CYCLE_1)
	s_and_saveexec_b32 s6, s5
	s_xor_b32 s5, exec_lo, s6
; %bb.51:                               ;   in Loop: Header=BB73_10 Depth=3
	ds_store_b64 v69, v[48:49] offset:4224
                                        ; implicit-def: $vgpr0_vgpr1
; %bb.52:                               ;   in Loop: Header=BB73_10 Depth=3
	s_and_not1_saveexec_b32 s5, s5
	s_cbranch_execz .LBB73_9
; %bb.53:                               ;   in Loop: Header=BB73_10 Depth=3
	global_load_b64 v[0:1], v[0:1], off offset:128
	s_wait_loadcnt 0x0
	ds_store_b64 v69, v[0:1] offset:4224
	s_branch .LBB73_9
.LBB73_54:                              ;   in Loop: Header=BB73_7 Depth=2
	v_mul_u64_e32 v[0:1], s[24:25], v[56:57]
	v_cmp_gt_i32_e32 vcc_lo, s30, v56
	s_and_b32 s5, s2, vcc_lo
	s_delay_alu instid0(VALU_DEP_2)
	v_lshl_add_u64 v[0:1], v[0:1], 3, s[48:49]
	s_and_saveexec_b32 s4, s5
	s_cbranch_execz .LBB73_56
; %bb.55:                               ;   in Loop: Header=BB73_7 Depth=2
	s_delay_alu instid0(VALU_DEP_1) | instskip(SKIP_4) | instid1(VALU_DEP_1)
	v_lshl_add_u64 v[2:3], v[30:31], 3, v[0:1]
	v_mov_b64_e32 v[6:7], s[28:29]
	v_mov_b64_e32 v[8:9], s[36:37]
	global_load_b64 v[4:5], v[2:3], off
	v_pk_mul_f32 v[6:7], v[78:79], v[6:7] op_sel_hi:[0,1]
	v_pk_fma_f32 v[10:11], v[76:77], v[8:9], v[6:7] op_sel_hi:[0,1,1]
	v_pk_fma_f32 v[6:7], v[76:77], v[8:9], v[6:7] neg_lo:[0,0,1] neg_hi:[0,0,1]
	s_delay_alu instid0(VALU_DEP_2) | instskip(SKIP_1) | instid1(VALU_DEP_1)
	v_mov_b32_e32 v7, v11
	s_wait_loadcnt 0x0
	v_pk_add_f32 v[4:5], v[4:5], v[6:7]
	global_store_b64 v[2:3], v[4:5], off
.LBB73_56:                              ;   in Loop: Header=BB73_7 Depth=2
	s_wait_xcnt 0x0
	s_or_b32 exec_lo, exec_lo, s4
	s_and_b32 s5, s3, vcc_lo
	s_delay_alu instid0(SALU_CYCLE_1)
	s_and_saveexec_b32 s4, s5
	s_cbranch_execz .LBB73_58
; %bb.57:                               ;   in Loop: Header=BB73_7 Depth=2
	v_lshl_add_u64 v[0:1], v[36:37], 3, v[0:1]
	v_mov_b64_e32 v[4:5], s[28:29]
	v_mov_b64_e32 v[6:7], s[36:37]
	global_load_b64 v[2:3], v[0:1], off
	v_pk_mul_f32 v[4:5], v[74:75], v[4:5] op_sel_hi:[0,1]
	s_delay_alu instid0(VALU_DEP_1) | instskip(SKIP_1) | instid1(VALU_DEP_2)
	v_pk_fma_f32 v[8:9], v[72:73], v[6:7], v[4:5] op_sel_hi:[0,1,1]
	v_pk_fma_f32 v[4:5], v[72:73], v[6:7], v[4:5] neg_lo:[0,0,1] neg_hi:[0,0,1]
	v_mov_b32_e32 v5, v9
	s_wait_loadcnt 0x0
	s_delay_alu instid0(VALU_DEP_1)
	v_pk_add_f32 v[2:3], v[2:3], v[4:5]
	global_store_b64 v[0:1], v[2:3], off
.LBB73_58:                              ;   in Loop: Header=BB73_7 Depth=2
	s_wait_xcnt 0x0
	s_or_b32 exec_lo, exec_lo, s4
	v_add_nc_u32_e32 v0, 16, v56
	s_delay_alu instid0(VALU_DEP_1) | instskip(SKIP_1) | instid1(VALU_DEP_2)
	v_ashrrev_i32_e32 v1, 31, v0
	v_cmp_gt_i32_e32 vcc_lo, s30, v0
	v_mul_u64_e32 v[2:3], s[24:25], v[0:1]
	s_and_b32 s5, s2, vcc_lo
	s_delay_alu instid0(VALU_DEP_1)
	v_lshl_add_u64 v[0:1], v[2:3], 3, s[48:49]
	s_and_saveexec_b32 s4, s5
	s_cbranch_execz .LBB73_60
; %bb.59:                               ;   in Loop: Header=BB73_7 Depth=2
	s_delay_alu instid0(VALU_DEP_1) | instskip(SKIP_4) | instid1(VALU_DEP_1)
	v_lshl_add_u64 v[2:3], v[30:31], 3, v[0:1]
	v_mov_b64_e32 v[6:7], s[28:29]
	v_mov_b64_e32 v[8:9], s[36:37]
	global_load_b64 v[4:5], v[2:3], off
	v_pk_mul_f32 v[6:7], v[70:71], v[6:7] op_sel_hi:[0,1]
	v_pk_fma_f32 v[10:11], v[68:69], v[8:9], v[6:7] op_sel_hi:[0,1,1]
	v_pk_fma_f32 v[6:7], v[68:69], v[8:9], v[6:7] neg_lo:[0,0,1] neg_hi:[0,0,1]
	s_delay_alu instid0(VALU_DEP_2) | instskip(SKIP_1) | instid1(VALU_DEP_1)
	v_mov_b32_e32 v7, v11
	s_wait_loadcnt 0x0
	v_pk_add_f32 v[4:5], v[4:5], v[6:7]
	global_store_b64 v[2:3], v[4:5], off
.LBB73_60:                              ;   in Loop: Header=BB73_7 Depth=2
	s_wait_xcnt 0x0
	s_or_b32 exec_lo, exec_lo, s4
	s_and_b32 s5, s3, vcc_lo
	s_delay_alu instid0(SALU_CYCLE_1)
	s_and_saveexec_b32 s4, s5
	s_cbranch_execz .LBB73_6
; %bb.61:                               ;   in Loop: Header=BB73_7 Depth=2
	v_lshl_add_u64 v[0:1], v[36:37], 3, v[0:1]
	v_mov_b64_e32 v[4:5], s[28:29]
	v_mov_b64_e32 v[6:7], s[36:37]
	global_load_b64 v[2:3], v[0:1], off
	v_pk_mul_f32 v[4:5], v[64:65], v[4:5] op_sel_hi:[0,1]
	s_delay_alu instid0(VALU_DEP_1) | instskip(SKIP_1) | instid1(VALU_DEP_2)
	v_pk_fma_f32 v[8:9], v[66:67], v[6:7], v[4:5] op_sel_hi:[0,1,1]
	v_pk_fma_f32 v[4:5], v[66:67], v[6:7], v[4:5] neg_lo:[0,0,1] neg_hi:[0,0,1]
	v_mov_b32_e32 v5, v9
	s_wait_loadcnt 0x0
	s_delay_alu instid0(VALU_DEP_1)
	v_pk_add_f32 v[2:3], v[2:3], v[4:5]
	global_store_b64 v[0:1], v[2:3], off
	s_branch .LBB73_6
.LBB73_62:
	s_sendmsg sendmsg(MSG_DEALLOC_VGPRS)
	s_endpgm
	.section	.rodata,"a",@progbits
	.p2align	6, 0x0
	.amdhsa_kernel _ZL30rocblas_trmm_outofplace_kernelI19rocblas_complex_numIfELi32ELi2ELb1ELb0ELb0ELb0ES1_KS1_S1_Ev17rocblas_diagonal_iiT6_lPT7_lllS6_lllPT8_llli
		.amdhsa_group_segment_fixed_size 16384
		.amdhsa_private_segment_fixed_size 0
		.amdhsa_kernarg_size 392
		.amdhsa_user_sgpr_count 2
		.amdhsa_user_sgpr_dispatch_ptr 0
		.amdhsa_user_sgpr_queue_ptr 0
		.amdhsa_user_sgpr_kernarg_segment_ptr 1
		.amdhsa_user_sgpr_dispatch_id 0
		.amdhsa_user_sgpr_kernarg_preload_length 0
		.amdhsa_user_sgpr_kernarg_preload_offset 0
		.amdhsa_user_sgpr_private_segment_size 0
		.amdhsa_wavefront_size32 1
		.amdhsa_uses_dynamic_stack 0
		.amdhsa_enable_private_segment 0
		.amdhsa_system_sgpr_workgroup_id_x 1
		.amdhsa_system_sgpr_workgroup_id_y 1
		.amdhsa_system_sgpr_workgroup_id_z 1
		.amdhsa_system_sgpr_workgroup_info 0
		.amdhsa_system_vgpr_workitem_id 1
		.amdhsa_next_free_vgpr 92
		.amdhsa_next_free_sgpr 62
		.amdhsa_named_barrier_count 0
		.amdhsa_reserve_vcc 1
		.amdhsa_float_round_mode_32 0
		.amdhsa_float_round_mode_16_64 0
		.amdhsa_float_denorm_mode_32 3
		.amdhsa_float_denorm_mode_16_64 3
		.amdhsa_fp16_overflow 0
		.amdhsa_memory_ordered 1
		.amdhsa_forward_progress 1
		.amdhsa_inst_pref_size 59
		.amdhsa_round_robin_scheduling 0
		.amdhsa_exception_fp_ieee_invalid_op 0
		.amdhsa_exception_fp_denorm_src 0
		.amdhsa_exception_fp_ieee_div_zero 0
		.amdhsa_exception_fp_ieee_overflow 0
		.amdhsa_exception_fp_ieee_underflow 0
		.amdhsa_exception_fp_ieee_inexact 0
		.amdhsa_exception_int_div_zero 0
	.end_amdhsa_kernel
	.section	.text._ZL30rocblas_trmm_outofplace_kernelI19rocblas_complex_numIfELi32ELi2ELb1ELb0ELb0ELb0ES1_KS1_S1_Ev17rocblas_diagonal_iiT6_lPT7_lllS6_lllPT8_llli,"axG",@progbits,_ZL30rocblas_trmm_outofplace_kernelI19rocblas_complex_numIfELi32ELi2ELb1ELb0ELb0ELb0ES1_KS1_S1_Ev17rocblas_diagonal_iiT6_lPT7_lllS6_lllPT8_llli,comdat
.Lfunc_end73:
	.size	_ZL30rocblas_trmm_outofplace_kernelI19rocblas_complex_numIfELi32ELi2ELb1ELb0ELb0ELb0ES1_KS1_S1_Ev17rocblas_diagonal_iiT6_lPT7_lllS6_lllPT8_llli, .Lfunc_end73-_ZL30rocblas_trmm_outofplace_kernelI19rocblas_complex_numIfELi32ELi2ELb1ELb0ELb0ELb0ES1_KS1_S1_Ev17rocblas_diagonal_iiT6_lPT7_lllS6_lllPT8_llli
                                        ; -- End function
	.set _ZL30rocblas_trmm_outofplace_kernelI19rocblas_complex_numIfELi32ELi2ELb1ELb0ELb0ELb0ES1_KS1_S1_Ev17rocblas_diagonal_iiT6_lPT7_lllS6_lllPT8_llli.num_vgpr, 92
	.set _ZL30rocblas_trmm_outofplace_kernelI19rocblas_complex_numIfELi32ELi2ELb1ELb0ELb0ELb0ES1_KS1_S1_Ev17rocblas_diagonal_iiT6_lPT7_lllS6_lllPT8_llli.num_agpr, 0
	.set _ZL30rocblas_trmm_outofplace_kernelI19rocblas_complex_numIfELi32ELi2ELb1ELb0ELb0ELb0ES1_KS1_S1_Ev17rocblas_diagonal_iiT6_lPT7_lllS6_lllPT8_llli.numbered_sgpr, 62
	.set _ZL30rocblas_trmm_outofplace_kernelI19rocblas_complex_numIfELi32ELi2ELb1ELb0ELb0ELb0ES1_KS1_S1_Ev17rocblas_diagonal_iiT6_lPT7_lllS6_lllPT8_llli.num_named_barrier, 0
	.set _ZL30rocblas_trmm_outofplace_kernelI19rocblas_complex_numIfELi32ELi2ELb1ELb0ELb0ELb0ES1_KS1_S1_Ev17rocblas_diagonal_iiT6_lPT7_lllS6_lllPT8_llli.private_seg_size, 0
	.set _ZL30rocblas_trmm_outofplace_kernelI19rocblas_complex_numIfELi32ELi2ELb1ELb0ELb0ELb0ES1_KS1_S1_Ev17rocblas_diagonal_iiT6_lPT7_lllS6_lllPT8_llli.uses_vcc, 1
	.set _ZL30rocblas_trmm_outofplace_kernelI19rocblas_complex_numIfELi32ELi2ELb1ELb0ELb0ELb0ES1_KS1_S1_Ev17rocblas_diagonal_iiT6_lPT7_lllS6_lllPT8_llli.uses_flat_scratch, 0
	.set _ZL30rocblas_trmm_outofplace_kernelI19rocblas_complex_numIfELi32ELi2ELb1ELb0ELb0ELb0ES1_KS1_S1_Ev17rocblas_diagonal_iiT6_lPT7_lllS6_lllPT8_llli.has_dyn_sized_stack, 0
	.set _ZL30rocblas_trmm_outofplace_kernelI19rocblas_complex_numIfELi32ELi2ELb1ELb0ELb0ELb0ES1_KS1_S1_Ev17rocblas_diagonal_iiT6_lPT7_lllS6_lllPT8_llli.has_recursion, 0
	.set _ZL30rocblas_trmm_outofplace_kernelI19rocblas_complex_numIfELi32ELi2ELb1ELb0ELb0ELb0ES1_KS1_S1_Ev17rocblas_diagonal_iiT6_lPT7_lllS6_lllPT8_llli.has_indirect_call, 0
	.section	.AMDGPU.csdata,"",@progbits
; Kernel info:
; codeLenInByte = 7496
; TotalNumSgprs: 64
; NumVgprs: 92
; ScratchSize: 0
; MemoryBound: 1
; FloatMode: 240
; IeeeMode: 1
; LDSByteSize: 16384 bytes/workgroup (compile time only)
; SGPRBlocks: 0
; VGPRBlocks: 5
; NumSGPRsForWavesPerEU: 64
; NumVGPRsForWavesPerEU: 92
; NamedBarCnt: 0
; Occupancy: 10
; WaveLimiterHint : 0
; COMPUTE_PGM_RSRC2:SCRATCH_EN: 0
; COMPUTE_PGM_RSRC2:USER_SGPR: 2
; COMPUTE_PGM_RSRC2:TRAP_HANDLER: 0
; COMPUTE_PGM_RSRC2:TGID_X_EN: 1
; COMPUTE_PGM_RSRC2:TGID_Y_EN: 1
; COMPUTE_PGM_RSRC2:TGID_Z_EN: 1
; COMPUTE_PGM_RSRC2:TIDIG_COMP_CNT: 1
	.section	.text._ZL30rocblas_trmm_outofplace_kernelI19rocblas_complex_numIfELi32ELi2ELb1ELb1ELb0ELb0EPKS1_S2_S1_Ev17rocblas_diagonal_iiT6_lPT7_lllS7_lllPT8_llli,"axG",@progbits,_ZL30rocblas_trmm_outofplace_kernelI19rocblas_complex_numIfELi32ELi2ELb1ELb1ELb0ELb0EPKS1_S2_S1_Ev17rocblas_diagonal_iiT6_lPT7_lllS7_lllPT8_llli,comdat
	.globl	_ZL30rocblas_trmm_outofplace_kernelI19rocblas_complex_numIfELi32ELi2ELb1ELb1ELb0ELb0EPKS1_S2_S1_Ev17rocblas_diagonal_iiT6_lPT7_lllS7_lllPT8_llli ; -- Begin function _ZL30rocblas_trmm_outofplace_kernelI19rocblas_complex_numIfELi32ELi2ELb1ELb1ELb0ELb0EPKS1_S2_S1_Ev17rocblas_diagonal_iiT6_lPT7_lllS7_lllPT8_llli
	.p2align	8
	.type	_ZL30rocblas_trmm_outofplace_kernelI19rocblas_complex_numIfELi32ELi2ELb1ELb1ELb0ELb0EPKS1_S2_S1_Ev17rocblas_diagonal_iiT6_lPT7_lllS7_lllPT8_llli,@function
_ZL30rocblas_trmm_outofplace_kernelI19rocblas_complex_numIfELi32ELi2ELb1ELb1ELb0ELb0EPKS1_S2_S1_Ev17rocblas_diagonal_iiT6_lPT7_lllS7_lllPT8_llli: ; @_ZL30rocblas_trmm_outofplace_kernelI19rocblas_complex_numIfELi32ELi2ELb1ELb1ELb0ELb0EPKS1_S2_S1_Ev17rocblas_diagonal_iiT6_lPT7_lllS7_lllPT8_llli
; %bb.0:
	s_load_b32 s11, s[0:1], 0x80
	s_bfe_u32 s2, ttmp6, 0x40014
	s_lshr_b32 s3, ttmp7, 16
	s_add_co_i32 s2, s2, 1
	s_bfe_u32 s5, ttmp6, 0x40008
	s_mul_i32 s4, s3, s2
	s_getreg_b32 s2, hwreg(HW_REG_IB_STS2, 6, 4)
	s_add_co_i32 s5, s5, s4
	s_cmp_eq_u32 s2, 0
	s_mov_b32 s35, 0
	s_cselect_b32 s34, s3, s5
	s_wait_kmcnt 0x0
	s_cmp_ge_u32 s34, s11
	s_cbranch_scc1 .LBB74_64
; %bb.1:
	s_clause 0x3
	s_load_b96 s[8:10], s[0:1], 0x0
	s_load_b256 s[36:43], s[0:1], 0x50
	s_load_b512 s[12:27], s[0:1], 0x10
	s_load_b128 s[28:31], s[0:1], 0x70
	s_bfe_u32 s4, ttmp6, 0x4000c
	s_and_b32 s3, ttmp6, 15
	s_add_co_i32 s4, s4, 1
	s_bfe_u32 s5, ttmp6, 0x40010
	s_mul_i32 s4, ttmp9, s4
	s_and_b32 s6, ttmp7, 0xffff
	s_add_co_i32 s5, s5, 1
	s_add_co_i32 s3, s3, s4
	s_bfe_u32 s7, ttmp6, 0x40004
	s_mul_i32 s5, s6, s5
	v_bfe_u32 v65, v0, 10, 10
	s_add_co_i32 s7, s7, s5
	v_and_b32_e32 v4, 0x3ff, v0
	v_mov_b64_e32 v[24:25], 0
	v_mov_b64_e32 v[26:27], 0x3f800000
	v_lshlrev_b32_e32 v5, 8, v65
	s_wait_kmcnt 0x0
	s_add_co_i32 s33, s10, -1
	s_delay_alu instid0(SALU_CYCLE_1) | instskip(NEXT) | instid1(SALU_CYCLE_1)
	s_ashr_i32 s44, s33, 31
	s_lshr_b32 s4, s44, 27
	v_add_nc_u32_e32 v69, 0x2000, v5
	s_add_co_i32 s33, s33, s4
	s_lshl_b64 s[4:5], s[42:43], 3
	s_ashr_i32 s33, s33, 5
	s_cmp_eq_u32 s2, 0
	s_add_nc_u64 s[42:43], s[0:1], 0x88
	s_cselect_b32 s52, s6, s7
	s_cselect_b32 s0, ttmp9, s3
	s_cmp_le_i32 s52, s33
	s_add_nc_u64 s[40:41], s[40:41], s[4:5]
	s_cselect_b32 s53, -1, 0
	s_lshl_b32 s2, s0, 5
	s_delay_alu instid0(SALU_CYCLE_1) | instskip(SKIP_2) | instid1(SALU_CYCLE_1)
	v_dual_lshlrev_b32 v67, 3, v4 :: v_dual_add_nc_u32 v32, s2, v4
	v_add_nc_u32_e32 v28, s2, v65
	s_sub_co_i32 s54, s9, s2
	s_cmp_gt_i32 s54, 0
	s_delay_alu instid0(VALU_DEP_1) | instskip(SKIP_3) | instid1(VALU_DEP_2)
	v_dual_add_nc_u32 v71, v67, v5 :: v_dual_ashrrev_i32 v29, 31, v28
	s_cselect_b32 s55, -1, 0
	s_cmp_eq_u32 s8, 0x84
	v_dual_add_nc_u32 v74, v69, v67 :: v_dual_ashrrev_i32 v33, 31, v32
	v_lshl_add_u64 v[2:3], v[28:29], 3, 0x80
	s_cselect_b32 s56, -1, 0
	v_mul_u64_e32 v[0:1], s[20:21], v[28:29]
	s_lshl_b64 s[0:1], s[18:19], 3
	v_add_nc_u64_e32 v[36:37], 16, v[32:33]
	s_add_nc_u64 s[6:7], s[16:17], s[0:1]
	v_add_nc_u32_e32 v34, 16, v32
	v_mad_nc_u64_u32 v[30:31], s20, v2, s[6:7]
	s_mov_b32 s16, s9
	s_ashr_i32 s17, s9, 31
	s_lshl_b64 s[2:3], s[26:27], 3
	v_sub_nc_u64_e32 v[38:39], v[32:33], v[28:29]
	s_add_nc_u64 s[24:25], s[24:25], s[2:3]
	v_lshlrev_b64_e32 v[40:41], 3, v[32:33]
	v_cmp_le_i64_e64 s3, s[16:17], v[36:37]
	v_add_nc_u32_e32 v73, 0x800, v67
	v_cmp_le_i32_e64 s0, s9, v32
	v_cmp_gt_i32_e64 s1, s9, v32
	v_mad_u32 v2, s21, v2, v31
	v_cmp_gt_i32_e64 s2, s9, v34
	v_ashrrev_i32_e32 v35, 31, v34
	v_add_nc_u32_e32 v75, 0x1000, v67
	v_add_nc_u32_e32 v76, 0x1800, v67
	s_mov_b32 s18, s10
	s_ashr_i32 s19, s10, 31
	s_lshl_b64 s[44:45], s[20:21], 8
	s_add_nc_u64 s[26:27], s[16:17], -16
	s_lshl_b64 s[22:23], s[22:23], 3
	v_mad_u32 v31, s20, v3, v2
	s_lshl_b64 s[20:21], s[38:39], 3
	s_lshl_b64 s[38:39], s[36:37], 3
	v_lshl_add_u64 v[42:43], v[0:1], 3, s[6:7]
	s_branch .LBB74_4
.LBB74_2:                               ;   in Loop: Header=BB74_4 Depth=1
	s_add_co_i32 s34, s34, 0x10000
	s_delay_alu instid0(SALU_CYCLE_1)
	s_cmp_ge_u32 s34, s11
	s_cselect_b32 s4, -1, 0
.LBB74_3:                               ;   in Loop: Header=BB74_4 Depth=1
	s_delay_alu instid0(SALU_CYCLE_1)
	s_and_b32 vcc_lo, exec_lo, s4
	s_cbranch_vccnz .LBB74_64
.LBB74_4:                               ; =>This Loop Header: Depth=1
                                        ;     Child Loop BB74_8 Depth 2
                                        ;       Child Loop BB74_11 Depth 3
	s_mul_u64 s[4:5], s[14:15], s[34:35]
	v_mov_b32_e32 v0, 0
	s_lshl_b64 s[4:5], s[4:5], 3
	s_delay_alu instid0(SALU_CYCLE_1)
	s_add_nc_u64 s[4:5], s[12:13], s[4:5]
	global_load_b64 v[44:45], v0, s[4:5]
	s_wait_xcnt 0x0
	s_mov_b32 s4, -1
	s_wait_loadcnt 0x0
	v_or_b32_e32 v0, v44, v45
	s_delay_alu instid0(VALU_DEP_1) | instskip(NEXT) | instid1(VALU_DEP_1)
	v_and_b32_e32 v0, 0x7fffffff, v0
	v_cmp_eq_u32_e32 vcc_lo, 0, v0
	s_cbranch_vccnz .LBB74_3
; %bb.5:                                ;   in Loop: Header=BB74_4 Depth=1
	s_and_not1_b32 vcc_lo, exec_lo, s53
	s_cbranch_vccnz .LBB74_2
; %bb.6:                                ;   in Loop: Header=BB74_4 Depth=1
	s_load_b32 s9, s[42:43], 0x4
	v_mad_nc_u64_u32 v[46:47], s22, s34, v[30:31]
	v_mad_nc_u64_u32 v[48:49], s22, s34, v[42:43]
	s_mul_i32 s8, s23, s34
	s_mul_u64 s[6:7], s[30:31], s[34:35]
	v_lshl_add_u32 v52, s52, 5, v65
	v_dual_mov_b32 v50, v45 :: v_dual_mov_b32 v51, v44
	s_mul_u64 s[4:5], s[20:21], s[34:35]
	s_lshl_b64 s[6:7], s[6:7], 3
	s_add_nc_u64 s[46:47], s[24:25], s[4:5]
	s_add_nc_u64 s[48:49], s[40:41], s[6:7]
	s_delay_alu instid0(VALU_DEP_3)
	v_dual_add_nc_u32 v47, s8, v47 :: v_dual_add_nc_u32 v49, s8, v49
	s_mov_b32 s58, s52
	s_wait_kmcnt 0x0
	s_lshl_b32 s57, s9, 5
	s_branch .LBB74_8
.LBB74_7:                               ;   in Loop: Header=BB74_8 Depth=2
	s_wait_xcnt 0x0
	s_or_b32 exec_lo, exec_lo, s4
	v_add_nc_u32_e32 v52, s57, v52
	s_add_co_i32 s58, s9, s58
	s_delay_alu instid0(SALU_CYCLE_1)
	s_cmp_gt_i32 s58, s33
	s_cbranch_scc1 .LBB74_2
.LBB74_8:                               ;   Parent Loop BB74_4 Depth=1
                                        ; =>  This Loop Header: Depth=2
                                        ;       Child Loop BB74_11 Depth 3
	v_lshl_add_u32 v54, s58, 5, v65
	s_and_not1_b32 vcc_lo, exec_lo, s55
	s_delay_alu instid0(VALU_DEP_1)
	v_ashrrev_i32_e32 v55, 31, v54
	s_cbranch_vccnz .LBB74_55
; %bb.9:                                ;   in Loop: Header=BB74_8 Depth=2
	v_dual_mov_b32 v64, 0 :: v_dual_ashrrev_i32 v53, 31, v52
	v_mad_nc_u64_u32 v[56:57], s38, v52, s[46:47]
	s_delay_alu instid0(VALU_DEP_3) | instskip(SKIP_1) | instid1(VALU_DEP_4)
	v_sub_nc_u64_e32 v[2:3], s[18:19], v[54:55]
	v_mov_b64_e32 v[60:61], v[48:49]
	v_lshl_add_u64 v[0:1], v[52:53], 3, 0x80
	v_mov_b64_e32 v[62:63], v[46:47]
	v_dual_mov_b32 v66, 0 :: v_dual_mov_b32 v68, 0
	v_mov_b32_e32 v70, 0
	s_delay_alu instid0(VALU_DEP_4)
	v_mad_nc_u64_u32 v[58:59], s36, v0, s[46:47]
	v_cmp_lt_i64_e64 s4, 16, v[2:3]
	v_cmp_lt_i64_e32 vcc_lo, 0, v[2:3]
	v_mad_u32 v4, s39, v52, v57
	v_dual_mov_b32 v2, 0 :: v_dual_mov_b32 v72, 0
	s_mov_b64 s[50:51], 0
	v_mad_u32 v0, s37, v0, v59
	s_delay_alu instid0(VALU_DEP_3) | instskip(SKIP_1) | instid1(VALU_DEP_3)
	v_mad_u32 v57, s38, v53, v4
	v_mov_b32_e32 v4, 0
	v_mad_u32 v59, s36, v1, v0
	v_mov_b32_e32 v0, 0
	s_branch .LBB74_11
.LBB74_10:                              ;   in Loop: Header=BB74_11 Depth=3
	s_wait_xcnt 0x0
	s_or_b32 exec_lo, exec_lo, s5
	s_wait_dscnt 0x0
	s_barrier_signal -1
	s_barrier_wait -1
	ds_load_b128 v[16:19], v69
	ds_load_2addr_b64 v[78:81], v67 offset1:16
	ds_load_b128 v[20:23], v69 offset:4096
	ds_load_b128 v[8:11], v69 offset:16
	ds_load_2addr_b64 v[82:85], v67 offset0:32 offset1:48
	ds_load_b128 v[12:15], v69 offset:4112
	v_add_nc_u64_e32 v[56:57], 0x100, v[56:57]
	v_add_nc_u64_e32 v[62:63], s[44:45], v[62:63]
	;; [unrolled: 1-line block ×4, first 2 shown]
	s_add_nc_u64 s[50:51], s[50:51], 32
	s_delay_alu instid0(SALU_CYCLE_1) | instskip(SKIP_4) | instid1(VALU_DEP_2)
	s_cmp_ge_i32 s50, s54
	s_wait_dscnt 0x4
	v_dual_mul_f32 v1, v17, v79 :: v_dual_mul_f32 v3, v16, v79
	v_dual_mul_f32 v5, v17, v81 :: v_dual_mul_f32 v6, v16, v81
	s_wait_dscnt 0x3
	v_dual_mul_f32 v7, v21, v79 :: v_dual_fma_f32 v1, v16, v78, -v1
	v_dual_mul_f32 v53, v20, v79 :: v_dual_mul_f32 v77, v21, v81
	s_delay_alu instid0(VALU_DEP_3) | instskip(NEXT) | instid1(VALU_DEP_3)
	v_dual_mul_f32 v86, v20, v81 :: v_dual_fmac_f32 v6, v17, v80
	v_dual_add_f32 v72, v72, v1 :: v_dual_fmac_f32 v3, v17, v78
	v_fma_f32 v1, v16, v80, -v5
	s_delay_alu instid0(VALU_DEP_4) | instskip(NEXT) | instid1(VALU_DEP_3)
	v_dual_fma_f32 v5, v20, v78, -v7 :: v_dual_fmac_f32 v53, v21, v78
	v_dual_fmac_f32 v86, v21, v80 :: v_dual_add_f32 v17, v70, v3
	s_delay_alu instid0(VALU_DEP_3) | instskip(SKIP_1) | instid1(VALU_DEP_4)
	v_dual_fma_f32 v16, v20, v80, -v77 :: v_dual_add_f32 v20, v2, v1
	v_add_f32_e32 v70, v4, v6
	v_add_f32_e32 v77, v0, v5
	ds_load_b128 v[4:7], v69 offset:32
	ds_load_b128 v[0:3], v69 offset:48
	v_dual_add_f32 v53, v68, v53 :: v_dual_add_f32 v16, v66, v16
	s_wait_dscnt 0x3
	v_mul_f32_e32 v68, v19, v83
	ds_load_2addr_b64 v[78:81], v67 offset0:64 offset1:80
	v_dual_mul_f32 v21, v18, v83 :: v_dual_add_f32 v64, v64, v86
	v_dual_mul_f32 v86, v18, v85 :: v_dual_fma_f32 v66, v18, v82, -v68
	s_delay_alu instid0(VALU_DEP_2) | instskip(NEXT) | instid1(VALU_DEP_2)
	v_dual_mul_f32 v68, v19, v85 :: v_dual_fmac_f32 v21, v19, v82
	v_dual_fmac_f32 v86, v19, v84 :: v_dual_add_f32 v66, v72, v66
	s_delay_alu instid0(VALU_DEP_2) | instskip(NEXT) | instid1(VALU_DEP_3)
	v_dual_fma_f32 v18, v18, v84, -v68 :: v_dual_mul_f32 v68, v23, v83
	v_dual_add_f32 v21, v17, v21 :: v_dual_mul_f32 v17, v22, v83
	s_delay_alu instid0(VALU_DEP_2) | instskip(NEXT) | instid1(VALU_DEP_3)
	v_dual_mul_f32 v19, v23, v85 :: v_dual_add_f32 v20, v20, v18
	v_fma_f32 v18, v22, v82, -v68
	v_add_f32_e32 v68, v70, v86
	s_delay_alu instid0(VALU_DEP_4) | instskip(SKIP_3) | instid1(VALU_DEP_3)
	v_dual_fmac_f32 v17, v23, v82 :: v_dual_mul_f32 v70, v22, v85
	s_wait_dscnt 0x0
	v_mul_f32_e32 v82, v9, v81
	v_dual_add_f32 v72, v77, v18 :: v_dual_fma_f32 v18, v22, v84, -v19
	v_add_f32_e32 v22, v53, v17
	v_dual_mul_f32 v19, v9, v79 :: v_dual_fmac_f32 v70, v23, v84
	v_mul_f32_e32 v23, v8, v79
	s_delay_alu instid0(VALU_DEP_4) | instskip(NEXT) | instid1(VALU_DEP_3)
	v_add_f32_e32 v53, v16, v18
	v_fma_f32 v77, v8, v78, -v19
	ds_load_2addr_b64 v[16:19], v67 offset0:96 offset1:112
	v_add_f32_e32 v64, v64, v70
	v_dual_mul_f32 v70, v8, v81 :: v_dual_fmac_f32 v23, v9, v78
	v_dual_add_f32 v66, v66, v77 :: v_dual_fma_f32 v8, v8, v80, -v82
	s_delay_alu instid0(VALU_DEP_2) | instskip(NEXT) | instid1(VALU_DEP_3)
	v_fmac_f32_e32 v70, v9, v80
	v_add_f32_e32 v77, v21, v23
	v_dual_mul_f32 v21, v13, v79 :: v_dual_mul_f32 v23, v12, v79
	s_delay_alu instid0(VALU_DEP_4) | instskip(NEXT) | instid1(VALU_DEP_2)
	v_dual_add_f32 v8, v20, v8 :: v_dual_mul_f32 v9, v13, v81
	v_dual_fma_f32 v20, v12, v78, -v21 :: v_dual_fmac_f32 v23, v13, v78
	s_delay_alu instid0(VALU_DEP_2) | instskip(SKIP_1) | instid1(VALU_DEP_3)
	v_dual_mul_f32 v78, v12, v81 :: v_dual_fma_f32 v9, v12, v80, -v9
	v_add_f32_e32 v68, v68, v70
	v_dual_add_f32 v12, v72, v20 :: v_dual_add_f32 v70, v22, v23
	s_wait_dscnt 0x0
	s_delay_alu instid0(VALU_DEP_3) | instskip(SKIP_4) | instid1(VALU_DEP_2)
	v_dual_fmac_f32 v78, v13, v80 :: v_dual_mul_f32 v13, v11, v17
	ds_load_2addr_b64 v[20:23], v67 offset0:128 offset1:144
	v_dual_add_f32 v9, v53, v9 :: v_dual_mul_f32 v72, v11, v19
	v_dual_mul_f32 v53, v10, v17 :: v_dual_fma_f32 v13, v10, v16, -v13
	v_dual_add_f32 v64, v64, v78 :: v_dual_mul_f32 v78, v10, v19
	v_dual_fma_f32 v10, v10, v18, -v72 :: v_dual_fmac_f32 v53, v11, v16
	s_delay_alu instid0(VALU_DEP_3) | instskip(SKIP_1) | instid1(VALU_DEP_3)
	v_add_f32_e32 v66, v66, v13
	v_mul_f32_e32 v13, v15, v17
	v_dual_fmac_f32 v78, v11, v18 :: v_dual_add_f32 v11, v77, v53
	s_delay_alu instid0(VALU_DEP_4) | instskip(NEXT) | instid1(VALU_DEP_2)
	v_dual_add_f32 v53, v8, v10 :: v_dual_mul_f32 v8, v14, v17
	v_dual_fma_f32 v10, v14, v16, -v13 :: v_dual_add_f32 v17, v68, v78
	v_mul_f32_e32 v13, v15, v19
	ds_load_b128 v[78:81], v69 offset:4128
	v_dual_fmac_f32 v8, v15, v16 :: v_dual_add_f32 v16, v12, v10
	v_dual_mul_f32 v10, v14, v19 :: v_dual_fma_f32 v12, v14, v18, -v13
	s_wait_dscnt 0x1
	s_delay_alu instid0(VALU_DEP_2) | instskip(NEXT) | instid1(VALU_DEP_2)
	v_dual_mul_f32 v13, v5, v21 :: v_dual_add_f32 v19, v70, v8
	v_dual_mul_f32 v8, v4, v21 :: v_dual_fmac_f32 v10, v15, v18
	s_delay_alu instid0(VALU_DEP_3) | instskip(NEXT) | instid1(VALU_DEP_3)
	v_add_f32_e32 v18, v9, v12
	v_fma_f32 v9, v4, v20, -v13
	ds_load_2addr_b64 v[12:15], v67 offset0:160 offset1:176
	v_dual_fmac_f32 v8, v5, v20 :: v_dual_mul_f32 v68, v5, v23
	v_dual_add_f32 v64, v64, v10 :: v_dual_add_f32 v66, v66, v9
	s_delay_alu instid0(VALU_DEP_2) | instskip(SKIP_4) | instid1(VALU_DEP_2)
	v_dual_mul_f32 v70, v4, v23 :: v_dual_add_f32 v72, v11, v8
	ds_load_b128 v[8:11], v69 offset:4144
	s_wait_dscnt 0x2
	v_dual_fma_f32 v4, v4, v22, -v68 :: v_dual_mul_f32 v68, v79, v21
	v_dual_fmac_f32 v70, v5, v22 :: v_dual_mul_f32 v5, v78, v21
	v_dual_mul_f32 v21, v79, v23 :: v_dual_add_f32 v4, v53, v4
	s_delay_alu instid0(VALU_DEP_2) | instskip(NEXT) | instid1(VALU_DEP_3)
	v_dual_fma_f32 v53, v78, v20, -v68 :: v_dual_add_f32 v17, v17, v70
	v_dual_fmac_f32 v5, v79, v20 :: v_dual_mul_f32 v68, v78, v23
	s_delay_alu instid0(VALU_DEP_2) | instskip(SKIP_2) | instid1(VALU_DEP_2)
	v_dual_fma_f32 v20, v78, v22, -v21 :: v_dual_add_f32 v16, v16, v53
	s_wait_dscnt 0x1
	v_mul_f32_e32 v21, v7, v13
	v_dual_fmac_f32 v68, v79, v22 :: v_dual_add_f32 v53, v18, v20
	s_delay_alu instid0(VALU_DEP_2) | instskip(SKIP_3) | instid1(VALU_DEP_2)
	v_dual_add_f32 v5, v19, v5 :: v_dual_fma_f32 v19, v6, v12, -v21
	ds_load_2addr_b64 v[20:23], v67 offset0:192 offset1:208
	v_dual_mul_f32 v18, v6, v13 :: v_dual_mul_f32 v70, v7, v15
	v_dual_add_f32 v64, v64, v68 :: v_dual_add_f32 v66, v66, v19
	v_dual_mul_f32 v19, v6, v15 :: v_dual_fmac_f32 v18, v7, v12
	s_delay_alu instid0(VALU_DEP_3) | instskip(NEXT) | instid1(VALU_DEP_2)
	v_dual_fma_f32 v6, v6, v14, -v70 :: v_dual_mul_f32 v68, v81, v13
	v_dual_mul_f32 v13, v80, v13 :: v_dual_fmac_f32 v19, v7, v14
	s_delay_alu instid0(VALU_DEP_3) | instskip(NEXT) | instid1(VALU_DEP_3)
	v_add_f32_e32 v70, v72, v18
	v_dual_add_f32 v4, v4, v6 :: v_dual_mul_f32 v7, v81, v15
	s_delay_alu instid0(VALU_DEP_3) | instskip(NEXT) | instid1(VALU_DEP_4)
	v_dual_fma_f32 v6, v80, v12, -v68 :: v_dual_fmac_f32 v13, v81, v12
	v_add_f32_e32 v12, v17, v19
	s_delay_alu instid0(VALU_DEP_3) | instskip(NEXT) | instid1(VALU_DEP_3)
	v_dual_mul_f32 v15, v80, v15 :: v_dual_fma_f32 v7, v80, v14, -v7
	v_dual_add_f32 v6, v16, v6 :: v_dual_add_f32 v5, v5, v13
	s_wait_dscnt 0x0
	v_mul_f32_e32 v13, v1, v21
	ds_load_2addr_b64 v[16:19], v67 offset0:224 offset1:240
	v_dual_fmac_f32 v15, v81, v14 :: v_dual_mul_f32 v14, v0, v21
	v_dual_add_f32 v7, v53, v7 :: v_dual_fma_f32 v13, v0, v20, -v13
	v_dual_mul_f32 v53, v1, v23 :: v_dual_mul_f32 v68, v0, v23
	s_delay_alu instid0(VALU_DEP_3) | instskip(NEXT) | instid1(VALU_DEP_2)
	v_dual_fmac_f32 v14, v1, v20 :: v_dual_add_f32 v64, v64, v15
	v_dual_add_f32 v66, v66, v13 :: v_dual_fma_f32 v0, v0, v22, -v53
	s_delay_alu instid0(VALU_DEP_3) | instskip(SKIP_1) | instid1(VALU_DEP_3)
	v_fmac_f32_e32 v68, v1, v22
	v_dual_mul_f32 v1, v9, v21 :: v_dual_mul_f32 v13, v8, v21
	v_dual_add_f32 v53, v70, v14 :: v_dual_add_f32 v0, v4, v0
	s_delay_alu instid0(VALU_DEP_3) | instskip(NEXT) | instid1(VALU_DEP_3)
	v_dual_mul_f32 v4, v9, v23 :: v_dual_add_f32 v68, v12, v68
	v_dual_fma_f32 v1, v8, v20, -v1 :: v_dual_mul_f32 v70, v8, v23
	s_delay_alu instid0(VALU_DEP_2) | instskip(SKIP_2) | instid1(VALU_DEP_3)
	v_dual_fmac_f32 v13, v9, v20 :: v_dual_fma_f32 v4, v8, v22, -v4
	s_wait_dscnt 0x0
	v_mul_f32_e32 v8, v3, v17
	v_dual_add_f32 v1, v6, v1 :: v_dual_fmac_f32 v70, v9, v22
	s_delay_alu instid0(VALU_DEP_3) | instskip(NEXT) | instid1(VALU_DEP_3)
	v_dual_add_f32 v72, v5, v13 :: v_dual_add_f32 v9, v7, v4
	v_dual_fma_f32 v4, v2, v16, -v8 :: v_dual_mul_f32 v5, v2, v17
	s_delay_alu instid0(VALU_DEP_3) | instskip(SKIP_4) | instid1(VALU_DEP_2)
	v_dual_mul_f32 v6, v3, v19 :: v_dual_add_f32 v64, v64, v70
	ds_load_b128 v[12:15], v69 offset:64
	ds_load_2addr_b64 v[20:23], v73 offset1:16
	v_dual_mul_f32 v7, v2, v19 :: v_dual_fmac_f32 v5, v3, v16
	v_dual_add_f32 v66, v66, v4 :: v_dual_mul_f32 v4, v11, v17
	v_dual_fma_f32 v2, v2, v18, -v6 :: v_dual_fmac_f32 v7, v3, v18
	v_mul_f32_e32 v3, v10, v17
	s_delay_alu instid0(VALU_DEP_4)
	v_add_f32_e32 v53, v53, v5
	ds_load_b128 v[78:81], v69 offset:4160
	v_dual_add_f32 v17, v0, v2 :: v_dual_fma_f32 v0, v10, v16, -v4
	v_dual_mul_f32 v2, v11, v19 :: v_dual_fmac_f32 v3, v11, v16
	v_add_f32_e32 v68, v68, v7
	ds_load_b128 v[4:7], v69 offset:80
	v_dual_add_f32 v16, v1, v0 :: v_dual_fma_f32 v0, v10, v18, -v2
	v_mul_f32_e32 v1, v10, v19
	s_wait_dscnt 0x2
	v_dual_add_f32 v19, v72, v3 :: v_dual_mul_f32 v2, v13, v21
	s_delay_alu instid0(VALU_DEP_2)
	v_dual_mul_f32 v3, v12, v21 :: v_dual_fmac_f32 v1, v11, v18
	v_add_f32_e32 v18, v9, v0
	ds_load_2addr_b64 v[8:11], v73 offset0:32 offset1:48
	v_dual_fma_f32 v0, v12, v20, -v2 :: v_dual_fmac_f32 v3, v13, v20
	s_wait_dscnt 0x2
	v_dual_mul_f32 v2, v13, v23 :: v_dual_mul_f32 v72, v79, v21
	s_delay_alu instid0(VALU_DEP_2) | instskip(NEXT) | instid1(VALU_DEP_2)
	v_dual_add_f32 v64, v64, v1 :: v_dual_add_f32 v66, v66, v0
	v_dual_mul_f32 v70, v12, v23 :: v_dual_fma_f32 v12, v12, v22, -v2
	v_add_f32_e32 v53, v53, v3
	ds_load_b128 v[0:3], v69 offset:4176
	v_dual_fmac_f32 v70, v13, v22 :: v_dual_mul_f32 v13, v78, v21
	v_dual_add_f32 v12, v17, v12 :: v_dual_mul_f32 v17, v79, v23
	s_delay_alu instid0(VALU_DEP_2) | instskip(NEXT) | instid1(VALU_DEP_3)
	v_dual_fma_f32 v21, v78, v20, -v72 :: v_dual_add_f32 v68, v68, v70
	v_dual_fmac_f32 v13, v79, v20 :: v_dual_mul_f32 v20, v78, v23
	s_delay_alu instid0(VALU_DEP_2) | instskip(SKIP_2) | instid1(VALU_DEP_3)
	v_dual_fma_f32 v17, v78, v22, -v17 :: v_dual_add_f32 v21, v16, v21
	s_wait_dscnt 0x1
	v_dual_mul_f32 v16, v15, v9 :: v_dual_mul_f32 v23, v14, v9
	v_add_f32_e32 v13, v19, v13
	s_delay_alu instid0(VALU_DEP_3) | instskip(NEXT) | instid1(VALU_DEP_3)
	v_dual_fmac_f32 v20, v79, v22 :: v_dual_add_f32 v22, v18, v17
	v_fma_f32 v70, v14, v8, -v16
	ds_load_2addr_b64 v[16:19], v73 offset0:64 offset1:80
	v_dual_mul_f32 v72, v15, v11 :: v_dual_add_f32 v20, v64, v20
	v_dual_fmac_f32 v23, v15, v8 :: v_dual_add_f32 v64, v66, v70
	s_delay_alu instid0(VALU_DEP_2) | instskip(SKIP_1) | instid1(VALU_DEP_2)
	v_dual_mul_f32 v66, v14, v11 :: v_dual_fma_f32 v14, v14, v10, -v72
	v_dual_mul_f32 v70, v81, v9 :: v_dual_mul_f32 v9, v80, v9
	v_dual_add_f32 v23, v53, v23 :: v_dual_fmac_f32 v66, v15, v10
	s_delay_alu instid0(VALU_DEP_3) | instskip(NEXT) | instid1(VALU_DEP_3)
	v_add_f32_e32 v53, v12, v14
	v_dual_fma_f32 v12, v80, v8, -v70 :: v_dual_fmac_f32 v9, v81, v8
	s_delay_alu instid0(VALU_DEP_3) | instskip(NEXT) | instid1(VALU_DEP_2)
	v_dual_mul_f32 v8, v81, v11 :: v_dual_add_f32 v66, v68, v66
	v_dual_mul_f32 v11, v80, v11 :: v_dual_add_f32 v21, v21, v12
	s_delay_alu instid0(VALU_DEP_3) | instskip(SKIP_4) | instid1(VALU_DEP_2)
	v_add_f32_e32 v9, v13, v9
	ds_load_2addr_b64 v[12:15], v73 offset0:96 offset1:112
	s_wait_dscnt 0x1
	v_dual_fma_f32 v8, v80, v10, -v8 :: v_dual_mul_f32 v68, v5, v17
	v_dual_fmac_f32 v11, v81, v10 :: v_dual_mul_f32 v10, v4, v17
	v_add_f32_e32 v8, v22, v8
	s_delay_alu instid0(VALU_DEP_3) | instskip(NEXT) | instid1(VALU_DEP_3)
	v_dual_fma_f32 v22, v4, v16, -v68 :: v_dual_mul_f32 v68, v5, v19
	v_dual_fmac_f32 v10, v5, v16 :: v_dual_mul_f32 v70, v4, v19
	s_delay_alu instid0(VALU_DEP_4) | instskip(NEXT) | instid1(VALU_DEP_3)
	v_add_f32_e32 v20, v20, v11
	v_add_f32_e32 v22, v64, v22
	s_delay_alu instid0(VALU_DEP_4) | instskip(NEXT) | instid1(VALU_DEP_4)
	v_fma_f32 v4, v4, v18, -v68
	v_add_f32_e32 v23, v23, v10
	v_dual_fmac_f32 v70, v5, v18 :: v_dual_mul_f32 v10, v0, v17
	v_dual_mul_f32 v5, v1, v17 :: v_dual_mul_f32 v11, v1, v19
	s_delay_alu instid0(VALU_DEP_4) | instskip(NEXT) | instid1(VALU_DEP_2)
	v_dual_mul_f32 v64, v0, v19 :: v_dual_add_f32 v4, v53, v4
	v_dual_add_f32 v53, v66, v70 :: v_dual_fma_f32 v5, v0, v16, -v5
	s_delay_alu instid0(VALU_DEP_3) | instskip(SKIP_1) | instid1(VALU_DEP_3)
	v_dual_fmac_f32 v10, v1, v16 :: v_dual_fma_f32 v0, v0, v18, -v11
	s_wait_dscnt 0x0
	v_dual_mul_f32 v11, v7, v13 :: v_dual_fmac_f32 v64, v1, v18
	s_delay_alu instid0(VALU_DEP_3) | instskip(NEXT) | instid1(VALU_DEP_3)
	v_add_f32_e32 v5, v21, v5
	v_dual_add_f32 v66, v9, v10 :: v_dual_add_f32 v0, v8, v0
	s_delay_alu instid0(VALU_DEP_3) | instskip(SKIP_4) | instid1(VALU_DEP_2)
	v_fma_f32 v1, v6, v12, -v11
	ds_load_b128 v[8:11], v69 offset:96
	ds_load_2addr_b64 v[16:19], v73 offset0:128 offset1:144
	v_dual_mul_f32 v21, v6, v13 :: v_dual_mul_f32 v68, v7, v15
	v_dual_add_f32 v64, v20, v64 :: v_dual_mul_f32 v20, v6, v15
	v_dual_add_f32 v1, v22, v1 :: v_dual_fmac_f32 v21, v7, v12
	s_delay_alu instid0(VALU_DEP_3) | instskip(NEXT) | instid1(VALU_DEP_3)
	v_dual_fma_f32 v6, v6, v14, -v68 :: v_dual_mul_f32 v22, v3, v13
	v_dual_fmac_f32 v20, v7, v14 :: v_dual_mul_f32 v13, v2, v13
	s_delay_alu instid0(VALU_DEP_2) | instskip(NEXT) | instid1(VALU_DEP_3)
	v_dual_add_f32 v68, v23, v21 :: v_dual_add_f32 v70, v4, v6
	v_dual_fma_f32 v4, v2, v12, -v22 :: v_dual_mul_f32 v6, v3, v15
	s_delay_alu instid0(VALU_DEP_3) | instskip(NEXT) | instid1(VALU_DEP_4)
	v_add_f32_e32 v53, v53, v20
	v_fmac_f32_e32 v13, v3, v12
	ds_load_b128 v[20:23], v69 offset:4192
	v_dual_add_f32 v72, v5, v4 :: v_dual_fma_f32 v12, v2, v14, -v6
	s_wait_dscnt 0x1
	v_dual_mul_f32 v2, v2, v15 :: v_dual_mul_f32 v15, v9, v17
	v_mul_f32_e32 v77, v8, v17
	s_delay_alu instid0(VALU_DEP_3) | instskip(NEXT) | instid1(VALU_DEP_3)
	v_dual_add_f32 v66, v66, v13 :: v_dual_add_f32 v78, v0, v12
	v_dual_fmac_f32 v2, v3, v14 :: v_dual_fma_f32 v0, v8, v16, -v15
	s_delay_alu instid0(VALU_DEP_3)
	v_fmac_f32_e32 v77, v9, v16
	ds_load_2addr_b64 v[12:15], v73 offset0:160 offset1:176
	v_dual_mul_f32 v3, v9, v19 :: v_dual_mul_f32 v80, v8, v19
	ds_load_b128 v[4:7], v69 offset:112
	v_dual_add_f32 v64, v64, v2 :: v_dual_add_f32 v79, v1, v0
	v_fma_f32 v8, v8, v18, -v3
	v_dual_add_f32 v68, v68, v77 :: v_dual_fmac_f32 v80, v9, v18
	s_wait_dscnt 0x2
	v_dual_mul_f32 v77, v21, v17 :: v_dual_mul_f32 v9, v20, v17
	s_delay_alu instid0(VALU_DEP_3) | instskip(NEXT) | instid1(VALU_DEP_3)
	v_dual_add_f32 v8, v70, v8 :: v_dual_mul_f32 v17, v21, v19
	v_add_f32_e32 v53, v53, v80
	s_delay_alu instid0(VALU_DEP_3) | instskip(NEXT) | instid1(VALU_DEP_4)
	v_dual_fma_f32 v70, v20, v16, -v77 :: v_dual_mul_f32 v77, v20, v19
	v_fmac_f32_e32 v9, v21, v16
	s_delay_alu instid0(VALU_DEP_4)
	v_fma_f32 v16, v20, v18, -v17
	ds_load_b128 v[0:3], v69 offset:4208
	s_wait_dscnt 0x2
	v_dual_add_f32 v20, v72, v70 :: v_dual_mul_f32 v17, v11, v13
	v_dual_fmac_f32 v77, v21, v18 :: v_dual_add_f32 v9, v66, v9
	v_dual_mul_f32 v72, v11, v15 :: v_dual_add_f32 v21, v78, v16
	s_delay_alu instid0(VALU_DEP_3)
	v_dual_mul_f32 v66, v10, v13 :: v_dual_fma_f32 v70, v10, v12, -v17
	ds_load_2addr_b64 v[16:19], v73 offset0:192 offset1:208
	v_dual_add_f32 v64, v64, v77 :: v_dual_mul_f32 v77, v10, v15
	v_fmac_f32_e32 v66, v11, v12
	v_add_f32_e32 v70, v79, v70
	v_dual_fma_f32 v10, v10, v14, -v72 :: v_dual_mul_f32 v72, v23, v13
	s_delay_alu instid0(VALU_DEP_3) | instskip(SKIP_1) | instid1(VALU_DEP_2)
	v_dual_mul_f32 v13, v22, v13 :: v_dual_add_f32 v66, v68, v66
	v_dual_fmac_f32 v77, v11, v14 :: v_dual_mul_f32 v68, v22, v15
	v_dual_add_f32 v8, v8, v10 :: v_dual_fmac_f32 v13, v23, v12
	s_delay_alu instid0(VALU_DEP_4) | instskip(NEXT) | instid1(VALU_DEP_3)
	v_dual_fma_f32 v10, v22, v12, -v72 :: v_dual_mul_f32 v11, v23, v15
	v_dual_add_f32 v53, v53, v77 :: v_dual_fmac_f32 v68, v23, v14
	s_delay_alu instid0(VALU_DEP_2) | instskip(SKIP_1) | instid1(VALU_DEP_3)
	v_dual_add_f32 v9, v9, v13 :: v_dual_add_f32 v10, v20, v10
	s_wait_dscnt 0x0
	v_dual_fma_f32 v11, v22, v14, -v11 :: v_dual_mul_f32 v20, v5, v17
	ds_load_2addr_b64 v[12:15], v73 offset0:224 offset1:240
	v_dual_mul_f32 v22, v4, v17 :: v_dual_add_f32 v11, v21, v11
	v_dual_fma_f32 v20, v4, v16, -v20 :: v_dual_mul_f32 v21, v5, v19
	s_delay_alu instid0(VALU_DEP_2) | instskip(SKIP_1) | instid1(VALU_DEP_3)
	v_dual_fmac_f32 v22, v5, v16 :: v_dual_mul_f32 v23, v4, v19
	v_add_f32_e32 v64, v64, v68
	v_dual_add_f32 v20, v70, v20 :: v_dual_fma_f32 v4, v4, v18, -v21
	s_delay_alu instid0(VALU_DEP_3) | instskip(NEXT) | instid1(VALU_DEP_4)
	v_add_f32_e32 v21, v66, v22
	v_fmac_f32_e32 v23, v5, v18
	v_dual_mul_f32 v5, v1, v17 :: v_dual_mul_f32 v17, v0, v17
	s_delay_alu instid0(VALU_DEP_4) | instskip(NEXT) | instid1(VALU_DEP_2)
	v_dual_add_f32 v4, v8, v4 :: v_dual_mul_f32 v8, v1, v19
	v_dual_add_f32 v22, v53, v23 :: v_dual_fma_f32 v5, v0, v16, -v5
	s_delay_alu instid0(VALU_DEP_3) | instskip(SKIP_1) | instid1(VALU_DEP_3)
	v_dual_fmac_f32 v17, v1, v16 :: v_dual_mul_f32 v23, v0, v19
	s_wait_dscnt 0x0
	v_dual_fma_f32 v0, v0, v18, -v8 :: v_dual_mul_f32 v8, v7, v13
	s_delay_alu instid0(VALU_DEP_3) | instskip(NEXT) | instid1(VALU_DEP_3)
	v_add_f32_e32 v5, v10, v5
	v_add_f32_e32 v53, v9, v17
	s_delay_alu instid0(VALU_DEP_3) | instskip(NEXT) | instid1(VALU_DEP_4)
	v_dual_fmac_f32 v23, v1, v18 :: v_dual_add_f32 v0, v11, v0
	v_dual_fma_f32 v1, v6, v12, -v8 :: v_dual_mul_f32 v66, v6, v13
	ds_load_b128 v[8:11], v69 offset:128
	ds_load_2addr_b64 v[16:19], v75 offset1:16
	v_dual_mul_f32 v68, v7, v15 :: v_dual_add_f32 v1, v20, v1
	v_dual_fmac_f32 v66, v7, v12 :: v_dual_add_f32 v64, v64, v23
	s_delay_alu instid0(VALU_DEP_2) | instskip(NEXT) | instid1(VALU_DEP_2)
	v_dual_mul_f32 v23, v6, v15 :: v_dual_fma_f32 v6, v6, v14, -v68
	v_dual_mul_f32 v20, v3, v13 :: v_dual_add_f32 v66, v21, v66
	s_delay_alu instid0(VALU_DEP_2) | instskip(NEXT) | instid1(VALU_DEP_2)
	v_dual_mul_f32 v13, v2, v13 :: v_dual_fmac_f32 v23, v7, v14
	v_dual_add_f32 v68, v4, v6 :: v_dual_fma_f32 v4, v2, v12, -v20
	s_delay_alu instid0(VALU_DEP_2) | instskip(NEXT) | instid1(VALU_DEP_3)
	v_dual_mul_f32 v6, v3, v15 :: v_dual_fmac_f32 v13, v3, v12
	v_add_f32_e32 v70, v22, v23
	ds_load_b128 v[20:23], v69 offset:4224
	v_dual_add_f32 v72, v5, v4 :: v_dual_fma_f32 v12, v2, v14, -v6
	s_wait_dscnt 0x1
	v_dual_mul_f32 v2, v2, v15 :: v_dual_mul_f32 v15, v9, v17
	v_mul_f32_e32 v77, v8, v17
	s_delay_alu instid0(VALU_DEP_3) | instskip(NEXT) | instid1(VALU_DEP_3)
	v_dual_add_f32 v53, v53, v13 :: v_dual_add_f32 v78, v0, v12
	v_dual_fmac_f32 v2, v3, v14 :: v_dual_fma_f32 v0, v8, v16, -v15
	s_delay_alu instid0(VALU_DEP_3)
	v_fmac_f32_e32 v77, v9, v16
	ds_load_2addr_b64 v[12:15], v75 offset0:32 offset1:48
	v_dual_mul_f32 v3, v9, v19 :: v_dual_mul_f32 v80, v8, v19
	ds_load_b128 v[4:7], v69 offset:144
	v_dual_add_f32 v66, v66, v77 :: v_dual_add_f32 v64, v64, v2
	v_dual_add_f32 v79, v1, v0 :: v_dual_fma_f32 v8, v8, v18, -v3
	s_wait_dscnt 0x2
	v_dual_fmac_f32 v80, v9, v18 :: v_dual_mul_f32 v9, v20, v17
	v_dual_mul_f32 v77, v21, v17 :: v_dual_mul_f32 v17, v21, v19
	s_delay_alu instid0(VALU_DEP_3) | instskip(NEXT) | instid1(VALU_DEP_3)
	v_add_f32_e32 v8, v68, v8
	v_add_f32_e32 v70, v70, v80
	s_delay_alu instid0(VALU_DEP_4) | instskip(NEXT) | instid1(VALU_DEP_4)
	v_fmac_f32_e32 v9, v21, v16
	v_dual_fma_f32 v68, v20, v16, -v77 :: v_dual_mul_f32 v77, v20, v19
	v_fma_f32 v16, v20, v18, -v17
	ds_load_b128 v[0:3], v69 offset:4240
	s_wait_dscnt 0x2
	v_dual_mul_f32 v17, v11, v13 :: v_dual_add_f32 v20, v72, v68
	v_add_f32_e32 v9, v53, v9
	v_dual_fmac_f32 v77, v21, v18 :: v_dual_add_f32 v21, v78, v16
	s_delay_alu instid0(VALU_DEP_3) | instskip(SKIP_3) | instid1(VALU_DEP_2)
	v_dual_mul_f32 v53, v10, v13 :: v_dual_fma_f32 v68, v10, v12, -v17
	ds_load_2addr_b64 v[16:19], v75 offset0:64 offset1:80
	v_dual_mul_f32 v72, v11, v15 :: v_dual_add_f32 v64, v64, v77
	v_dual_fmac_f32 v53, v11, v12 :: v_dual_mul_f32 v77, v10, v15
	v_dual_add_f32 v68, v79, v68 :: v_dual_fma_f32 v10, v10, v14, -v72
	v_dual_mul_f32 v72, v23, v13 :: v_dual_mul_f32 v13, v22, v13
	s_delay_alu instid0(VALU_DEP_3) | instskip(NEXT) | instid1(VALU_DEP_2)
	v_dual_add_f32 v53, v66, v53 :: v_dual_fmac_f32 v77, v11, v14
	v_dual_add_f32 v8, v8, v10 :: v_dual_fma_f32 v10, v22, v12, -v72
	s_delay_alu instid0(VALU_DEP_3) | instskip(NEXT) | instid1(VALU_DEP_3)
	v_dual_fmac_f32 v13, v23, v12 :: v_dual_mul_f32 v11, v23, v15
	v_add_f32_e32 v66, v70, v77
	s_delay_alu instid0(VALU_DEP_3) | instskip(NEXT) | instid1(VALU_DEP_3)
	v_dual_mul_f32 v70, v22, v15 :: v_dual_add_f32 v10, v20, v10
	v_dual_add_f32 v9, v9, v13 :: v_dual_fma_f32 v11, v22, v14, -v11
	s_wait_dscnt 0x0
	s_delay_alu instid0(VALU_DEP_2)
	v_dual_mul_f32 v20, v5, v17 :: v_dual_fmac_f32 v70, v23, v14
	v_mul_f32_e32 v22, v4, v17
	ds_load_2addr_b64 v[12:15], v75 offset0:96 offset1:112
	v_dual_add_f32 v11, v21, v11 :: v_dual_fma_f32 v20, v4, v16, -v20
	v_dual_mul_f32 v21, v5, v19 :: v_dual_fmac_f32 v22, v5, v16
	v_mul_f32_e32 v23, v4, v19
	v_add_f32_e32 v64, v64, v70
	s_delay_alu instid0(VALU_DEP_4) | instskip(NEXT) | instid1(VALU_DEP_4)
	v_add_f32_e32 v20, v68, v20
	v_fma_f32 v4, v4, v18, -v21
	v_add_f32_e32 v21, v53, v22
	v_fmac_f32_e32 v23, v5, v18
	v_dual_mul_f32 v5, v1, v17 :: v_dual_mul_f32 v17, v0, v17
	s_delay_alu instid0(VALU_DEP_4) | instskip(NEXT) | instid1(VALU_DEP_2)
	v_dual_add_f32 v4, v8, v4 :: v_dual_mul_f32 v8, v1, v19
	v_dual_add_f32 v22, v66, v23 :: v_dual_fma_f32 v5, v0, v16, -v5
	s_delay_alu instid0(VALU_DEP_3) | instskip(SKIP_1) | instid1(VALU_DEP_3)
	v_dual_fmac_f32 v17, v1, v16 :: v_dual_mul_f32 v23, v0, v19
	s_wait_dscnt 0x0
	v_dual_fma_f32 v0, v0, v18, -v8 :: v_dual_mul_f32 v8, v7, v13
	s_delay_alu instid0(VALU_DEP_3) | instskip(NEXT) | instid1(VALU_DEP_3)
	v_add_f32_e32 v5, v10, v5
	v_add_f32_e32 v53, v9, v17
	s_delay_alu instid0(VALU_DEP_3) | instskip(NEXT) | instid1(VALU_DEP_4)
	v_dual_fmac_f32 v23, v1, v18 :: v_dual_add_f32 v0, v11, v0
	v_dual_fma_f32 v1, v6, v12, -v8 :: v_dual_mul_f32 v66, v6, v13
	ds_load_b128 v[8:11], v69 offset:160
	ds_load_2addr_b64 v[16:19], v75 offset0:128 offset1:144
	v_dual_mul_f32 v68, v7, v15 :: v_dual_add_f32 v1, v20, v1
	v_dual_fmac_f32 v66, v7, v12 :: v_dual_add_f32 v64, v64, v23
	s_delay_alu instid0(VALU_DEP_2) | instskip(NEXT) | instid1(VALU_DEP_2)
	v_dual_mul_f32 v23, v6, v15 :: v_dual_fma_f32 v6, v6, v14, -v68
	v_dual_mul_f32 v20, v3, v13 :: v_dual_add_f32 v66, v21, v66
	s_delay_alu instid0(VALU_DEP_2) | instskip(NEXT) | instid1(VALU_DEP_2)
	v_dual_mul_f32 v13, v2, v13 :: v_dual_fmac_f32 v23, v7, v14
	v_dual_add_f32 v68, v4, v6 :: v_dual_fma_f32 v4, v2, v12, -v20
	s_delay_alu instid0(VALU_DEP_2) | instskip(NEXT) | instid1(VALU_DEP_3)
	v_dual_mul_f32 v6, v3, v15 :: v_dual_fmac_f32 v13, v3, v12
	v_add_f32_e32 v70, v22, v23
	ds_load_b128 v[20:23], v69 offset:4256
	v_dual_add_f32 v72, v5, v4 :: v_dual_fma_f32 v12, v2, v14, -v6
	s_wait_dscnt 0x1
	v_dual_mul_f32 v2, v2, v15 :: v_dual_mul_f32 v15, v9, v17
	v_mul_f32_e32 v77, v8, v17
	s_delay_alu instid0(VALU_DEP_3) | instskip(NEXT) | instid1(VALU_DEP_3)
	v_dual_add_f32 v53, v53, v13 :: v_dual_add_f32 v78, v0, v12
	v_dual_fmac_f32 v2, v3, v14 :: v_dual_fma_f32 v0, v8, v16, -v15
	s_delay_alu instid0(VALU_DEP_3)
	v_fmac_f32_e32 v77, v9, v16
	ds_load_2addr_b64 v[12:15], v75 offset0:160 offset1:176
	v_dual_mul_f32 v3, v9, v19 :: v_dual_mul_f32 v80, v8, v19
	ds_load_b128 v[4:7], v69 offset:176
	v_dual_add_f32 v66, v66, v77 :: v_dual_add_f32 v64, v64, v2
	v_dual_add_f32 v79, v1, v0 :: v_dual_fma_f32 v8, v8, v18, -v3
	s_wait_dscnt 0x2
	v_dual_fmac_f32 v80, v9, v18 :: v_dual_mul_f32 v9, v20, v17
	v_dual_mul_f32 v77, v21, v17 :: v_dual_mul_f32 v17, v21, v19
	s_delay_alu instid0(VALU_DEP_3) | instskip(NEXT) | instid1(VALU_DEP_3)
	v_add_f32_e32 v8, v68, v8
	v_add_f32_e32 v70, v70, v80
	s_delay_alu instid0(VALU_DEP_4) | instskip(NEXT) | instid1(VALU_DEP_4)
	v_fmac_f32_e32 v9, v21, v16
	v_dual_fma_f32 v68, v20, v16, -v77 :: v_dual_mul_f32 v77, v20, v19
	v_fma_f32 v16, v20, v18, -v17
	ds_load_b128 v[0:3], v69 offset:4272
	s_wait_dscnt 0x2
	v_dual_mul_f32 v17, v11, v13 :: v_dual_add_f32 v20, v72, v68
	v_add_f32_e32 v9, v53, v9
	v_dual_fmac_f32 v77, v21, v18 :: v_dual_add_f32 v21, v78, v16
	s_delay_alu instid0(VALU_DEP_3) | instskip(SKIP_3) | instid1(VALU_DEP_2)
	v_dual_mul_f32 v53, v10, v13 :: v_dual_fma_f32 v68, v10, v12, -v17
	ds_load_2addr_b64 v[16:19], v75 offset0:192 offset1:208
	v_dual_mul_f32 v72, v11, v15 :: v_dual_add_f32 v64, v64, v77
	v_dual_fmac_f32 v53, v11, v12 :: v_dual_mul_f32 v77, v10, v15
	v_dual_add_f32 v68, v79, v68 :: v_dual_fma_f32 v10, v10, v14, -v72
	v_dual_mul_f32 v72, v23, v13 :: v_dual_mul_f32 v13, v22, v13
	s_delay_alu instid0(VALU_DEP_3) | instskip(NEXT) | instid1(VALU_DEP_2)
	v_dual_add_f32 v53, v66, v53 :: v_dual_fmac_f32 v77, v11, v14
	v_dual_add_f32 v8, v8, v10 :: v_dual_fma_f32 v10, v22, v12, -v72
	s_delay_alu instid0(VALU_DEP_3) | instskip(NEXT) | instid1(VALU_DEP_3)
	v_dual_fmac_f32 v13, v23, v12 :: v_dual_mul_f32 v11, v23, v15
	v_add_f32_e32 v66, v70, v77
	s_delay_alu instid0(VALU_DEP_3) | instskip(NEXT) | instid1(VALU_DEP_3)
	v_dual_mul_f32 v70, v22, v15 :: v_dual_add_f32 v10, v20, v10
	v_dual_add_f32 v9, v9, v13 :: v_dual_fma_f32 v11, v22, v14, -v11
	s_wait_dscnt 0x0
	s_delay_alu instid0(VALU_DEP_2)
	v_dual_mul_f32 v20, v5, v17 :: v_dual_fmac_f32 v70, v23, v14
	v_mul_f32_e32 v22, v4, v17
	ds_load_2addr_b64 v[12:15], v75 offset0:224 offset1:240
	v_dual_add_f32 v11, v21, v11 :: v_dual_fma_f32 v20, v4, v16, -v20
	v_dual_mul_f32 v21, v5, v19 :: v_dual_fmac_f32 v22, v5, v16
	v_mul_f32_e32 v23, v4, v19
	v_add_f32_e32 v64, v64, v70
	s_delay_alu instid0(VALU_DEP_4) | instskip(NEXT) | instid1(VALU_DEP_4)
	v_add_f32_e32 v20, v68, v20
	v_fma_f32 v4, v4, v18, -v21
	v_add_f32_e32 v21, v53, v22
	v_fmac_f32_e32 v23, v5, v18
	v_dual_mul_f32 v5, v1, v17 :: v_dual_mul_f32 v17, v0, v17
	s_delay_alu instid0(VALU_DEP_4) | instskip(NEXT) | instid1(VALU_DEP_2)
	v_dual_add_f32 v4, v8, v4 :: v_dual_mul_f32 v8, v1, v19
	v_dual_add_f32 v22, v66, v23 :: v_dual_fma_f32 v5, v0, v16, -v5
	s_delay_alu instid0(VALU_DEP_3) | instskip(SKIP_1) | instid1(VALU_DEP_3)
	v_dual_fmac_f32 v17, v1, v16 :: v_dual_mul_f32 v23, v0, v19
	s_wait_dscnt 0x0
	v_dual_fma_f32 v0, v0, v18, -v8 :: v_dual_mul_f32 v8, v7, v13
	s_delay_alu instid0(VALU_DEP_3) | instskip(NEXT) | instid1(VALU_DEP_3)
	v_add_f32_e32 v5, v10, v5
	v_add_f32_e32 v53, v9, v17
	s_delay_alu instid0(VALU_DEP_3) | instskip(NEXT) | instid1(VALU_DEP_4)
	v_dual_fmac_f32 v23, v1, v18 :: v_dual_add_f32 v0, v11, v0
	v_dual_fma_f32 v1, v6, v12, -v8 :: v_dual_mul_f32 v66, v6, v13
	ds_load_b128 v[8:11], v69 offset:192
	ds_load_2addr_b64 v[16:19], v76 offset1:16
	v_dual_mul_f32 v68, v7, v15 :: v_dual_add_f32 v1, v20, v1
	v_dual_fmac_f32 v66, v7, v12 :: v_dual_add_f32 v64, v64, v23
	s_delay_alu instid0(VALU_DEP_2) | instskip(NEXT) | instid1(VALU_DEP_2)
	v_dual_mul_f32 v23, v6, v15 :: v_dual_fma_f32 v6, v6, v14, -v68
	v_dual_mul_f32 v20, v3, v13 :: v_dual_add_f32 v66, v21, v66
	s_delay_alu instid0(VALU_DEP_2) | instskip(NEXT) | instid1(VALU_DEP_2)
	v_dual_mul_f32 v13, v2, v13 :: v_dual_fmac_f32 v23, v7, v14
	v_dual_add_f32 v68, v4, v6 :: v_dual_fma_f32 v4, v2, v12, -v20
	s_delay_alu instid0(VALU_DEP_2) | instskip(NEXT) | instid1(VALU_DEP_3)
	v_dual_mul_f32 v6, v3, v15 :: v_dual_fmac_f32 v13, v3, v12
	v_add_f32_e32 v70, v22, v23
	ds_load_b128 v[20:23], v69 offset:4288
	v_dual_add_f32 v72, v5, v4 :: v_dual_fma_f32 v12, v2, v14, -v6
	s_wait_dscnt 0x1
	v_dual_mul_f32 v2, v2, v15 :: v_dual_mul_f32 v15, v9, v17
	v_mul_f32_e32 v77, v8, v17
	s_delay_alu instid0(VALU_DEP_3) | instskip(NEXT) | instid1(VALU_DEP_3)
	v_dual_add_f32 v53, v53, v13 :: v_dual_add_f32 v78, v0, v12
	v_dual_fmac_f32 v2, v3, v14 :: v_dual_fma_f32 v0, v8, v16, -v15
	s_delay_alu instid0(VALU_DEP_3)
	v_fmac_f32_e32 v77, v9, v16
	ds_load_2addr_b64 v[12:15], v76 offset0:32 offset1:48
	v_dual_mul_f32 v3, v9, v19 :: v_dual_mul_f32 v80, v8, v19
	ds_load_b128 v[4:7], v69 offset:208
	v_dual_add_f32 v66, v66, v77 :: v_dual_add_f32 v64, v64, v2
	v_dual_add_f32 v79, v1, v0 :: v_dual_fma_f32 v8, v8, v18, -v3
	s_wait_dscnt 0x2
	v_dual_fmac_f32 v80, v9, v18 :: v_dual_mul_f32 v9, v20, v17
	v_dual_mul_f32 v77, v21, v17 :: v_dual_mul_f32 v17, v21, v19
	s_delay_alu instid0(VALU_DEP_3) | instskip(NEXT) | instid1(VALU_DEP_3)
	v_add_f32_e32 v8, v68, v8
	v_add_f32_e32 v70, v70, v80
	s_delay_alu instid0(VALU_DEP_4) | instskip(NEXT) | instid1(VALU_DEP_4)
	v_fmac_f32_e32 v9, v21, v16
	v_dual_fma_f32 v68, v20, v16, -v77 :: v_dual_mul_f32 v77, v20, v19
	v_fma_f32 v16, v20, v18, -v17
	ds_load_b128 v[0:3], v69 offset:4304
	s_wait_dscnt 0x2
	v_dual_mul_f32 v17, v11, v13 :: v_dual_add_f32 v20, v72, v68
	v_add_f32_e32 v9, v53, v9
	v_dual_fmac_f32 v77, v21, v18 :: v_dual_add_f32 v21, v78, v16
	s_delay_alu instid0(VALU_DEP_3) | instskip(SKIP_3) | instid1(VALU_DEP_2)
	v_dual_mul_f32 v53, v10, v13 :: v_dual_fma_f32 v68, v10, v12, -v17
	ds_load_2addr_b64 v[16:19], v76 offset0:64 offset1:80
	v_dual_mul_f32 v72, v11, v15 :: v_dual_add_f32 v64, v64, v77
	v_dual_fmac_f32 v53, v11, v12 :: v_dual_mul_f32 v77, v10, v15
	v_dual_add_f32 v68, v79, v68 :: v_dual_fma_f32 v10, v10, v14, -v72
	v_dual_mul_f32 v72, v23, v13 :: v_dual_mul_f32 v13, v22, v13
	s_delay_alu instid0(VALU_DEP_3) | instskip(NEXT) | instid1(VALU_DEP_2)
	v_dual_add_f32 v53, v66, v53 :: v_dual_fmac_f32 v77, v11, v14
	v_dual_add_f32 v8, v8, v10 :: v_dual_fma_f32 v10, v22, v12, -v72
	s_delay_alu instid0(VALU_DEP_3) | instskip(NEXT) | instid1(VALU_DEP_3)
	v_dual_fmac_f32 v13, v23, v12 :: v_dual_mul_f32 v11, v23, v15
	v_add_f32_e32 v66, v70, v77
	s_delay_alu instid0(VALU_DEP_3) | instskip(NEXT) | instid1(VALU_DEP_3)
	v_dual_mul_f32 v70, v22, v15 :: v_dual_add_f32 v10, v20, v10
	v_dual_add_f32 v9, v9, v13 :: v_dual_fma_f32 v11, v22, v14, -v11
	s_wait_dscnt 0x0
	s_delay_alu instid0(VALU_DEP_2)
	v_dual_mul_f32 v20, v5, v17 :: v_dual_fmac_f32 v70, v23, v14
	v_mul_f32_e32 v22, v4, v17
	ds_load_2addr_b64 v[12:15], v76 offset0:96 offset1:112
	v_dual_add_f32 v11, v21, v11 :: v_dual_fma_f32 v20, v4, v16, -v20
	v_dual_mul_f32 v21, v5, v19 :: v_dual_fmac_f32 v22, v5, v16
	v_mul_f32_e32 v23, v4, v19
	v_add_f32_e32 v64, v64, v70
	s_delay_alu instid0(VALU_DEP_4) | instskip(NEXT) | instid1(VALU_DEP_4)
	v_add_f32_e32 v20, v68, v20
	v_fma_f32 v4, v4, v18, -v21
	v_add_f32_e32 v21, v53, v22
	v_fmac_f32_e32 v23, v5, v18
	v_dual_mul_f32 v5, v1, v17 :: v_dual_mul_f32 v17, v0, v17
	s_delay_alu instid0(VALU_DEP_4) | instskip(NEXT) | instid1(VALU_DEP_2)
	v_dual_add_f32 v4, v8, v4 :: v_dual_mul_f32 v8, v1, v19
	v_dual_add_f32 v22, v66, v23 :: v_dual_fma_f32 v5, v0, v16, -v5
	s_delay_alu instid0(VALU_DEP_3) | instskip(SKIP_1) | instid1(VALU_DEP_3)
	v_dual_fmac_f32 v17, v1, v16 :: v_dual_mul_f32 v23, v0, v19
	s_wait_dscnt 0x0
	v_dual_fma_f32 v0, v0, v18, -v8 :: v_dual_mul_f32 v8, v7, v13
	s_delay_alu instid0(VALU_DEP_3) | instskip(NEXT) | instid1(VALU_DEP_3)
	v_add_f32_e32 v5, v10, v5
	v_add_f32_e32 v53, v9, v17
	s_delay_alu instid0(VALU_DEP_3) | instskip(NEXT) | instid1(VALU_DEP_4)
	v_dual_fmac_f32 v23, v1, v18 :: v_dual_add_f32 v0, v11, v0
	v_dual_fma_f32 v1, v6, v12, -v8 :: v_dual_mul_f32 v66, v6, v13
	ds_load_b128 v[8:11], v69 offset:224
	ds_load_2addr_b64 v[16:19], v76 offset0:128 offset1:144
	v_mul_f32_e32 v68, v7, v15
	v_add_f32_e32 v64, v64, v23
	v_dual_mul_f32 v23, v6, v15 :: v_dual_fmac_f32 v66, v7, v12
	s_delay_alu instid0(VALU_DEP_3) | instskip(NEXT) | instid1(VALU_DEP_2)
	v_dual_fma_f32 v6, v6, v14, -v68 :: v_dual_add_f32 v68, v20, v1
	v_dual_mul_f32 v1, v3, v13 :: v_dual_add_f32 v66, v21, v66
	s_delay_alu instid0(VALU_DEP_3) | instskip(NEXT) | instid1(VALU_DEP_2)
	v_dual_fmac_f32 v23, v7, v14 :: v_dual_mul_f32 v13, v2, v13
	v_dual_add_f32 v70, v4, v6 :: v_dual_fma_f32 v1, v2, v12, -v1
	v_mul_f32_e32 v4, v3, v15
	s_delay_alu instid0(VALU_DEP_3)
	v_dual_add_f32 v72, v22, v23 :: v_dual_fmac_f32 v13, v3, v12
	ds_load_b128 v[20:23], v69 offset:4320
	v_dual_add_f32 v77, v5, v1 :: v_dual_mul_f32 v12, v2, v15
	s_wait_dscnt 0x1
	v_dual_fma_f32 v1, v2, v14, -v4 :: v_dual_mul_f32 v2, v9, v17
	v_dual_mul_f32 v79, v8, v17 :: v_dual_mul_f32 v80, v8, v19
	s_delay_alu instid0(VALU_DEP_3) | instskip(NEXT) | instid1(VALU_DEP_3)
	v_dual_fmac_f32 v12, v3, v14 :: v_dual_add_f32 v53, v53, v13
	v_fma_f32 v13, v8, v16, -v2
	s_delay_alu instid0(VALU_DEP_4)
	v_dual_add_f32 v78, v0, v1 :: v_dual_mul_f32 v14, v9, v19
	ds_load_2addr_b64 v[0:3], v76 offset0:160 offset1:176
	ds_load_b128 v[4:7], v69 offset:240
	v_add_f32_e32 v64, v64, v12
	v_dual_fmac_f32 v79, v9, v16 :: v_dual_add_f32 v68, v68, v13
	v_dual_fma_f32 v8, v8, v18, -v14 :: v_dual_fmac_f32 v80, v9, v18
	ds_load_b128 v[12:15], v69 offset:4336
	s_wait_dscnt 0x3
	v_dual_mul_f32 v81, v21, v17 :: v_dual_add_f32 v66, v66, v79
	v_dual_mul_f32 v9, v20, v17 :: v_dual_add_f32 v8, v70, v8
	s_delay_alu instid0(VALU_DEP_2) | instskip(SKIP_2) | instid1(VALU_DEP_3)
	v_dual_mul_f32 v70, v21, v19 :: v_dual_fma_f32 v17, v20, v16, -v81
	v_mul_f32_e32 v79, v20, v19
	v_add_f32_e32 v72, v72, v80
	v_dual_fmac_f32 v9, v21, v16 :: v_dual_fma_f32 v16, v20, v18, -v70
	s_delay_alu instid0(VALU_DEP_4) | instskip(SKIP_2) | instid1(VALU_DEP_3)
	v_add_f32_e32 v77, v77, v17
	s_wait_dscnt 0x2
	v_dual_fmac_f32 v79, v21, v18 :: v_dual_mul_f32 v17, v11, v1
	v_dual_add_f32 v9, v53, v9 :: v_dual_add_f32 v21, v78, v16
	s_delay_alu instid0(VALU_DEP_2) | instskip(SKIP_4) | instid1(VALU_DEP_3)
	v_dual_mul_f32 v20, v10, v1 :: v_dual_fma_f32 v53, v10, v0, -v17
	ds_load_2addr_b64 v[16:19], v76 offset0:192 offset1:208
	v_dual_mul_f32 v70, v11, v3 :: v_dual_fmac_f32 v20, v11, v0
	v_add_f32_e32 v64, v64, v79
	v_dual_add_f32 v53, v68, v53 :: v_dual_mul_f32 v68, v10, v3
	v_fma_f32 v10, v10, v2, -v70
	s_delay_alu instid0(VALU_DEP_4) | instskip(NEXT) | instid1(VALU_DEP_3)
	v_dual_add_f32 v20, v66, v20 :: v_dual_mul_f32 v66, v23, v1
	v_dual_mul_f32 v1, v22, v1 :: v_dual_fmac_f32 v68, v11, v2
	s_delay_alu instid0(VALU_DEP_3) | instskip(NEXT) | instid1(VALU_DEP_2)
	v_dual_add_f32 v70, v8, v10 :: v_dual_mul_f32 v8, v23, v3
	v_dual_fma_f32 v10, v22, v0, -v66 :: v_dual_fmac_f32 v1, v23, v0
	s_delay_alu instid0(VALU_DEP_3) | instskip(NEXT) | instid1(VALU_DEP_3)
	v_dual_add_f32 v0, v72, v68 :: v_dual_mul_f32 v3, v22, v3
	v_fma_f32 v8, v22, v2, -v8
	s_delay_alu instid0(VALU_DEP_3) | instskip(NEXT) | instid1(VALU_DEP_4)
	v_add_f32_e32 v22, v77, v10
	v_add_f32_e32 v1, v9, v1
	s_wait_dscnt 0x0
	v_dual_mul_f32 v66, v5, v17 :: v_dual_fmac_f32 v3, v23, v2
	v_add_f32_e32 v2, v21, v8
	ds_load_2addr_b64 v[8:11], v76 offset0:224 offset1:240
	v_dual_mul_f32 v21, v4, v17 :: v_dual_fma_f32 v23, v4, v16, -v66
	v_add_f32_e32 v3, v64, v3
	v_dual_mul_f32 v64, v5, v19 :: v_dual_mul_f32 v66, v4, v19
	s_delay_alu instid0(VALU_DEP_3) | instskip(NEXT) | instid1(VALU_DEP_4)
	v_fmac_f32_e32 v21, v5, v16
	v_add_f32_e32 v23, v53, v23
	s_delay_alu instid0(VALU_DEP_3) | instskip(NEXT) | instid1(VALU_DEP_3)
	v_dual_mul_f32 v53, v13, v17 :: v_dual_fma_f32 v4, v4, v18, -v64
	v_dual_fmac_f32 v66, v5, v18 :: v_dual_add_f32 v20, v20, v21
	s_delay_alu instid0(VALU_DEP_2) | instskip(NEXT) | instid1(VALU_DEP_3)
	v_dual_mul_f32 v5, v12, v17 :: v_dual_fma_f32 v17, v12, v16, -v53
	v_dual_mul_f32 v21, v13, v19 :: v_dual_add_f32 v4, v70, v4
	s_delay_alu instid0(VALU_DEP_2) | instskip(NEXT) | instid1(VALU_DEP_3)
	v_dual_add_f32 v0, v0, v66 :: v_dual_fmac_f32 v5, v13, v16
	v_dual_add_f32 v16, v22, v17 :: v_dual_mul_f32 v17, v12, v19
	s_wait_dscnt 0x0
	s_delay_alu instid0(VALU_DEP_3) | instskip(SKIP_2) | instid1(VALU_DEP_3)
	v_dual_fma_f32 v12, v12, v18, -v21 :: v_dual_mul_f32 v19, v7, v9
	v_mul_f32_e32 v21, v6, v9
	v_add_f32_e32 v1, v1, v5
	v_dual_fmac_f32 v17, v13, v18 :: v_dual_add_f32 v5, v2, v12
	s_delay_alu instid0(VALU_DEP_3) | instskip(SKIP_1) | instid1(VALU_DEP_3)
	v_dual_fma_f32 v2, v6, v8, -v19 :: v_dual_fmac_f32 v21, v7, v8
	v_dual_mul_f32 v12, v7, v11 :: v_dual_mul_f32 v13, v6, v11
	v_add_f32_e32 v3, v3, v17
	s_delay_alu instid0(VALU_DEP_3) | instskip(NEXT) | instid1(VALU_DEP_3)
	v_dual_add_f32 v72, v23, v2 :: v_dual_add_f32 v70, v20, v21
	v_dual_fma_f32 v2, v6, v10, -v12 :: v_dual_fmac_f32 v13, v7, v10
	v_dual_mul_f32 v6, v15, v9 :: v_dual_mul_f32 v7, v14, v9
	v_dual_mul_f32 v9, v15, v11 :: v_dual_mul_f32 v11, v14, v11
	s_delay_alu instid0(VALU_DEP_2) | instskip(NEXT) | instid1(VALU_DEP_2)
	v_dual_add_f32 v2, v4, v2 :: v_dual_fma_f32 v6, v14, v8, -v6
	v_dual_fmac_f32 v7, v15, v8 :: v_dual_fma_f32 v8, v14, v10, -v9
	s_delay_alu instid0(VALU_DEP_3) | instskip(NEXT) | instid1(VALU_DEP_2)
	v_dual_fmac_f32 v11, v15, v10 :: v_dual_add_f32 v4, v0, v13
	v_dual_add_f32 v0, v16, v6 :: v_dual_add_f32 v68, v1, v7
	s_delay_alu instid0(VALU_DEP_2)
	v_dual_add_f32 v66, v5, v8 :: v_dual_add_f32 v64, v3, v11
	s_barrier_signal -1
	s_barrier_wait -1
	s_cbranch_scc1 .LBB74_56
.LBB74_11:                              ;   Parent Loop BB74_4 Depth=1
                                        ;     Parent Loop BB74_8 Depth=2
                                        ; =>    This Inner Loop Header: Depth=3
	v_add_nc_u64_e32 v[6:7], s[50:51], v[28:29]
	v_cmp_eq_u64_e64 s7, s[50:51], v[38:39]
	v_add_nc_u64_e32 v[8:9], v[60:61], v[40:41]
	s_delay_alu instid0(VALU_DEP_3) | instskip(SKIP_3) | instid1(SALU_CYCLE_1)
	v_cmp_le_i64_e64 s6, s[16:17], v[6:7]
	v_cmp_lt_i64_e64 s5, v[6:7], v[32:33]
	s_and_b32 s60, s56, s7
	s_or_b32 s7, s6, s5
	s_or_b32 s7, s7, s60
	s_delay_alu instid0(SALU_CYCLE_1) | instskip(NEXT) | instid1(SALU_CYCLE_1)
	s_nor_b32 s7, s0, s7
	s_and_saveexec_b32 s8, s7
	s_delay_alu instid0(SALU_CYCLE_1)
	s_xor_b32 s7, exec_lo, s8
	s_cbranch_execz .LBB74_13
; %bb.12:                               ;   in Loop: Header=BB74_11 Depth=3
	global_load_b64 v[10:11], v[8:9], off
	s_wait_loadcnt 0x0
	ds_store_b64 v71, v[10:11]
.LBB74_13:                              ;   in Loop: Header=BB74_11 Depth=3
	s_wait_xcnt 0x0
	s_or_saveexec_b32 s7, s7
	s_xor_b32 s59, s60, -1
	s_xor_b32 exec_lo, exec_lo, s7
	s_cbranch_execz .LBB74_19
; %bb.14:                               ;   in Loop: Header=BB74_11 Depth=3
	s_and_saveexec_b32 s8, s59
	s_delay_alu instid0(SALU_CYCLE_1)
	s_xor_b32 s8, exec_lo, s8
; %bb.15:                               ;   in Loop: Header=BB74_11 Depth=3
	ds_store_b64 v71, v[24:25]
; %bb.16:                               ;   in Loop: Header=BB74_11 Depth=3
	s_and_not1_saveexec_b32 s8, s8
; %bb.17:                               ;   in Loop: Header=BB74_11 Depth=3
	ds_store_b64 v71, v[26:27]
; %bb.18:                               ;   in Loop: Header=BB74_11 Depth=3
	s_or_b32 exec_lo, exec_lo, s8
.LBB74_19:                              ;   in Loop: Header=BB74_11 Depth=3
	s_delay_alu instid0(SALU_CYCLE_1) | instskip(SKIP_2) | instid1(VALU_DEP_2)
	s_or_b32 exec_lo, exec_lo, s7
	v_add_nc_u64_e32 v[10:11], 16, v[38:39]
	v_cmp_gt_i64_e64 s8, v[36:37], v[6:7]
	v_cmp_eq_u64_e64 s7, s[50:51], v[10:11]
	s_or_b32 s6, s6, s8
	s_and_b32 s7, s56, s7
	s_delay_alu instid0(SALU_CYCLE_1) | instskip(NEXT) | instid1(SALU_CYCLE_1)
	s_or_b32 s6, s6, s7
	s_nor_b32 s6, s3, s6
	s_delay_alu instid0(SALU_CYCLE_1) | instskip(NEXT) | instid1(SALU_CYCLE_1)
	s_and_saveexec_b32 s8, s6
	s_xor_b32 s6, exec_lo, s8
	s_cbranch_execz .LBB74_21
; %bb.20:                               ;   in Loop: Header=BB74_11 Depth=3
	global_load_b64 v[8:9], v[8:9], off offset:128
	s_wait_loadcnt 0x0
	ds_store_b64 v71, v[8:9] offset:128
.LBB74_21:                              ;   in Loop: Header=BB74_11 Depth=3
	s_wait_xcnt 0x0
	s_and_not1_saveexec_b32 s6, s6
	s_cbranch_execz .LBB74_27
; %bb.22:                               ;   in Loop: Header=BB74_11 Depth=3
	s_xor_b32 s7, s7, -1
	s_delay_alu instid0(SALU_CYCLE_1) | instskip(NEXT) | instid1(SALU_CYCLE_1)
	s_and_saveexec_b32 s8, s7
	s_xor_b32 s7, exec_lo, s8
; %bb.23:                               ;   in Loop: Header=BB74_11 Depth=3
	ds_store_b64 v71, v[24:25] offset:128
; %bb.24:                               ;   in Loop: Header=BB74_11 Depth=3
	s_and_not1_saveexec_b32 s7, s7
; %bb.25:                               ;   in Loop: Header=BB74_11 Depth=3
	ds_store_b64 v71, v[26:27] offset:128
; %bb.26:                               ;   in Loop: Header=BB74_11 Depth=3
	s_or_b32 exec_lo, exec_lo, s7
.LBB74_27:                              ;   in Loop: Header=BB74_11 Depth=3
	s_delay_alu instid0(SALU_CYCLE_1) | instskip(SKIP_2) | instid1(VALU_DEP_2)
	s_or_b32 exec_lo, exec_lo, s6
	v_add_nc_u64_e32 v[8:9], -16, v[38:39]
	v_add_nc_u64_e32 v[6:7], 16, v[6:7]
	v_cmp_eq_u64_e64 s7, s[50:51], v[8:9]
	s_delay_alu instid0(VALU_DEP_2) | instskip(SKIP_4) | instid1(SALU_CYCLE_1)
	v_cmp_le_i64_e64 s6, s[16:17], v[6:7]
	v_cmp_lt_i64_e64 s8, v[6:7], v[32:33]
	v_add_nc_u64_e32 v[6:7], v[62:63], v[40:41]
	s_and_b32 s61, s56, s7
	s_or_b32 s7, s6, s8
	s_or_b32 s7, s7, s61
	s_delay_alu instid0(SALU_CYCLE_1) | instskip(NEXT) | instid1(SALU_CYCLE_1)
	s_nor_b32 s7, s0, s7
	s_and_saveexec_b32 s8, s7
	s_delay_alu instid0(SALU_CYCLE_1)
	s_xor_b32 s7, exec_lo, s8
	s_cbranch_execz .LBB74_29
; %bb.28:                               ;   in Loop: Header=BB74_11 Depth=3
	global_load_b64 v[8:9], v[6:7], off
	s_wait_loadcnt 0x0
	ds_store_b64 v71, v[8:9] offset:4096
.LBB74_29:                              ;   in Loop: Header=BB74_11 Depth=3
	s_wait_xcnt 0x0
	s_and_not1_saveexec_b32 s7, s7
	s_cbranch_execz .LBB74_35
; %bb.30:                               ;   in Loop: Header=BB74_11 Depth=3
	s_xor_b32 s8, s61, -1
	s_delay_alu instid0(SALU_CYCLE_1) | instskip(NEXT) | instid1(SALU_CYCLE_1)
	s_and_saveexec_b32 s61, s8
	s_xor_b32 s8, exec_lo, s61
; %bb.31:                               ;   in Loop: Header=BB74_11 Depth=3
	ds_store_b64 v71, v[24:25] offset:4096
; %bb.32:                               ;   in Loop: Header=BB74_11 Depth=3
	s_and_not1_saveexec_b32 s8, s8
; %bb.33:                               ;   in Loop: Header=BB74_11 Depth=3
	ds_store_b64 v71, v[26:27] offset:4096
; %bb.34:                               ;   in Loop: Header=BB74_11 Depth=3
	s_or_b32 exec_lo, exec_lo, s8
.LBB74_35:                              ;   in Loop: Header=BB74_11 Depth=3
	s_delay_alu instid0(SALU_CYCLE_1) | instskip(SKIP_1) | instid1(SALU_CYCLE_1)
	s_or_b32 exec_lo, exec_lo, s7
	s_or_b32 s5, s6, s5
	s_or_b32 s5, s5, s60
	s_delay_alu instid0(SALU_CYCLE_1) | instskip(NEXT) | instid1(SALU_CYCLE_1)
	s_nor_b32 s5, s3, s5
	s_and_saveexec_b32 s6, s5
	s_delay_alu instid0(SALU_CYCLE_1)
	s_xor_b32 s5, exec_lo, s6
	s_cbranch_execz .LBB74_37
; %bb.36:                               ;   in Loop: Header=BB74_11 Depth=3
	global_load_b64 v[6:7], v[6:7], off offset:128
	s_wait_loadcnt 0x0
	ds_store_b64 v71, v[6:7] offset:4224
.LBB74_37:                              ;   in Loop: Header=BB74_11 Depth=3
	s_wait_xcnt 0x0
	s_and_not1_saveexec_b32 s5, s5
	s_cbranch_execz .LBB74_43
; %bb.38:                               ;   in Loop: Header=BB74_11 Depth=3
	s_and_saveexec_b32 s6, s59
	s_delay_alu instid0(SALU_CYCLE_1)
	s_xor_b32 s6, exec_lo, s6
; %bb.39:                               ;   in Loop: Header=BB74_11 Depth=3
	ds_store_b64 v71, v[24:25] offset:4224
; %bb.40:                               ;   in Loop: Header=BB74_11 Depth=3
	s_and_not1_saveexec_b32 s6, s6
; %bb.41:                               ;   in Loop: Header=BB74_11 Depth=3
	ds_store_b64 v71, v[26:27] offset:4224
; %bb.42:                               ;   in Loop: Header=BB74_11 Depth=3
	s_or_b32 exec_lo, exec_lo, s6
.LBB74_43:                              ;   in Loop: Header=BB74_11 Depth=3
	s_delay_alu instid0(SALU_CYCLE_1) | instskip(SKIP_3) | instid1(VALU_DEP_3)
	s_or_b32 exec_lo, exec_lo, s5
	v_add_nc_u64_e32 v[8:9], s[50:51], v[32:33]
	v_add_nc_u64_e32 v[6:7], v[56:57], v[40:41]
	v_dual_mov_b32 v10, 0 :: v_dual_mov_b32 v11, 0
	v_cmp_gt_i64_e64 s5, s[16:17], v[8:9]
	s_and_b32 s7, vcc_lo, s5
	s_delay_alu instid0(SALU_CYCLE_1)
	s_and_saveexec_b32 s6, s7
	s_cbranch_execz .LBB74_45
; %bb.44:                               ;   in Loop: Header=BB74_11 Depth=3
	global_load_b64 v[10:11], v[6:7], off
.LBB74_45:                              ;   in Loop: Header=BB74_11 Depth=3
	s_wait_xcnt 0x0
	s_or_b32 exec_lo, exec_lo, s6
	v_cmp_gt_i64_e64 s6, s[26:27], v[8:9]
	s_wait_loadcnt 0x0
	ds_store_b64 v74, v[10:11]
	s_and_b32 s7, vcc_lo, s6
	s_delay_alu instid0(SALU_CYCLE_1) | instskip(NEXT) | instid1(SALU_CYCLE_1)
	s_xor_b32 s7, s7, -1
	s_and_saveexec_b32 s8, s7
	s_delay_alu instid0(SALU_CYCLE_1)
	s_xor_b32 s7, exec_lo, s8
; %bb.46:                               ;   in Loop: Header=BB74_11 Depth=3
	ds_store_b64 v74, v[24:25] offset:128
                                        ; implicit-def: $vgpr6_vgpr7
; %bb.47:                               ;   in Loop: Header=BB74_11 Depth=3
	s_and_not1_saveexec_b32 s7, s7
	s_cbranch_execz .LBB74_49
; %bb.48:                               ;   in Loop: Header=BB74_11 Depth=3
	global_load_b64 v[6:7], v[6:7], off offset:128
	s_wait_loadcnt 0x0
	ds_store_b64 v74, v[6:7] offset:128
.LBB74_49:                              ;   in Loop: Header=BB74_11 Depth=3
	s_wait_xcnt 0x0
	s_or_b32 exec_lo, exec_lo, s7
	v_add_nc_u64_e32 v[6:7], v[58:59], v[40:41]
	v_dual_mov_b32 v8, 0 :: v_dual_mov_b32 v9, 0
	s_and_b32 s7, s4, s5
	s_delay_alu instid0(SALU_CYCLE_1)
	s_and_saveexec_b32 s5, s7
	s_cbranch_execz .LBB74_51
; %bb.50:                               ;   in Loop: Header=BB74_11 Depth=3
	global_load_b64 v[8:9], v[6:7], off
.LBB74_51:                              ;   in Loop: Header=BB74_11 Depth=3
	s_wait_xcnt 0x0
	s_or_b32 exec_lo, exec_lo, s5
	s_and_b32 s5, s4, s6
	s_wait_loadcnt 0x0
	ds_store_b64 v74, v[8:9] offset:4096
	s_xor_b32 s5, s5, -1
	s_delay_alu instid0(SALU_CYCLE_1) | instskip(NEXT) | instid1(SALU_CYCLE_1)
	s_and_saveexec_b32 s6, s5
	s_xor_b32 s5, exec_lo, s6
; %bb.52:                               ;   in Loop: Header=BB74_11 Depth=3
	ds_store_b64 v74, v[24:25] offset:4224
                                        ; implicit-def: $vgpr6_vgpr7
; %bb.53:                               ;   in Loop: Header=BB74_11 Depth=3
	s_and_not1_saveexec_b32 s5, s5
	s_cbranch_execz .LBB74_10
; %bb.54:                               ;   in Loop: Header=BB74_11 Depth=3
	global_load_b64 v[6:7], v[6:7], off offset:128
	s_wait_loadcnt 0x0
	ds_store_b64 v74, v[6:7] offset:4224
	s_branch .LBB74_10
.LBB74_55:                              ;   in Loop: Header=BB74_8 Depth=2
	v_dual_mov_b32 v72, 0 :: v_dual_mov_b32 v70, 0
	v_dual_mov_b32 v2, 0 :: v_dual_mov_b32 v4, 0
	;; [unrolled: 1-line block ×4, first 2 shown]
.LBB74_56:                              ;   in Loop: Header=BB74_8 Depth=2
	v_mul_u64_e32 v[6:7], s[28:29], v[54:55]
	v_cmp_gt_i32_e32 vcc_lo, s10, v54
	s_and_b32 s5, s1, vcc_lo
	s_delay_alu instid0(VALU_DEP_2)
	v_lshl_add_u64 v[6:7], v[6:7], 3, s[48:49]
	s_and_saveexec_b32 s4, s5
	s_cbranch_execz .LBB74_58
; %bb.57:                               ;   in Loop: Header=BB74_8 Depth=2
	s_delay_alu instid0(VALU_DEP_1) | instskip(SKIP_4) | instid1(VALU_DEP_2)
	v_lshl_add_u64 v[8:9], v[32:33], 3, v[6:7]
	v_pk_mul_f32 v[12:13], v[70:71], v[50:51] op_sel_hi:[0,1]
	global_load_b64 v[10:11], v[8:9], off
	v_pk_fma_f32 v[14:15], v[72:73], v[44:45], v[12:13] op_sel_hi:[0,1,1]
	v_pk_fma_f32 v[12:13], v[72:73], v[44:45], v[12:13] neg_lo:[0,0,1] neg_hi:[0,0,1]
	v_mov_b32_e32 v13, v15
	s_wait_loadcnt 0x0
	s_delay_alu instid0(VALU_DEP_1)
	v_pk_add_f32 v[10:11], v[10:11], v[12:13]
	global_store_b64 v[8:9], v[10:11], off
.LBB74_58:                              ;   in Loop: Header=BB74_8 Depth=2
	s_wait_xcnt 0x0
	s_or_b32 exec_lo, exec_lo, s4
	s_and_b32 s5, s2, vcc_lo
	s_delay_alu instid0(SALU_CYCLE_1)
	s_and_saveexec_b32 s4, s5
	s_cbranch_execz .LBB74_60
; %bb.59:                               ;   in Loop: Header=BB74_8 Depth=2
	v_lshl_add_u64 v[6:7], v[34:35], 3, v[6:7]
	v_pk_mul_f32 v[4:5], v[4:5], v[50:51] op_sel_hi:[0,1]
	global_load_b64 v[8:9], v[6:7], off
	v_pk_fma_f32 v[10:11], v[2:3], v[44:45], v[4:5] op_sel_hi:[0,1,1]
	v_pk_fma_f32 v[2:3], v[2:3], v[44:45], v[4:5] neg_lo:[0,0,1] neg_hi:[0,0,1]
	s_delay_alu instid0(VALU_DEP_2) | instskip(SKIP_1) | instid1(VALU_DEP_1)
	v_mov_b32_e32 v3, v11
	s_wait_loadcnt 0x0
	v_pk_add_f32 v[2:3], v[8:9], v[2:3]
	global_store_b64 v[6:7], v[2:3], off
.LBB74_60:                              ;   in Loop: Header=BB74_8 Depth=2
	s_wait_xcnt 0x0
	s_or_b32 exec_lo, exec_lo, s4
	v_add_nc_u32_e32 v2, 16, v54
	s_delay_alu instid0(VALU_DEP_1) | instskip(SKIP_1) | instid1(VALU_DEP_2)
	v_ashrrev_i32_e32 v3, 31, v2
	v_cmp_gt_i32_e32 vcc_lo, s10, v2
	v_mul_u64_e32 v[4:5], s[28:29], v[2:3]
	s_and_b32 s5, s1, vcc_lo
	s_delay_alu instid0(VALU_DEP_1)
	v_lshl_add_u64 v[2:3], v[4:5], 3, s[48:49]
	s_and_saveexec_b32 s4, s5
	s_cbranch_execz .LBB74_62
; %bb.61:                               ;   in Loop: Header=BB74_8 Depth=2
	s_delay_alu instid0(VALU_DEP_1) | instskip(SKIP_4) | instid1(VALU_DEP_2)
	v_lshl_add_u64 v[4:5], v[32:33], 3, v[2:3]
	v_pk_mul_f32 v[8:9], v[68:69], v[50:51] op_sel_hi:[0,1]
	global_load_b64 v[6:7], v[4:5], off
	v_pk_fma_f32 v[10:11], v[0:1], v[44:45], v[8:9] op_sel_hi:[0,1,1]
	v_pk_fma_f32 v[0:1], v[0:1], v[44:45], v[8:9] neg_lo:[0,0,1] neg_hi:[0,0,1]
	v_mov_b32_e32 v1, v11
	s_wait_loadcnt 0x0
	s_delay_alu instid0(VALU_DEP_1)
	v_pk_add_f32 v[0:1], v[6:7], v[0:1]
	global_store_b64 v[4:5], v[0:1], off
.LBB74_62:                              ;   in Loop: Header=BB74_8 Depth=2
	s_wait_xcnt 0x0
	s_or_b32 exec_lo, exec_lo, s4
	s_and_b32 s5, s2, vcc_lo
	s_delay_alu instid0(SALU_CYCLE_1)
	s_and_saveexec_b32 s4, s5
	s_cbranch_execz .LBB74_7
; %bb.63:                               ;   in Loop: Header=BB74_8 Depth=2
	v_lshl_add_u64 v[0:1], v[34:35], 3, v[2:3]
	v_pk_mul_f32 v[4:5], v[64:65], v[50:51] op_sel_hi:[0,1]
	global_load_b64 v[2:3], v[0:1], off
	v_pk_fma_f32 v[6:7], v[66:67], v[44:45], v[4:5] op_sel_hi:[0,1,1]
	v_pk_fma_f32 v[4:5], v[66:67], v[44:45], v[4:5] neg_lo:[0,0,1] neg_hi:[0,0,1]
	s_delay_alu instid0(VALU_DEP_2) | instskip(SKIP_1) | instid1(VALU_DEP_1)
	v_mov_b32_e32 v5, v7
	s_wait_loadcnt 0x0
	v_pk_add_f32 v[2:3], v[2:3], v[4:5]
	global_store_b64 v[0:1], v[2:3], off
	s_branch .LBB74_7
.LBB74_64:
	s_sendmsg sendmsg(MSG_DEALLOC_VGPRS)
	s_endpgm
	.section	.rodata,"a",@progbits
	.p2align	6, 0x0
	.amdhsa_kernel _ZL30rocblas_trmm_outofplace_kernelI19rocblas_complex_numIfELi32ELi2ELb1ELb1ELb0ELb0EPKS1_S2_S1_Ev17rocblas_diagonal_iiT6_lPT7_lllS7_lllPT8_llli
		.amdhsa_group_segment_fixed_size 16384
		.amdhsa_private_segment_fixed_size 0
		.amdhsa_kernarg_size 392
		.amdhsa_user_sgpr_count 2
		.amdhsa_user_sgpr_dispatch_ptr 0
		.amdhsa_user_sgpr_queue_ptr 0
		.amdhsa_user_sgpr_kernarg_segment_ptr 1
		.amdhsa_user_sgpr_dispatch_id 0
		.amdhsa_user_sgpr_kernarg_preload_length 0
		.amdhsa_user_sgpr_kernarg_preload_offset 0
		.amdhsa_user_sgpr_private_segment_size 0
		.amdhsa_wavefront_size32 1
		.amdhsa_uses_dynamic_stack 0
		.amdhsa_enable_private_segment 0
		.amdhsa_system_sgpr_workgroup_id_x 1
		.amdhsa_system_sgpr_workgroup_id_y 1
		.amdhsa_system_sgpr_workgroup_id_z 1
		.amdhsa_system_sgpr_workgroup_info 0
		.amdhsa_system_vgpr_workitem_id 1
		.amdhsa_next_free_vgpr 87
		.amdhsa_next_free_sgpr 62
		.amdhsa_named_barrier_count 0
		.amdhsa_reserve_vcc 1
		.amdhsa_float_round_mode_32 0
		.amdhsa_float_round_mode_16_64 0
		.amdhsa_float_denorm_mode_32 3
		.amdhsa_float_denorm_mode_16_64 3
		.amdhsa_fp16_overflow 0
		.amdhsa_memory_ordered 1
		.amdhsa_forward_progress 1
		.amdhsa_inst_pref_size 60
		.amdhsa_round_robin_scheduling 0
		.amdhsa_exception_fp_ieee_invalid_op 0
		.amdhsa_exception_fp_denorm_src 0
		.amdhsa_exception_fp_ieee_div_zero 0
		.amdhsa_exception_fp_ieee_overflow 0
		.amdhsa_exception_fp_ieee_underflow 0
		.amdhsa_exception_fp_ieee_inexact 0
		.amdhsa_exception_int_div_zero 0
	.end_amdhsa_kernel
	.section	.text._ZL30rocblas_trmm_outofplace_kernelI19rocblas_complex_numIfELi32ELi2ELb1ELb1ELb0ELb0EPKS1_S2_S1_Ev17rocblas_diagonal_iiT6_lPT7_lllS7_lllPT8_llli,"axG",@progbits,_ZL30rocblas_trmm_outofplace_kernelI19rocblas_complex_numIfELi32ELi2ELb1ELb1ELb0ELb0EPKS1_S2_S1_Ev17rocblas_diagonal_iiT6_lPT7_lllS7_lllPT8_llli,comdat
.Lfunc_end74:
	.size	_ZL30rocblas_trmm_outofplace_kernelI19rocblas_complex_numIfELi32ELi2ELb1ELb1ELb0ELb0EPKS1_S2_S1_Ev17rocblas_diagonal_iiT6_lPT7_lllS7_lllPT8_llli, .Lfunc_end74-_ZL30rocblas_trmm_outofplace_kernelI19rocblas_complex_numIfELi32ELi2ELb1ELb1ELb0ELb0EPKS1_S2_S1_Ev17rocblas_diagonal_iiT6_lPT7_lllS7_lllPT8_llli
                                        ; -- End function
	.set _ZL30rocblas_trmm_outofplace_kernelI19rocblas_complex_numIfELi32ELi2ELb1ELb1ELb0ELb0EPKS1_S2_S1_Ev17rocblas_diagonal_iiT6_lPT7_lllS7_lllPT8_llli.num_vgpr, 87
	.set _ZL30rocblas_trmm_outofplace_kernelI19rocblas_complex_numIfELi32ELi2ELb1ELb1ELb0ELb0EPKS1_S2_S1_Ev17rocblas_diagonal_iiT6_lPT7_lllS7_lllPT8_llli.num_agpr, 0
	.set _ZL30rocblas_trmm_outofplace_kernelI19rocblas_complex_numIfELi32ELi2ELb1ELb1ELb0ELb0EPKS1_S2_S1_Ev17rocblas_diagonal_iiT6_lPT7_lllS7_lllPT8_llli.numbered_sgpr, 62
	.set _ZL30rocblas_trmm_outofplace_kernelI19rocblas_complex_numIfELi32ELi2ELb1ELb1ELb0ELb0EPKS1_S2_S1_Ev17rocblas_diagonal_iiT6_lPT7_lllS7_lllPT8_llli.num_named_barrier, 0
	.set _ZL30rocblas_trmm_outofplace_kernelI19rocblas_complex_numIfELi32ELi2ELb1ELb1ELb0ELb0EPKS1_S2_S1_Ev17rocblas_diagonal_iiT6_lPT7_lllS7_lllPT8_llli.private_seg_size, 0
	.set _ZL30rocblas_trmm_outofplace_kernelI19rocblas_complex_numIfELi32ELi2ELb1ELb1ELb0ELb0EPKS1_S2_S1_Ev17rocblas_diagonal_iiT6_lPT7_lllS7_lllPT8_llli.uses_vcc, 1
	.set _ZL30rocblas_trmm_outofplace_kernelI19rocblas_complex_numIfELi32ELi2ELb1ELb1ELb0ELb0EPKS1_S2_S1_Ev17rocblas_diagonal_iiT6_lPT7_lllS7_lllPT8_llli.uses_flat_scratch, 0
	.set _ZL30rocblas_trmm_outofplace_kernelI19rocblas_complex_numIfELi32ELi2ELb1ELb1ELb0ELb0EPKS1_S2_S1_Ev17rocblas_diagonal_iiT6_lPT7_lllS7_lllPT8_llli.has_dyn_sized_stack, 0
	.set _ZL30rocblas_trmm_outofplace_kernelI19rocblas_complex_numIfELi32ELi2ELb1ELb1ELb0ELb0EPKS1_S2_S1_Ev17rocblas_diagonal_iiT6_lPT7_lllS7_lllPT8_llli.has_recursion, 0
	.set _ZL30rocblas_trmm_outofplace_kernelI19rocblas_complex_numIfELi32ELi2ELb1ELb1ELb0ELb0EPKS1_S2_S1_Ev17rocblas_diagonal_iiT6_lPT7_lllS7_lllPT8_llli.has_indirect_call, 0
	.section	.AMDGPU.csdata,"",@progbits
; Kernel info:
; codeLenInByte = 7572
; TotalNumSgprs: 64
; NumVgprs: 87
; ScratchSize: 0
; MemoryBound: 1
; FloatMode: 240
; IeeeMode: 1
; LDSByteSize: 16384 bytes/workgroup (compile time only)
; SGPRBlocks: 0
; VGPRBlocks: 5
; NumSGPRsForWavesPerEU: 64
; NumVGPRsForWavesPerEU: 87
; NamedBarCnt: 0
; Occupancy: 10
; WaveLimiterHint : 0
; COMPUTE_PGM_RSRC2:SCRATCH_EN: 0
; COMPUTE_PGM_RSRC2:USER_SGPR: 2
; COMPUTE_PGM_RSRC2:TRAP_HANDLER: 0
; COMPUTE_PGM_RSRC2:TGID_X_EN: 1
; COMPUTE_PGM_RSRC2:TGID_Y_EN: 1
; COMPUTE_PGM_RSRC2:TGID_Z_EN: 1
; COMPUTE_PGM_RSRC2:TIDIG_COMP_CNT: 1
	.section	.text._ZL30rocblas_trmm_outofplace_kernelI19rocblas_complex_numIfELi32ELi2ELb1ELb1ELb0ELb0ES1_KS1_S1_Ev17rocblas_diagonal_iiT6_lPT7_lllS6_lllPT8_llli,"axG",@progbits,_ZL30rocblas_trmm_outofplace_kernelI19rocblas_complex_numIfELi32ELi2ELb1ELb1ELb0ELb0ES1_KS1_S1_Ev17rocblas_diagonal_iiT6_lPT7_lllS6_lllPT8_llli,comdat
	.globl	_ZL30rocblas_trmm_outofplace_kernelI19rocblas_complex_numIfELi32ELi2ELb1ELb1ELb0ELb0ES1_KS1_S1_Ev17rocblas_diagonal_iiT6_lPT7_lllS6_lllPT8_llli ; -- Begin function _ZL30rocblas_trmm_outofplace_kernelI19rocblas_complex_numIfELi32ELi2ELb1ELb1ELb0ELb0ES1_KS1_S1_Ev17rocblas_diagonal_iiT6_lPT7_lllS6_lllPT8_llli
	.p2align	8
	.type	_ZL30rocblas_trmm_outofplace_kernelI19rocblas_complex_numIfELi32ELi2ELb1ELb1ELb0ELb0ES1_KS1_S1_Ev17rocblas_diagonal_iiT6_lPT7_lllS6_lllPT8_llli,@function
_ZL30rocblas_trmm_outofplace_kernelI19rocblas_complex_numIfELi32ELi2ELb1ELb1ELb0ELb0ES1_KS1_S1_Ev17rocblas_diagonal_iiT6_lPT7_lllS6_lllPT8_llli: ; @_ZL30rocblas_trmm_outofplace_kernelI19rocblas_complex_numIfELi32ELi2ELb1ELb1ELb0ELb0ES1_KS1_S1_Ev17rocblas_diagonal_iiT6_lPT7_lllS6_lllPT8_llli
; %bb.0:
	s_load_b32 s31, s[0:1], 0x80
	s_bfe_u32 s2, ttmp6, 0x40014
	s_lshr_b32 s3, ttmp7, 16
	s_add_co_i32 s2, s2, 1
	s_bfe_u32 s5, ttmp6, 0x40008
	s_mul_i32 s4, s3, s2
	s_getreg_b32 s2, hwreg(HW_REG_IB_STS2, 6, 4)
	s_add_co_i32 s5, s5, s4
	s_cmp_eq_u32 s2, 0
	s_cselect_b32 s34, s3, s5
	s_wait_kmcnt 0x0
	s_cmp_ge_u32 s34, s31
	s_cbranch_scc1 .LBB75_63
; %bb.1:
	s_load_b64 s[36:37], s[0:1], 0xc
	s_wait_kmcnt 0x0
	s_or_b32 s3, s36, s37
	s_delay_alu instid0(SALU_CYCLE_1) | instskip(NEXT) | instid1(SALU_CYCLE_1)
	s_bitset0_b32 s3, 31
	s_cmp_eq_u32 s3, 0
	s_cbranch_scc1 .LBB75_63
; %bb.2:
	s_clause 0x1
	s_load_b96 s[28:30], s[0:1], 0x0
	s_load_b512 s[4:19], s[0:1], 0x20
	s_bfe_u32 s33, ttmp6, 0x4000c
	s_bfe_u32 s43, ttmp6, 0x40010
	s_and_b32 s42, ttmp7, 0xffff
	s_add_nc_u64 s[38:39], s[0:1], 0x88
	s_load_b256 s[20:27], s[0:1], 0x60
	s_add_co_i32 s33, s33, 1
	s_add_co_i32 s43, s43, 1
	s_wait_xcnt 0x0
	s_mul_i32 s0, ttmp9, s33
	s_mul_i32 s33, s42, s43
	s_and_b32 s3, ttmp6, 15
	s_bfe_u32 s44, ttmp6, 0x40004
	v_bfe_u32 v69, v0, 10, 10
	v_and_b32_e32 v4, 0x3ff, v0
	s_add_co_i32 s3, s3, s0
	s_add_co_i32 s44, s44, s33
	v_mov_b64_e32 v[28:29], 0
	s_delay_alu instid0(VALU_DEP_2)
	v_dual_lshlrev_b32 v0, 8, v69 :: v_dual_lshlrev_b32 v71, 3, v4
	s_wait_kmcnt 0x0
	s_add_co_i32 s1, s30, -1
	v_mov_b64_e32 v[30:31], 0x3f800000
	s_ashr_i32 s43, s1, 31
	v_add_nc_u32_e32 v73, 0x2000, v0
	s_lshr_b32 s43, s43, 27
	v_add_nc_u32_e32 v77, 0x800, v71
	s_add_co_i32 s1, s1, s43
	v_add_nc_u32_e32 v80, 0x1000, v71
	s_ashr_i32 s33, s1, 5
	s_cmp_eq_u32 s2, 0
	v_add_nc_u32_e32 v81, 0x1800, v71
	s_cselect_b32 s52, s42, s44
	s_cselect_b32 s0, ttmp9, s3
	s_cmp_le_i32 s52, s33
	s_mov_b32 s42, s29
	s_cselect_b32 s53, -1, 0
	s_lshl_b32 s2, s0, 5
	s_delay_alu instid0(SALU_CYCLE_1)
	v_dual_add_nc_u32 v75, v71, v0 :: v_dual_add_nc_u32 v32, s2, v69
	s_sub_co_i32 s54, s29, s2
	v_add_nc_u32_e32 v78, v73, v71
	s_cmp_gt_i32 s54, 0
	v_add_nc_u32_e32 v34, s2, v4
	v_ashrrev_i32_e32 v33, 31, v32
	s_cselect_b32 s55, -1, 0
	s_cmp_eq_u32 s28, 0x84
	v_lshl_add_u32 v79, s52, 5, v69
	s_cselect_b32 s56, -1, 0
	v_lshl_add_u64 v[2:3], v[32:33], 3, 0x80
	v_mul_u64_e32 v[0:1], s[8:9], v[32:33]
	s_lshl_b64 s[0:1], s[6:7], 3
	v_add_nc_u32_e32 v38, 16, v34
	s_add_nc_u64 s[4:5], s[4:5], s[0:1]
	s_ashr_i32 s43, s29, 31
	v_mad_nc_u64_u32 v[36:37], s8, v2, s[4:5]
	s_lshl_b64 s[2:3], s[22:23], 3
	v_ashrrev_i32_e32 v39, 31, v38
	v_ashrrev_i32_e32 v35, 31, v34
	s_lshl_b64 s[6:7], s[14:15], 3
	s_add_nc_u64 s[14:15], s[20:21], s[2:3]
	v_cmp_le_i32_e64 s0, s29, v34
	v_cmp_gt_i32_e64 s1, s29, v34
	v_add_nc_u64_e32 v[40:41], 16, v[34:35]
	v_sub_nc_u64_e32 v[42:43], v[34:35], v[32:33]
	v_lshlrev_b64_e32 v[44:45], 3, v[34:35]
	v_mad_u32 v2, s9, v2, v37
	v_cmp_gt_i32_e64 s2, s29, v38
	s_mov_b32 s35, 0
	s_mov_b32 s40, s37
	v_cmp_le_i64_e64 s3, s[42:43], v[40:41]
	v_add_nc_u64_e32 v[46:47], 16, v[42:43]
	v_add_nc_u64_e32 v[48:49], -16, v[42:43]
	s_mov_b32 s41, s36
	s_mov_b32 s44, s30
	s_ashr_i32 s45, s30, 31
	s_lshl_b64 s[46:47], s[8:9], 8
	v_mad_u32 v37, s8, v3, v2
	s_add_nc_u64 s[20:21], s[42:43], -16
	s_add_nc_u64 s[12:13], s[12:13], s[6:7]
	s_lshl_b64 s[18:19], s[18:19], 3
	s_lshl_b64 s[22:23], s[16:17], 3
	v_lshl_add_u64 v[50:51], v[0:1], 3, s[4:5]
	s_lshl_b64 s[10:11], s[10:11], 3
	s_branch .LBB75_4
.LBB75_3:                               ;   in Loop: Header=BB75_4 Depth=1
	s_add_co_i32 s34, s34, 0x10000
	s_delay_alu instid0(SALU_CYCLE_1)
	s_cmp_ge_u32 s34, s31
	s_cbranch_scc1 .LBB75_63
.LBB75_4:                               ; =>This Loop Header: Depth=1
                                        ;     Child Loop BB75_7 Depth 2
                                        ;       Child Loop BB75_10 Depth 3
	s_and_not1_b32 vcc_lo, exec_lo, s53
	s_cbranch_vccnz .LBB75_3
; %bb.5:                                ;   in Loop: Header=BB75_4 Depth=1
	s_load_b32 s9, s[38:39], 0x4
	v_mad_nc_u64_u32 v[52:53], s10, s34, v[36:37]
	v_mad_nc_u64_u32 v[54:55], s10, s34, v[50:51]
	s_mul_i32 s8, s11, s34
	s_mul_u64 s[6:7], s[26:27], s[34:35]
	v_mov_b32_e32 v56, v79
	s_mul_u64 s[4:5], s[18:19], s[34:35]
	s_lshl_b64 s[6:7], s[6:7], 3
	s_add_nc_u64 s[28:29], s[12:13], s[4:5]
	s_add_nc_u64 s[48:49], s[14:15], s[6:7]
	s_mov_b32 s58, s52
	s_delay_alu instid0(VALU_DEP_2)
	v_dual_add_nc_u32 v53, s8, v53 :: v_dual_add_nc_u32 v55, s8, v55
	s_wait_kmcnt 0x0
	s_lshl_b32 s57, s9, 5
	s_branch .LBB75_7
.LBB75_6:                               ;   in Loop: Header=BB75_7 Depth=2
	s_wait_xcnt 0x0
	s_or_b32 exec_lo, exec_lo, s4
	v_add_nc_u32_e32 v56, s57, v56
	s_add_co_i32 s58, s9, s58
	s_delay_alu instid0(SALU_CYCLE_1)
	s_cmp_gt_i32 s58, s33
	s_cbranch_scc1 .LBB75_3
.LBB75_7:                               ;   Parent Loop BB75_4 Depth=1
                                        ; =>  This Loop Header: Depth=2
                                        ;       Child Loop BB75_10 Depth 3
	v_lshl_add_u32 v58, s58, 5, v69
	s_and_not1_b32 vcc_lo, exec_lo, s55
	s_delay_alu instid0(VALU_DEP_1)
	v_ashrrev_i32_e32 v59, 31, v58
	s_cbranch_vccnz .LBB75_54
; %bb.8:                                ;   in Loop: Header=BB75_7 Depth=2
	v_dual_mov_b32 v68, 0 :: v_dual_ashrrev_i32 v57, 31, v56
	v_mad_nc_u64_u32 v[60:61], s22, v56, s[28:29]
	s_delay_alu instid0(VALU_DEP_3) | instskip(SKIP_1) | instid1(VALU_DEP_4)
	v_sub_nc_u64_e32 v[2:3], s[44:45], v[58:59]
	v_mov_b64_e32 v[64:65], v[54:55]
	v_lshl_add_u64 v[0:1], v[56:57], 3, 0x80
	v_mov_b64_e32 v[66:67], v[52:53]
	v_dual_mov_b32 v70, 0 :: v_dual_mov_b32 v72, 0
	v_mov_b32_e32 v76, 0
	s_delay_alu instid0(VALU_DEP_4)
	v_mad_nc_u64_u32 v[62:63], s16, v0, s[28:29]
	v_cmp_lt_i64_e64 s4, 16, v[2:3]
	v_cmp_lt_i64_e32 vcc_lo, 0, v[2:3]
	v_mad_u32 v4, s23, v56, v61
	v_dual_mov_b32 v2, 0 :: v_dual_mov_b32 v74, 0
	s_mov_b64 s[50:51], 0
	v_mad_u32 v0, s17, v0, v63
	s_delay_alu instid0(VALU_DEP_3) | instskip(SKIP_1) | instid1(VALU_DEP_3)
	v_mad_u32 v61, s22, v57, v4
	v_mov_b32_e32 v4, 0
	v_mad_u32 v63, s16, v1, v0
	v_mov_b32_e32 v0, 0
	s_branch .LBB75_10
.LBB75_9:                               ;   in Loop: Header=BB75_10 Depth=3
	s_wait_xcnt 0x0
	s_or_b32 exec_lo, exec_lo, s5
	s_wait_dscnt 0x0
	s_barrier_signal -1
	s_barrier_wait -1
	ds_load_b128 v[16:19], v73
	ds_load_2addr_b64 v[24:27], v71 offset1:16
	ds_load_b128 v[20:23], v73 offset:4096
	ds_load_b128 v[8:11], v73 offset:16
	ds_load_2addr_b64 v[82:85], v71 offset0:32 offset1:48
	ds_load_b128 v[12:15], v73 offset:4112
	v_add_nc_u64_e32 v[60:61], 0x100, v[60:61]
	v_add_nc_u64_e32 v[66:67], s[46:47], v[66:67]
	;; [unrolled: 1-line block ×4, first 2 shown]
	s_add_nc_u64 s[50:51], s[50:51], 32
	s_delay_alu instid0(SALU_CYCLE_1)
	s_cmp_ge_i32 s50, s54
	s_wait_dscnt 0x4
	v_dual_mul_f32 v1, v17, v25 :: v_dual_mul_f32 v3, v16, v25
	v_dual_mul_f32 v5, v17, v27 :: v_dual_mul_f32 v6, v16, v27
	s_wait_dscnt 0x3
	v_dual_mul_f32 v7, v21, v25 :: v_dual_mul_f32 v25, v20, v25
	v_dual_mul_f32 v57, v21, v27 :: v_dual_mul_f32 v86, v20, v27
	v_dual_fma_f32 v1, v16, v24, -v1 :: v_dual_fmac_f32 v3, v17, v24
	v_dual_fma_f32 v5, v16, v26, -v5 :: v_dual_fmac_f32 v6, v17, v26
	s_delay_alu instid0(VALU_DEP_4) | instskip(NEXT) | instid1(VALU_DEP_3)
	v_dual_fma_f32 v7, v20, v24, -v7 :: v_dual_fmac_f32 v25, v21, v24
	v_dual_fma_f32 v16, v20, v26, -v57 :: v_dual_add_f32 v17, v74, v1
	s_delay_alu instid0(VALU_DEP_3)
	v_dual_add_f32 v20, v76, v3 :: v_dual_add_f32 v57, v2, v5
	s_wait_dscnt 0x1
	v_dual_add_f32 v74, v4, v6 :: v_dual_mul_f32 v87, v19, v83
	v_dual_add_f32 v76, v0, v7 :: v_dual_fmac_f32 v86, v21, v26
	ds_load_b128 v[4:7], v73 offset:32
	ds_load_b128 v[0:3], v73 offset:48
	v_dual_add_f32 v72, v72, v25 :: v_dual_add_f32 v16, v70, v16
	ds_load_2addr_b64 v[24:27], v71 offset0:64 offset1:80
	v_dual_mul_f32 v21, v18, v83 :: v_dual_fma_f32 v70, v18, v82, -v87
	v_dual_mul_f32 v87, v19, v85 :: v_dual_add_f32 v68, v68, v86
	s_delay_alu instid0(VALU_DEP_2) | instskip(NEXT) | instid1(VALU_DEP_2)
	v_dual_mul_f32 v86, v18, v85 :: v_dual_fmac_f32 v21, v19, v82
	v_dual_add_f32 v70, v17, v70 :: v_dual_fma_f32 v17, v18, v84, -v87
	v_mul_f32_e32 v18, v23, v83
	s_delay_alu instid0(VALU_DEP_3) | instskip(NEXT) | instid1(VALU_DEP_4)
	v_dual_fmac_f32 v86, v19, v84 :: v_dual_mul_f32 v19, v22, v83
	v_add_f32_e32 v20, v20, v21
	s_delay_alu instid0(VALU_DEP_3) | instskip(NEXT) | instid1(VALU_DEP_3)
	v_dual_add_f32 v21, v57, v17 :: v_dual_fma_f32 v17, v22, v82, -v18
	v_dual_mul_f32 v18, v23, v85 :: v_dual_add_f32 v57, v74, v86
	s_delay_alu instid0(VALU_DEP_4) | instskip(NEXT) | instid1(VALU_DEP_2)
	v_dual_fmac_f32 v19, v23, v82 :: v_dual_mul_f32 v74, v22, v85
	v_dual_add_f32 v76, v76, v17 :: v_dual_fma_f32 v17, v22, v84, -v18
	s_wait_dscnt 0x0
	s_delay_alu instid0(VALU_DEP_2) | instskip(NEXT) | instid1(VALU_DEP_3)
	v_dual_mul_f32 v18, v9, v25 :: v_dual_add_f32 v22, v72, v19
	v_dual_fmac_f32 v74, v23, v84 :: v_dual_mul_f32 v23, v8, v25
	s_delay_alu instid0(VALU_DEP_3) | instskip(NEXT) | instid1(VALU_DEP_3)
	v_dual_add_f32 v72, v16, v17 :: v_dual_mul_f32 v83, v9, v27
	v_fma_f32 v82, v8, v24, -v18
	ds_load_2addr_b64 v[16:19], v71 offset0:96 offset1:112
	v_dual_fmac_f32 v23, v9, v24 :: v_dual_add_f32 v68, v68, v74
	v_dual_mul_f32 v74, v8, v27 :: v_dual_add_f32 v70, v70, v82
	s_delay_alu instid0(VALU_DEP_1) | instskip(NEXT) | instid1(VALU_DEP_1)
	v_dual_fma_f32 v8, v8, v26, -v83 :: v_dual_fmac_f32 v74, v9, v26
	v_dual_add_f32 v82, v20, v23 :: v_dual_add_f32 v8, v21, v8
	v_dual_mul_f32 v20, v13, v25 :: v_dual_mul_f32 v23, v12, v25
	v_mul_f32_e32 v9, v13, v27
	s_delay_alu instid0(VALU_DEP_2) | instskip(NEXT) | instid1(VALU_DEP_3)
	v_dual_add_f32 v25, v57, v74 :: v_dual_fma_f32 v20, v12, v24, -v20
	v_dual_fmac_f32 v23, v13, v24 :: v_dual_mul_f32 v24, v12, v27
	s_wait_dscnt 0x0
	s_delay_alu instid0(VALU_DEP_3) | instskip(NEXT) | instid1(VALU_DEP_2)
	v_dual_fma_f32 v9, v12, v26, -v9 :: v_dual_mul_f32 v27, v11, v19
	v_dual_add_f32 v12, v76, v20 :: v_dual_add_f32 v57, v22, v23
	s_delay_alu instid0(VALU_DEP_3)
	v_dual_fmac_f32 v24, v13, v26 :: v_dual_mul_f32 v13, v11, v17
	v_mul_f32_e32 v26, v10, v17
	ds_load_2addr_b64 v[20:23], v71 offset0:128 offset1:144
	v_add_f32_e32 v9, v72, v9
	v_add_f32_e32 v68, v68, v24
	v_dual_fma_f32 v13, v10, v16, -v13 :: v_dual_mul_f32 v24, v10, v19
	v_dual_fmac_f32 v26, v11, v16 :: v_dual_fma_f32 v10, v10, v18, -v27
	s_delay_alu instid0(VALU_DEP_2) | instskip(SKIP_1) | instid1(VALU_DEP_4)
	v_add_f32_e32 v70, v70, v13
	v_mul_f32_e32 v13, v15, v17
	v_fmac_f32_e32 v24, v11, v18
	s_delay_alu instid0(VALU_DEP_4) | instskip(SKIP_1) | instid1(VALU_DEP_4)
	v_add_f32_e32 v11, v82, v26
	v_dual_add_f32 v72, v8, v10 :: v_dual_mul_f32 v8, v14, v17
	v_fma_f32 v10, v14, v16, -v13
	s_delay_alu instid0(VALU_DEP_4)
	v_dual_add_f32 v17, v25, v24 :: v_dual_mul_f32 v13, v15, v19
	ds_load_b128 v[24:27], v73 offset:4128
	v_dual_fmac_f32 v8, v15, v16 :: v_dual_add_f32 v16, v12, v10
	v_dual_mul_f32 v10, v14, v19 :: v_dual_fma_f32 v12, v14, v18, -v13
	s_wait_dscnt 0x1
	v_mul_f32_e32 v13, v5, v21
	s_delay_alu instid0(VALU_DEP_3) | instskip(NEXT) | instid1(VALU_DEP_3)
	v_dual_add_f32 v19, v57, v8 :: v_dual_mul_f32 v8, v4, v21
	v_dual_fmac_f32 v10, v15, v18 :: v_dual_add_f32 v18, v9, v12
	s_delay_alu instid0(VALU_DEP_3) | instskip(SKIP_3) | instid1(VALU_DEP_2)
	v_fma_f32 v9, v4, v20, -v13
	ds_load_2addr_b64 v[12:15], v71 offset0:160 offset1:176
	v_dual_fmac_f32 v8, v5, v20 :: v_dual_mul_f32 v57, v5, v23
	v_dual_add_f32 v68, v68, v10 :: v_dual_add_f32 v70, v70, v9
	v_dual_mul_f32 v74, v4, v23 :: v_dual_add_f32 v76, v11, v8
	ds_load_b128 v[8:11], v73 offset:4144
	s_wait_dscnt 0x2
	v_dual_fma_f32 v4, v4, v22, -v57 :: v_dual_mul_f32 v57, v25, v21
	v_dual_fmac_f32 v74, v5, v22 :: v_dual_mul_f32 v5, v24, v21
	s_delay_alu instid0(VALU_DEP_2) | instskip(NEXT) | instid1(VALU_DEP_2)
	v_dual_mul_f32 v21, v25, v23 :: v_dual_add_f32 v4, v72, v4
	v_dual_fma_f32 v57, v24, v20, -v57 :: v_dual_add_f32 v17, v17, v74
	s_delay_alu instid0(VALU_DEP_3) | instskip(NEXT) | instid1(VALU_DEP_3)
	v_dual_fmac_f32 v5, v25, v20 :: v_dual_mul_f32 v72, v24, v23
	v_fma_f32 v20, v24, v22, -v21
	s_delay_alu instid0(VALU_DEP_3) | instskip(SKIP_4) | instid1(VALU_DEP_3)
	v_add_f32_e32 v16, v16, v57
	s_wait_dscnt 0x1
	v_mul_f32_e32 v21, v7, v13
	v_dual_add_f32 v5, v19, v5 :: v_dual_fmac_f32 v72, v25, v22
	v_add_f32_e32 v24, v18, v20
	v_dual_mul_f32 v18, v6, v13 :: v_dual_fma_f32 v19, v6, v12, -v21
	ds_load_2addr_b64 v[20:23], v71 offset0:192 offset1:208
	v_dual_mul_f32 v25, v7, v15 :: v_dual_add_f32 v57, v68, v72
	v_dual_fmac_f32 v18, v7, v12 :: v_dual_add_f32 v68, v70, v19
	s_delay_alu instid0(VALU_DEP_2) | instskip(SKIP_1) | instid1(VALU_DEP_3)
	v_dual_mul_f32 v19, v6, v15 :: v_dual_fma_f32 v6, v6, v14, -v25
	v_dual_mul_f32 v25, v27, v13 :: v_dual_mul_f32 v13, v26, v13
	v_add_f32_e32 v70, v76, v18
	s_delay_alu instid0(VALU_DEP_3) | instskip(NEXT) | instid1(VALU_DEP_3)
	v_fmac_f32_e32 v19, v7, v14
	v_dual_add_f32 v4, v4, v6 :: v_dual_fma_f32 v6, v26, v12, -v25
	s_delay_alu instid0(VALU_DEP_4) | instskip(NEXT) | instid1(VALU_DEP_2)
	v_dual_fmac_f32 v13, v27, v12 :: v_dual_mul_f32 v7, v27, v15
	v_dual_mul_f32 v15, v26, v15 :: v_dual_add_f32 v6, v16, v6
	s_delay_alu instid0(VALU_DEP_2) | instskip(NEXT) | instid1(VALU_DEP_2)
	v_dual_add_f32 v12, v17, v19 :: v_dual_fma_f32 v7, v26, v14, -v7
	v_dual_add_f32 v5, v5, v13 :: v_dual_fmac_f32 v15, v27, v14
	s_wait_dscnt 0x0
	v_dual_mul_f32 v13, v1, v21 :: v_dual_mul_f32 v14, v0, v21
	ds_load_2addr_b64 v[16:19], v71 offset0:224 offset1:240
	v_add_f32_e32 v7, v24, v7
	v_dual_mul_f32 v24, v1, v23 :: v_dual_fma_f32 v13, v0, v20, -v13
	v_dual_fmac_f32 v14, v1, v20 :: v_dual_mul_f32 v25, v0, v23
	s_delay_alu instid0(VALU_DEP_2) | instskip(NEXT) | instid1(VALU_DEP_2)
	v_dual_add_f32 v26, v57, v15 :: v_dual_fma_f32 v0, v0, v22, -v24
	v_dual_add_f32 v27, v68, v13 :: v_dual_add_f32 v24, v70, v14
	s_delay_alu instid0(VALU_DEP_3) | instskip(NEXT) | instid1(VALU_DEP_3)
	v_dual_fmac_f32 v25, v1, v22 :: v_dual_mul_f32 v13, v8, v21
	v_dual_mul_f32 v1, v9, v21 :: v_dual_add_f32 v0, v4, v0
	s_delay_alu instid0(VALU_DEP_2) | instskip(NEXT) | instid1(VALU_DEP_3)
	v_dual_mul_f32 v4, v9, v23 :: v_dual_add_f32 v25, v12, v25
	v_fmac_f32_e32 v13, v9, v20
	s_delay_alu instid0(VALU_DEP_3) | instskip(SKIP_1) | instid1(VALU_DEP_3)
	v_dual_fma_f32 v1, v8, v20, -v1 :: v_dual_mul_f32 v57, v8, v23
	s_wait_dscnt 0x0
	v_dual_fma_f32 v4, v8, v22, -v4 :: v_dual_mul_f32 v8, v3, v17
	s_delay_alu instid0(VALU_DEP_3) | instskip(NEXT) | instid1(VALU_DEP_3)
	v_add_f32_e32 v68, v5, v13
	v_dual_add_f32 v1, v6, v1 :: v_dual_fmac_f32 v57, v9, v22
	s_delay_alu instid0(VALU_DEP_3) | instskip(NEXT) | instid1(VALU_DEP_4)
	v_add_f32_e32 v9, v7, v4
	v_dual_fma_f32 v4, v2, v16, -v8 :: v_dual_mul_f32 v5, v2, v17
	s_delay_alu instid0(VALU_DEP_3)
	v_dual_mul_f32 v6, v3, v19 :: v_dual_add_f32 v57, v26, v57
	ds_load_b128 v[12:15], v73 offset:64
	ds_load_2addr_b64 v[20:23], v77 offset1:16
	v_dual_mul_f32 v7, v2, v19 :: v_dual_fmac_f32 v5, v3, v16
	v_dual_add_f32 v70, v27, v4 :: v_dual_fma_f32 v2, v2, v18, -v6
	v_mul_f32_e32 v4, v11, v17
	s_delay_alu instid0(VALU_DEP_3) | instskip(NEXT) | instid1(VALU_DEP_3)
	v_dual_fmac_f32 v7, v3, v18 :: v_dual_add_f32 v72, v24, v5
	v_dual_mul_f32 v3, v10, v17 :: v_dual_add_f32 v17, v0, v2
	s_delay_alu instid0(VALU_DEP_3) | instskip(NEXT) | instid1(VALU_DEP_2)
	v_dual_fma_f32 v0, v10, v16, -v4 :: v_dual_mul_f32 v2, v11, v19
	v_dual_fmac_f32 v3, v11, v16 :: v_dual_add_f32 v74, v25, v7
	ds_load_b128 v[24:27], v73 offset:4160
	ds_load_b128 v[4:7], v73 offset:80
	v_dual_add_f32 v16, v1, v0 :: v_dual_mul_f32 v1, v10, v19
	s_wait_dscnt 0x2
	v_dual_fma_f32 v0, v10, v18, -v2 :: v_dual_mul_f32 v2, v13, v21
	v_add_f32_e32 v19, v68, v3
	s_delay_alu instid0(VALU_DEP_3) | instskip(NEXT) | instid1(VALU_DEP_3)
	v_dual_mul_f32 v3, v12, v21 :: v_dual_fmac_f32 v1, v11, v18
	v_add_f32_e32 v18, v9, v0
	ds_load_2addr_b64 v[8:11], v77 offset0:32 offset1:48
	v_dual_fma_f32 v0, v12, v20, -v2 :: v_dual_fmac_f32 v3, v13, v20
	v_mul_f32_e32 v2, v13, v23
	s_delay_alu instid0(VALU_DEP_2) | instskip(NEXT) | instid1(VALU_DEP_2)
	v_dual_add_f32 v57, v57, v1 :: v_dual_add_f32 v68, v70, v0
	v_dual_mul_f32 v70, v12, v23 :: v_dual_fma_f32 v12, v12, v22, -v2
	s_wait_dscnt 0x2
	v_dual_add_f32 v72, v72, v3 :: v_dual_mul_f32 v76, v25, v21
	ds_load_b128 v[0:3], v73 offset:4176
	v_dual_fmac_f32 v70, v13, v22 :: v_dual_mul_f32 v13, v24, v21
	v_add_f32_e32 v12, v17, v12
	v_dual_mul_f32 v17, v25, v23 :: v_dual_fma_f32 v21, v24, v20, -v76
	s_delay_alu instid0(VALU_DEP_3) | instskip(NEXT) | instid1(VALU_DEP_2)
	v_dual_add_f32 v70, v74, v70 :: v_dual_fmac_f32 v13, v25, v20
	v_dual_mul_f32 v20, v24, v23 :: v_dual_fma_f32 v17, v24, v22, -v17
	s_delay_alu instid0(VALU_DEP_3) | instskip(SKIP_2) | instid1(VALU_DEP_3)
	v_add_f32_e32 v21, v16, v21
	s_wait_dscnt 0x1
	v_mul_f32_e32 v16, v15, v9
	v_dual_add_f32 v13, v19, v13 :: v_dual_fmac_f32 v20, v25, v22
	v_dual_add_f32 v22, v18, v17 :: v_dual_mul_f32 v25, v15, v11
	s_delay_alu instid0(VALU_DEP_3) | instskip(SKIP_3) | instid1(VALU_DEP_2)
	v_fma_f32 v24, v14, v8, -v16
	ds_load_2addr_b64 v[16:19], v77 offset0:64 offset1:80
	v_dual_mul_f32 v23, v14, v9 :: v_dual_add_f32 v20, v57, v20
	v_dual_mul_f32 v57, v14, v11 :: v_dual_add_f32 v24, v68, v24
	v_dual_fma_f32 v14, v14, v10, -v25 :: v_dual_fmac_f32 v23, v15, v8
	v_dual_mul_f32 v25, v27, v9 :: v_dual_mul_f32 v9, v26, v9
	s_delay_alu instid0(VALU_DEP_3) | instskip(NEXT) | instid1(VALU_DEP_3)
	v_fmac_f32_e32 v57, v15, v10
	v_add_f32_e32 v68, v12, v14
	s_delay_alu instid0(VALU_DEP_3) | instskip(NEXT) | instid1(VALU_DEP_4)
	v_dual_add_f32 v23, v72, v23 :: v_dual_fma_f32 v12, v26, v8, -v25
	v_dual_fmac_f32 v9, v27, v8 :: v_dual_mul_f32 v8, v27, v11
	s_delay_alu instid0(VALU_DEP_4) | instskip(NEXT) | instid1(VALU_DEP_3)
	v_add_f32_e32 v25, v70, v57
	v_dual_mul_f32 v11, v26, v11 :: v_dual_add_f32 v21, v21, v12
	s_delay_alu instid0(VALU_DEP_3)
	v_dual_add_f32 v9, v13, v9 :: v_dual_fma_f32 v8, v26, v10, -v8
	s_wait_dscnt 0x0
	v_mul_f32_e32 v26, v5, v17
	ds_load_2addr_b64 v[12:15], v77 offset0:96 offset1:112
	v_dual_fmac_f32 v11, v27, v10 :: v_dual_mul_f32 v10, v4, v17
	v_add_f32_e32 v8, v22, v8
	v_dual_fma_f32 v22, v4, v16, -v26 :: v_dual_mul_f32 v27, v4, v19
	s_delay_alu instid0(VALU_DEP_3) | instskip(NEXT) | instid1(VALU_DEP_4)
	v_dual_mul_f32 v26, v5, v19 :: v_dual_fmac_f32 v10, v5, v16
	v_add_f32_e32 v20, v20, v11
	s_delay_alu instid0(VALU_DEP_3) | instskip(NEXT) | instid1(VALU_DEP_3)
	v_add_f32_e32 v22, v24, v22
	v_dual_fmac_f32 v27, v5, v18 :: v_dual_fma_f32 v4, v4, v18, -v26
	s_delay_alu instid0(VALU_DEP_4) | instskip(SKIP_1) | instid1(VALU_DEP_3)
	v_dual_add_f32 v23, v23, v10 :: v_dual_mul_f32 v10, v0, v17
	v_dual_mul_f32 v5, v1, v17 :: v_dual_mul_f32 v11, v1, v19
	v_dual_add_f32 v4, v68, v4 :: v_dual_add_f32 v24, v25, v27
	s_delay_alu instid0(VALU_DEP_3) | instskip(NEXT) | instid1(VALU_DEP_3)
	v_dual_fmac_f32 v10, v1, v16 :: v_dual_mul_f32 v25, v0, v19
	v_dual_fma_f32 v5, v0, v16, -v5 :: v_dual_fma_f32 v0, v0, v18, -v11
	s_wait_dscnt 0x0
	s_delay_alu instid0(VALU_DEP_2) | instskip(NEXT) | instid1(VALU_DEP_3)
	v_dual_mul_f32 v11, v7, v13 :: v_dual_add_f32 v26, v9, v10
	v_fmac_f32_e32 v25, v1, v18
	s_delay_alu instid0(VALU_DEP_3) | instskip(NEXT) | instid1(VALU_DEP_3)
	v_dual_add_f32 v5, v21, v5 :: v_dual_add_f32 v0, v8, v0
	v_fma_f32 v1, v6, v12, -v11
	ds_load_b128 v[8:11], v73 offset:96
	ds_load_2addr_b64 v[16:19], v77 offset0:128 offset1:144
	v_dual_mul_f32 v21, v6, v13 :: v_dual_mul_f32 v27, v7, v15
	v_dual_add_f32 v25, v20, v25 :: v_dual_mul_f32 v20, v6, v15
	s_delay_alu instid0(VALU_DEP_2) | instskip(NEXT) | instid1(VALU_DEP_3)
	v_dual_add_f32 v1, v22, v1 :: v_dual_fmac_f32 v21, v7, v12
	v_dual_fma_f32 v6, v6, v14, -v27 :: v_dual_mul_f32 v22, v3, v13
	s_delay_alu instid0(VALU_DEP_3) | instskip(NEXT) | instid1(VALU_DEP_2)
	v_dual_fmac_f32 v20, v7, v14 :: v_dual_mul_f32 v13, v2, v13
	v_dual_add_f32 v27, v23, v21 :: v_dual_add_f32 v57, v4, v6
	s_delay_alu instid0(VALU_DEP_3) | instskip(NEXT) | instid1(VALU_DEP_3)
	v_dual_fma_f32 v4, v2, v12, -v22 :: v_dual_mul_f32 v6, v3, v15
	v_add_f32_e32 v24, v24, v20
	s_delay_alu instid0(VALU_DEP_4)
	v_fmac_f32_e32 v13, v3, v12
	ds_load_b128 v[20:23], v73 offset:4192
	v_dual_add_f32 v68, v5, v4 :: v_dual_fma_f32 v12, v2, v14, -v6
	s_wait_dscnt 0x1
	v_dual_mul_f32 v2, v2, v15 :: v_dual_mul_f32 v15, v9, v17
	v_mul_f32_e32 v70, v8, v17
	s_delay_alu instid0(VALU_DEP_3) | instskip(NEXT) | instid1(VALU_DEP_3)
	v_dual_add_f32 v26, v26, v13 :: v_dual_add_f32 v72, v0, v12
	v_dual_fmac_f32 v2, v3, v14 :: v_dual_fma_f32 v0, v8, v16, -v15
	s_delay_alu instid0(VALU_DEP_3)
	v_fmac_f32_e32 v70, v9, v16
	ds_load_2addr_b64 v[12:15], v77 offset0:160 offset1:176
	v_mul_f32_e32 v3, v9, v19
	v_dual_add_f32 v25, v25, v2 :: v_dual_mul_f32 v76, v8, v19
	ds_load_b128 v[4:7], v73 offset:112
	v_dual_add_f32 v74, v1, v0 :: v_dual_add_f32 v27, v27, v70
	v_dual_fma_f32 v8, v8, v18, -v3 :: v_dual_fmac_f32 v76, v9, v18
	s_wait_dscnt 0x2
	v_dual_mul_f32 v9, v20, v17 :: v_dual_mul_f32 v70, v21, v17
	v_mul_f32_e32 v17, v21, v19
	s_delay_alu instid0(VALU_DEP_3)
	v_add_f32_e32 v8, v57, v8
	v_add_f32_e32 v24, v24, v76
	ds_load_b128 v[0:3], v73 offset:4208
	v_dual_fma_f32 v57, v20, v16, -v70 :: v_dual_fmac_f32 v9, v21, v16
	v_dual_mul_f32 v70, v20, v19 :: v_dual_fma_f32 v16, v20, v18, -v17
	s_wait_dscnt 0x2
	v_mul_f32_e32 v17, v11, v13
	s_delay_alu instid0(VALU_DEP_3) | instskip(NEXT) | instid1(VALU_DEP_3)
	v_add_f32_e32 v20, v68, v57
	v_dual_add_f32 v9, v26, v9 :: v_dual_fmac_f32 v70, v21, v18
	v_dual_add_f32 v21, v72, v16 :: v_dual_mul_f32 v26, v10, v13
	s_delay_alu instid0(VALU_DEP_4) | instskip(SKIP_3) | instid1(VALU_DEP_2)
	v_fma_f32 v57, v10, v12, -v17
	ds_load_2addr_b64 v[16:19], v77 offset0:192 offset1:208
	v_dual_mul_f32 v68, v11, v15 :: v_dual_add_f32 v25, v25, v70
	v_dual_fmac_f32 v26, v11, v12 :: v_dual_add_f32 v57, v74, v57
	v_dual_mul_f32 v70, v10, v15 :: v_dual_fma_f32 v10, v10, v14, -v68
	v_dual_mul_f32 v68, v23, v13 :: v_dual_mul_f32 v13, v22, v13
	s_delay_alu instid0(VALU_DEP_3) | instskip(NEXT) | instid1(VALU_DEP_3)
	v_add_f32_e32 v26, v27, v26
	v_dual_fmac_f32 v70, v11, v14 :: v_dual_mul_f32 v27, v22, v15
	s_delay_alu instid0(VALU_DEP_3) | instskip(NEXT) | instid1(VALU_DEP_4)
	v_dual_add_f32 v8, v8, v10 :: v_dual_fmac_f32 v13, v23, v12
	v_dual_fma_f32 v10, v22, v12, -v68 :: v_dual_mul_f32 v11, v23, v15
	s_delay_alu instid0(VALU_DEP_3) | instskip(NEXT) | instid1(VALU_DEP_3)
	v_add_f32_e32 v24, v24, v70
	v_dual_fmac_f32 v27, v23, v14 :: v_dual_add_f32 v9, v9, v13
	s_delay_alu instid0(VALU_DEP_3)
	v_add_f32_e32 v10, v20, v10
	s_wait_dscnt 0x0
	v_dual_fma_f32 v11, v22, v14, -v11 :: v_dual_mul_f32 v20, v5, v17
	ds_load_2addr_b64 v[12:15], v77 offset0:224 offset1:240
	v_dual_mul_f32 v22, v4, v17 :: v_dual_add_f32 v11, v21, v11
	v_dual_fma_f32 v20, v4, v16, -v20 :: v_dual_mul_f32 v21, v5, v19
	s_delay_alu instid0(VALU_DEP_2) | instskip(SKIP_1) | instid1(VALU_DEP_3)
	v_dual_fmac_f32 v22, v5, v16 :: v_dual_mul_f32 v23, v4, v19
	v_add_f32_e32 v25, v25, v27
	v_dual_add_f32 v20, v57, v20 :: v_dual_fma_f32 v4, v4, v18, -v21
	s_delay_alu instid0(VALU_DEP_3) | instskip(NEXT) | instid1(VALU_DEP_4)
	v_add_f32_e32 v21, v26, v22
	v_fmac_f32_e32 v23, v5, v18
	v_dual_mul_f32 v5, v1, v17 :: v_dual_mul_f32 v17, v0, v17
	s_delay_alu instid0(VALU_DEP_4) | instskip(NEXT) | instid1(VALU_DEP_3)
	v_dual_add_f32 v4, v8, v4 :: v_dual_mul_f32 v8, v1, v19
	v_add_f32_e32 v22, v24, v23
	s_delay_alu instid0(VALU_DEP_3) | instskip(NEXT) | instid1(VALU_DEP_3)
	v_dual_fma_f32 v5, v0, v16, -v5 :: v_dual_mul_f32 v23, v0, v19
	v_dual_fmac_f32 v17, v1, v16 :: v_dual_fma_f32 v0, v0, v18, -v8
	s_wait_dscnt 0x0
	v_mul_f32_e32 v8, v7, v13
	s_delay_alu instid0(VALU_DEP_3) | instskip(NEXT) | instid1(VALU_DEP_3)
	v_dual_add_f32 v5, v10, v5 :: v_dual_fmac_f32 v23, v1, v18
	v_dual_add_f32 v24, v9, v17 :: v_dual_add_f32 v0, v11, v0
	s_delay_alu instid0(VALU_DEP_3)
	v_dual_fma_f32 v1, v6, v12, -v8 :: v_dual_mul_f32 v26, v6, v13
	ds_load_b128 v[8:11], v73 offset:128
	ds_load_2addr_b64 v[16:19], v80 offset1:16
	v_mul_f32_e32 v27, v7, v15
	v_dual_add_f32 v25, v25, v23 :: v_dual_add_f32 v1, v20, v1
	v_dual_fmac_f32 v26, v7, v12 :: v_dual_mul_f32 v23, v6, v15
	s_delay_alu instid0(VALU_DEP_3) | instskip(NEXT) | instid1(VALU_DEP_2)
	v_dual_fma_f32 v6, v6, v14, -v27 :: v_dual_mul_f32 v20, v3, v13
	v_dual_mul_f32 v13, v2, v13 :: v_dual_add_f32 v26, v21, v26
	s_delay_alu instid0(VALU_DEP_3) | instskip(NEXT) | instid1(VALU_DEP_3)
	v_fmac_f32_e32 v23, v7, v14
	v_dual_add_f32 v27, v4, v6 :: v_dual_fma_f32 v4, v2, v12, -v20
	s_delay_alu instid0(VALU_DEP_3) | instskip(NEXT) | instid1(VALU_DEP_3)
	v_dual_mul_f32 v6, v3, v15 :: v_dual_fmac_f32 v13, v3, v12
	v_add_f32_e32 v57, v22, v23
	ds_load_b128 v[20:23], v73 offset:4224
	v_dual_add_f32 v68, v5, v4 :: v_dual_fma_f32 v12, v2, v14, -v6
	s_wait_dscnt 0x1
	v_dual_mul_f32 v2, v2, v15 :: v_dual_mul_f32 v15, v9, v17
	v_mul_f32_e32 v70, v8, v17
	v_add_f32_e32 v24, v24, v13
	s_delay_alu instid0(VALU_DEP_3) | instskip(NEXT) | instid1(VALU_DEP_3)
	v_dual_add_f32 v72, v0, v12 :: v_dual_fmac_f32 v2, v3, v14
	v_dual_fma_f32 v0, v8, v16, -v15 :: v_dual_fmac_f32 v70, v9, v16
	ds_load_2addr_b64 v[12:15], v80 offset0:32 offset1:48
	v_mul_f32_e32 v3, v9, v19
	ds_load_b128 v[4:7], v73 offset:144
	v_dual_add_f32 v25, v25, v2 :: v_dual_mul_f32 v76, v8, v19
	v_dual_add_f32 v74, v1, v0 :: v_dual_add_f32 v26, v26, v70
	v_fma_f32 v8, v8, v18, -v3
	ds_load_b128 v[0:3], v73 offset:4240
	s_wait_dscnt 0x3
	v_mul_f32_e32 v70, v21, v17
	v_dual_fmac_f32 v76, v9, v18 :: v_dual_mul_f32 v9, v20, v17
	v_dual_add_f32 v8, v27, v8 :: v_dual_mul_f32 v17, v21, v19
	s_delay_alu instid0(VALU_DEP_3) | instskip(NEXT) | instid1(VALU_DEP_3)
	v_fma_f32 v27, v20, v16, -v70
	v_dual_add_f32 v57, v57, v76 :: v_dual_mul_f32 v70, v20, v19
	s_delay_alu instid0(VALU_DEP_4) | instskip(NEXT) | instid1(VALU_DEP_4)
	v_fmac_f32_e32 v9, v21, v16
	v_fma_f32 v16, v20, v18, -v17
	s_wait_dscnt 0x2
	v_dual_add_f32 v20, v68, v27 :: v_dual_mul_f32 v17, v11, v13
	s_delay_alu instid0(VALU_DEP_3) | instskip(NEXT) | instid1(VALU_DEP_3)
	v_dual_fmac_f32 v70, v21, v18 :: v_dual_add_f32 v9, v24, v9
	v_dual_add_f32 v21, v72, v16 :: v_dual_mul_f32 v24, v10, v13
	s_delay_alu instid0(VALU_DEP_3) | instskip(SKIP_3) | instid1(VALU_DEP_2)
	v_fma_f32 v27, v10, v12, -v17
	ds_load_2addr_b64 v[16:19], v80 offset0:64 offset1:80
	v_dual_mul_f32 v68, v11, v15 :: v_dual_add_f32 v25, v25, v70
	v_dual_fmac_f32 v24, v11, v12 :: v_dual_add_f32 v27, v74, v27
	v_dual_mul_f32 v70, v10, v15 :: v_dual_fma_f32 v10, v10, v14, -v68
	v_dual_mul_f32 v68, v23, v13 :: v_dual_mul_f32 v13, v22, v13
	s_delay_alu instid0(VALU_DEP_2) | instskip(NEXT) | instid1(VALU_DEP_2)
	v_dual_add_f32 v24, v26, v24 :: v_dual_fmac_f32 v70, v11, v14
	v_dual_add_f32 v8, v8, v10 :: v_dual_fma_f32 v10, v22, v12, -v68
	s_delay_alu instid0(VALU_DEP_3) | instskip(NEXT) | instid1(VALU_DEP_3)
	v_dual_fmac_f32 v13, v23, v12 :: v_dual_mul_f32 v11, v23, v15
	v_dual_add_f32 v26, v57, v70 :: v_dual_mul_f32 v57, v22, v15
	s_delay_alu instid0(VALU_DEP_2) | instskip(SKIP_1) | instid1(VALU_DEP_3)
	v_dual_add_f32 v10, v20, v10 :: v_dual_add_f32 v9, v9, v13
	s_wait_dscnt 0x0
	v_dual_fma_f32 v11, v22, v14, -v11 :: v_dual_mul_f32 v20, v5, v17
	s_delay_alu instid0(VALU_DEP_3) | instskip(SKIP_4) | instid1(VALU_DEP_2)
	v_dual_fmac_f32 v57, v23, v14 :: v_dual_mul_f32 v22, v4, v17
	ds_load_2addr_b64 v[12:15], v80 offset0:96 offset1:112
	v_dual_add_f32 v11, v21, v11 :: v_dual_fma_f32 v20, v4, v16, -v20
	v_dual_mul_f32 v21, v5, v19 :: v_dual_fmac_f32 v22, v5, v16
	v_dual_mul_f32 v23, v4, v19 :: v_dual_add_f32 v25, v25, v57
	v_dual_add_f32 v20, v27, v20 :: v_dual_fma_f32 v4, v4, v18, -v21
	s_delay_alu instid0(VALU_DEP_3) | instskip(NEXT) | instid1(VALU_DEP_3)
	v_add_f32_e32 v21, v24, v22
	v_fmac_f32_e32 v23, v5, v18
	v_dual_mul_f32 v5, v1, v17 :: v_dual_mul_f32 v17, v0, v17
	s_delay_alu instid0(VALU_DEP_4) | instskip(NEXT) | instid1(VALU_DEP_2)
	v_dual_add_f32 v4, v8, v4 :: v_dual_mul_f32 v8, v1, v19
	v_dual_add_f32 v22, v26, v23 :: v_dual_fma_f32 v5, v0, v16, -v5
	s_delay_alu instid0(VALU_DEP_3) | instskip(SKIP_1) | instid1(VALU_DEP_3)
	v_dual_fmac_f32 v17, v1, v16 :: v_dual_mul_f32 v23, v0, v19
	s_wait_dscnt 0x0
	v_dual_fma_f32 v0, v0, v18, -v8 :: v_dual_mul_f32 v8, v7, v13
	s_delay_alu instid0(VALU_DEP_3) | instskip(NEXT) | instid1(VALU_DEP_3)
	v_add_f32_e32 v5, v10, v5
	v_add_f32_e32 v24, v9, v17
	s_delay_alu instid0(VALU_DEP_3) | instskip(NEXT) | instid1(VALU_DEP_4)
	v_dual_fmac_f32 v23, v1, v18 :: v_dual_add_f32 v0, v11, v0
	v_dual_fma_f32 v1, v6, v12, -v8 :: v_dual_mul_f32 v26, v6, v13
	ds_load_b128 v[8:11], v73 offset:160
	ds_load_2addr_b64 v[16:19], v80 offset0:128 offset1:144
	v_mul_f32_e32 v27, v7, v15
	v_dual_add_f32 v25, v25, v23 :: v_dual_add_f32 v1, v20, v1
	v_dual_fmac_f32 v26, v7, v12 :: v_dual_mul_f32 v23, v6, v15
	s_delay_alu instid0(VALU_DEP_3) | instskip(NEXT) | instid1(VALU_DEP_2)
	v_dual_fma_f32 v6, v6, v14, -v27 :: v_dual_mul_f32 v20, v3, v13
	v_dual_mul_f32 v13, v2, v13 :: v_dual_add_f32 v26, v21, v26
	s_delay_alu instid0(VALU_DEP_3) | instskip(NEXT) | instid1(VALU_DEP_3)
	v_fmac_f32_e32 v23, v7, v14
	v_dual_add_f32 v27, v4, v6 :: v_dual_fma_f32 v4, v2, v12, -v20
	s_delay_alu instid0(VALU_DEP_3) | instskip(NEXT) | instid1(VALU_DEP_3)
	v_dual_mul_f32 v6, v3, v15 :: v_dual_fmac_f32 v13, v3, v12
	v_add_f32_e32 v57, v22, v23
	ds_load_b128 v[20:23], v73 offset:4256
	v_dual_add_f32 v68, v5, v4 :: v_dual_fma_f32 v12, v2, v14, -v6
	s_wait_dscnt 0x1
	v_dual_mul_f32 v2, v2, v15 :: v_dual_mul_f32 v15, v9, v17
	v_mul_f32_e32 v70, v8, v17
	v_add_f32_e32 v24, v24, v13
	s_delay_alu instid0(VALU_DEP_3) | instskip(NEXT) | instid1(VALU_DEP_3)
	v_dual_add_f32 v72, v0, v12 :: v_dual_fmac_f32 v2, v3, v14
	v_dual_fma_f32 v0, v8, v16, -v15 :: v_dual_fmac_f32 v70, v9, v16
	ds_load_2addr_b64 v[12:15], v80 offset0:160 offset1:176
	v_mul_f32_e32 v3, v9, v19
	ds_load_b128 v[4:7], v73 offset:176
	v_dual_add_f32 v25, v25, v2 :: v_dual_mul_f32 v76, v8, v19
	v_dual_add_f32 v74, v1, v0 :: v_dual_add_f32 v26, v26, v70
	v_fma_f32 v8, v8, v18, -v3
	ds_load_b128 v[0:3], v73 offset:4272
	s_wait_dscnt 0x3
	v_mul_f32_e32 v70, v21, v17
	v_dual_fmac_f32 v76, v9, v18 :: v_dual_mul_f32 v9, v20, v17
	v_dual_add_f32 v8, v27, v8 :: v_dual_mul_f32 v17, v21, v19
	s_delay_alu instid0(VALU_DEP_3) | instskip(NEXT) | instid1(VALU_DEP_3)
	v_fma_f32 v27, v20, v16, -v70
	v_dual_add_f32 v57, v57, v76 :: v_dual_mul_f32 v70, v20, v19
	s_delay_alu instid0(VALU_DEP_4) | instskip(NEXT) | instid1(VALU_DEP_4)
	v_fmac_f32_e32 v9, v21, v16
	v_fma_f32 v16, v20, v18, -v17
	s_wait_dscnt 0x2
	v_dual_add_f32 v20, v68, v27 :: v_dual_mul_f32 v17, v11, v13
	s_delay_alu instid0(VALU_DEP_3) | instskip(NEXT) | instid1(VALU_DEP_3)
	v_dual_fmac_f32 v70, v21, v18 :: v_dual_add_f32 v9, v24, v9
	v_dual_add_f32 v21, v72, v16 :: v_dual_mul_f32 v24, v10, v13
	s_delay_alu instid0(VALU_DEP_3) | instskip(SKIP_3) | instid1(VALU_DEP_2)
	v_fma_f32 v27, v10, v12, -v17
	ds_load_2addr_b64 v[16:19], v80 offset0:192 offset1:208
	v_dual_mul_f32 v68, v11, v15 :: v_dual_add_f32 v25, v25, v70
	v_dual_fmac_f32 v24, v11, v12 :: v_dual_add_f32 v27, v74, v27
	v_dual_mul_f32 v70, v10, v15 :: v_dual_fma_f32 v10, v10, v14, -v68
	v_dual_mul_f32 v68, v23, v13 :: v_dual_mul_f32 v13, v22, v13
	s_delay_alu instid0(VALU_DEP_2) | instskip(NEXT) | instid1(VALU_DEP_2)
	v_dual_add_f32 v24, v26, v24 :: v_dual_fmac_f32 v70, v11, v14
	v_dual_add_f32 v8, v8, v10 :: v_dual_fma_f32 v10, v22, v12, -v68
	s_delay_alu instid0(VALU_DEP_3) | instskip(NEXT) | instid1(VALU_DEP_3)
	v_dual_fmac_f32 v13, v23, v12 :: v_dual_mul_f32 v11, v23, v15
	v_dual_add_f32 v26, v57, v70 :: v_dual_mul_f32 v57, v22, v15
	s_delay_alu instid0(VALU_DEP_2) | instskip(SKIP_1) | instid1(VALU_DEP_3)
	v_dual_add_f32 v10, v20, v10 :: v_dual_add_f32 v9, v9, v13
	s_wait_dscnt 0x0
	v_dual_fma_f32 v11, v22, v14, -v11 :: v_dual_mul_f32 v20, v5, v17
	s_delay_alu instid0(VALU_DEP_3) | instskip(SKIP_4) | instid1(VALU_DEP_2)
	v_dual_fmac_f32 v57, v23, v14 :: v_dual_mul_f32 v22, v4, v17
	ds_load_2addr_b64 v[12:15], v80 offset0:224 offset1:240
	v_dual_add_f32 v11, v21, v11 :: v_dual_fma_f32 v20, v4, v16, -v20
	v_dual_mul_f32 v21, v5, v19 :: v_dual_fmac_f32 v22, v5, v16
	v_dual_mul_f32 v23, v4, v19 :: v_dual_add_f32 v25, v25, v57
	v_dual_add_f32 v20, v27, v20 :: v_dual_fma_f32 v4, v4, v18, -v21
	s_delay_alu instid0(VALU_DEP_3) | instskip(NEXT) | instid1(VALU_DEP_3)
	v_add_f32_e32 v21, v24, v22
	v_fmac_f32_e32 v23, v5, v18
	v_dual_mul_f32 v5, v1, v17 :: v_dual_mul_f32 v17, v0, v17
	s_delay_alu instid0(VALU_DEP_4) | instskip(NEXT) | instid1(VALU_DEP_2)
	v_dual_add_f32 v4, v8, v4 :: v_dual_mul_f32 v8, v1, v19
	v_dual_add_f32 v22, v26, v23 :: v_dual_fma_f32 v5, v0, v16, -v5
	s_delay_alu instid0(VALU_DEP_3) | instskip(SKIP_1) | instid1(VALU_DEP_3)
	v_dual_fmac_f32 v17, v1, v16 :: v_dual_mul_f32 v23, v0, v19
	s_wait_dscnt 0x0
	v_dual_fma_f32 v0, v0, v18, -v8 :: v_dual_mul_f32 v8, v7, v13
	s_delay_alu instid0(VALU_DEP_3) | instskip(NEXT) | instid1(VALU_DEP_3)
	v_add_f32_e32 v5, v10, v5
	v_add_f32_e32 v24, v9, v17
	s_delay_alu instid0(VALU_DEP_3) | instskip(NEXT) | instid1(VALU_DEP_4)
	v_dual_fmac_f32 v23, v1, v18 :: v_dual_add_f32 v0, v11, v0
	v_dual_fma_f32 v1, v6, v12, -v8 :: v_dual_mul_f32 v26, v6, v13
	ds_load_b128 v[8:11], v73 offset:192
	ds_load_2addr_b64 v[16:19], v81 offset1:16
	v_mul_f32_e32 v27, v7, v15
	v_dual_add_f32 v25, v25, v23 :: v_dual_add_f32 v1, v20, v1
	v_dual_fmac_f32 v26, v7, v12 :: v_dual_mul_f32 v23, v6, v15
	s_delay_alu instid0(VALU_DEP_3) | instskip(NEXT) | instid1(VALU_DEP_2)
	v_dual_fma_f32 v6, v6, v14, -v27 :: v_dual_mul_f32 v20, v3, v13
	v_dual_mul_f32 v13, v2, v13 :: v_dual_add_f32 v26, v21, v26
	s_delay_alu instid0(VALU_DEP_3) | instskip(NEXT) | instid1(VALU_DEP_3)
	v_fmac_f32_e32 v23, v7, v14
	v_dual_add_f32 v27, v4, v6 :: v_dual_fma_f32 v4, v2, v12, -v20
	s_delay_alu instid0(VALU_DEP_3) | instskip(NEXT) | instid1(VALU_DEP_3)
	v_dual_mul_f32 v6, v3, v15 :: v_dual_fmac_f32 v13, v3, v12
	v_add_f32_e32 v57, v22, v23
	ds_load_b128 v[20:23], v73 offset:4288
	v_dual_add_f32 v68, v5, v4 :: v_dual_fma_f32 v12, v2, v14, -v6
	s_wait_dscnt 0x1
	v_dual_mul_f32 v2, v2, v15 :: v_dual_mul_f32 v15, v9, v17
	v_mul_f32_e32 v70, v8, v17
	v_add_f32_e32 v24, v24, v13
	s_delay_alu instid0(VALU_DEP_3) | instskip(NEXT) | instid1(VALU_DEP_3)
	v_dual_add_f32 v72, v0, v12 :: v_dual_fmac_f32 v2, v3, v14
	v_dual_fma_f32 v0, v8, v16, -v15 :: v_dual_fmac_f32 v70, v9, v16
	ds_load_2addr_b64 v[12:15], v81 offset0:32 offset1:48
	v_mul_f32_e32 v3, v9, v19
	ds_load_b128 v[4:7], v73 offset:208
	v_dual_add_f32 v25, v25, v2 :: v_dual_mul_f32 v76, v8, v19
	v_dual_add_f32 v74, v1, v0 :: v_dual_add_f32 v26, v26, v70
	v_fma_f32 v8, v8, v18, -v3
	ds_load_b128 v[0:3], v73 offset:4304
	s_wait_dscnt 0x3
	v_mul_f32_e32 v70, v21, v17
	v_dual_fmac_f32 v76, v9, v18 :: v_dual_mul_f32 v9, v20, v17
	v_dual_add_f32 v8, v27, v8 :: v_dual_mul_f32 v17, v21, v19
	s_delay_alu instid0(VALU_DEP_3) | instskip(NEXT) | instid1(VALU_DEP_3)
	v_fma_f32 v27, v20, v16, -v70
	v_dual_add_f32 v57, v57, v76 :: v_dual_mul_f32 v70, v20, v19
	s_delay_alu instid0(VALU_DEP_4) | instskip(NEXT) | instid1(VALU_DEP_4)
	v_fmac_f32_e32 v9, v21, v16
	v_fma_f32 v16, v20, v18, -v17
	s_wait_dscnt 0x2
	v_dual_add_f32 v20, v68, v27 :: v_dual_mul_f32 v17, v11, v13
	s_delay_alu instid0(VALU_DEP_3) | instskip(NEXT) | instid1(VALU_DEP_3)
	v_dual_fmac_f32 v70, v21, v18 :: v_dual_add_f32 v9, v24, v9
	v_dual_add_f32 v21, v72, v16 :: v_dual_mul_f32 v24, v10, v13
	s_delay_alu instid0(VALU_DEP_3) | instskip(SKIP_3) | instid1(VALU_DEP_2)
	v_fma_f32 v27, v10, v12, -v17
	ds_load_2addr_b64 v[16:19], v81 offset0:64 offset1:80
	v_dual_mul_f32 v68, v11, v15 :: v_dual_add_f32 v25, v25, v70
	v_dual_fmac_f32 v24, v11, v12 :: v_dual_add_f32 v27, v74, v27
	v_dual_mul_f32 v70, v10, v15 :: v_dual_fma_f32 v10, v10, v14, -v68
	v_dual_mul_f32 v68, v23, v13 :: v_dual_mul_f32 v13, v22, v13
	s_delay_alu instid0(VALU_DEP_2) | instskip(NEXT) | instid1(VALU_DEP_2)
	v_dual_add_f32 v24, v26, v24 :: v_dual_fmac_f32 v70, v11, v14
	v_dual_add_f32 v8, v8, v10 :: v_dual_fma_f32 v10, v22, v12, -v68
	s_delay_alu instid0(VALU_DEP_3) | instskip(NEXT) | instid1(VALU_DEP_3)
	v_dual_fmac_f32 v13, v23, v12 :: v_dual_mul_f32 v11, v23, v15
	v_dual_add_f32 v26, v57, v70 :: v_dual_mul_f32 v57, v22, v15
	s_delay_alu instid0(VALU_DEP_2) | instskip(SKIP_1) | instid1(VALU_DEP_3)
	v_dual_add_f32 v10, v20, v10 :: v_dual_add_f32 v9, v9, v13
	s_wait_dscnt 0x0
	v_dual_fma_f32 v11, v22, v14, -v11 :: v_dual_mul_f32 v20, v5, v17
	s_delay_alu instid0(VALU_DEP_3) | instskip(SKIP_4) | instid1(VALU_DEP_2)
	v_dual_fmac_f32 v57, v23, v14 :: v_dual_mul_f32 v22, v4, v17
	ds_load_2addr_b64 v[12:15], v81 offset0:96 offset1:112
	v_dual_add_f32 v11, v21, v11 :: v_dual_fma_f32 v20, v4, v16, -v20
	v_dual_mul_f32 v21, v5, v19 :: v_dual_fmac_f32 v22, v5, v16
	v_dual_mul_f32 v23, v4, v19 :: v_dual_add_f32 v25, v25, v57
	v_dual_add_f32 v20, v27, v20 :: v_dual_fma_f32 v4, v4, v18, -v21
	s_delay_alu instid0(VALU_DEP_3) | instskip(NEXT) | instid1(VALU_DEP_3)
	v_add_f32_e32 v21, v24, v22
	v_fmac_f32_e32 v23, v5, v18
	v_dual_mul_f32 v5, v1, v17 :: v_dual_mul_f32 v17, v0, v17
	s_delay_alu instid0(VALU_DEP_4) | instskip(NEXT) | instid1(VALU_DEP_2)
	v_dual_add_f32 v4, v8, v4 :: v_dual_mul_f32 v8, v1, v19
	v_dual_add_f32 v22, v26, v23 :: v_dual_fma_f32 v5, v0, v16, -v5
	s_delay_alu instid0(VALU_DEP_3) | instskip(SKIP_1) | instid1(VALU_DEP_3)
	v_dual_fmac_f32 v17, v1, v16 :: v_dual_mul_f32 v23, v0, v19
	s_wait_dscnt 0x0
	v_dual_fma_f32 v0, v0, v18, -v8 :: v_dual_mul_f32 v8, v7, v13
	s_delay_alu instid0(VALU_DEP_3) | instskip(NEXT) | instid1(VALU_DEP_3)
	v_add_f32_e32 v5, v10, v5
	v_add_f32_e32 v24, v9, v17
	s_delay_alu instid0(VALU_DEP_3) | instskip(NEXT) | instid1(VALU_DEP_4)
	v_dual_fmac_f32 v23, v1, v18 :: v_dual_add_f32 v0, v11, v0
	v_dual_fma_f32 v1, v6, v12, -v8 :: v_dual_mul_f32 v26, v6, v13
	ds_load_b128 v[8:11], v73 offset:224
	ds_load_2addr_b64 v[16:19], v81 offset0:128 offset1:144
	v_mul_f32_e32 v27, v7, v15
	v_add_f32_e32 v25, v25, v23
	v_dual_mul_f32 v23, v6, v15 :: v_dual_fmac_f32 v26, v7, v12
	s_delay_alu instid0(VALU_DEP_3) | instskip(NEXT) | instid1(VALU_DEP_2)
	v_dual_fma_f32 v6, v6, v14, -v27 :: v_dual_add_f32 v27, v20, v1
	v_dual_mul_f32 v1, v3, v13 :: v_dual_add_f32 v26, v21, v26
	s_delay_alu instid0(VALU_DEP_3) | instskip(NEXT) | instid1(VALU_DEP_2)
	v_dual_fmac_f32 v23, v7, v14 :: v_dual_mul_f32 v13, v2, v13
	v_dual_add_f32 v57, v4, v6 :: v_dual_fma_f32 v1, v2, v12, -v1
	v_mul_f32_e32 v4, v3, v15
	s_delay_alu instid0(VALU_DEP_3)
	v_dual_add_f32 v68, v22, v23 :: v_dual_fmac_f32 v13, v3, v12
	ds_load_b128 v[20:23], v73 offset:4320
	v_dual_add_f32 v70, v5, v1 :: v_dual_mul_f32 v12, v2, v15
	s_wait_dscnt 0x1
	v_dual_fma_f32 v1, v2, v14, -v4 :: v_dual_mul_f32 v2, v9, v17
	v_add_f32_e32 v24, v24, v13
	ds_load_b128 v[4:7], v73 offset:240
	v_dual_fmac_f32 v12, v3, v14 :: v_dual_add_f32 v72, v0, v1
	v_dual_mul_f32 v74, v8, v17 :: v_dual_fma_f32 v13, v8, v16, -v2
	ds_load_2addr_b64 v[0:3], v81 offset0:160 offset1:176
	v_dual_mul_f32 v14, v9, v19 :: v_dual_mul_f32 v76, v8, v19
	v_dual_fmac_f32 v74, v9, v16 :: v_dual_add_f32 v27, v27, v13
	s_delay_alu instid0(VALU_DEP_2) | instskip(NEXT) | instid1(VALU_DEP_3)
	v_dual_add_f32 v25, v25, v12 :: v_dual_fma_f32 v8, v8, v18, -v14
	v_fmac_f32_e32 v76, v9, v18
	s_wait_dscnt 0x2
	s_delay_alu instid0(VALU_DEP_3) | instskip(NEXT) | instid1(VALU_DEP_3)
	v_dual_add_f32 v26, v26, v74 :: v_dual_mul_f32 v82, v21, v17
	v_dual_mul_f32 v9, v20, v17 :: v_dual_add_f32 v8, v57, v8
	v_dual_mul_f32 v74, v20, v19 :: v_dual_mul_f32 v57, v21, v19
	s_delay_alu instid0(VALU_DEP_3) | instskip(SKIP_1) | instid1(VALU_DEP_3)
	v_fma_f32 v17, v20, v16, -v82
	v_add_f32_e32 v68, v68, v76
	v_dual_fmac_f32 v9, v21, v16 :: v_dual_fmac_f32 v74, v21, v18
	s_delay_alu instid0(VALU_DEP_3) | instskip(SKIP_2) | instid1(VALU_DEP_3)
	v_dual_fma_f32 v16, v20, v18, -v57 :: v_dual_add_f32 v70, v70, v17
	s_wait_dscnt 0x0
	v_mul_f32_e32 v17, v11, v1
	v_add_f32_e32 v9, v24, v9
	s_delay_alu instid0(VALU_DEP_3) | instskip(NEXT) | instid1(VALU_DEP_3)
	v_dual_mul_f32 v20, v10, v1 :: v_dual_add_f32 v21, v72, v16
	v_dual_mul_f32 v57, v11, v3 :: v_dual_fma_f32 v24, v10, v0, -v17
	ds_load_2addr_b64 v[16:19], v81 offset0:192 offset1:208
	v_dual_fmac_f32 v20, v11, v0 :: v_dual_add_f32 v25, v25, v74
	ds_load_b128 v[12:15], v73 offset:4336
	v_dual_add_f32 v24, v27, v24 :: v_dual_mul_f32 v27, v10, v3
	v_fma_f32 v10, v10, v2, -v57
	v_dual_add_f32 v20, v26, v20 :: v_dual_mul_f32 v26, v23, v1
	s_delay_alu instid0(VALU_DEP_3) | instskip(NEXT) | instid1(VALU_DEP_3)
	v_dual_mul_f32 v1, v22, v1 :: v_dual_fmac_f32 v27, v11, v2
	v_dual_add_f32 v57, v8, v10 :: v_dual_mul_f32 v8, v23, v3
	s_delay_alu instid0(VALU_DEP_2) | instskip(NEXT) | instid1(VALU_DEP_3)
	v_dual_fma_f32 v10, v22, v0, -v26 :: v_dual_fmac_f32 v1, v23, v0
	v_add_f32_e32 v0, v68, v27
	s_delay_alu instid0(VALU_DEP_3) | instskip(NEXT) | instid1(VALU_DEP_3)
	v_dual_mul_f32 v3, v22, v3 :: v_dual_fma_f32 v8, v22, v2, -v8
	v_dual_add_f32 v22, v70, v10 :: v_dual_add_f32 v1, v9, v1
	s_wait_dscnt 0x1
	s_delay_alu instid0(VALU_DEP_2) | instskip(NEXT) | instid1(VALU_DEP_3)
	v_dual_mul_f32 v26, v5, v17 :: v_dual_fmac_f32 v3, v23, v2
	v_add_f32_e32 v2, v21, v8
	ds_load_2addr_b64 v[8:11], v81 offset0:224 offset1:240
	v_dual_mul_f32 v21, v4, v17 :: v_dual_fma_f32 v23, v4, v16, -v26
	v_add_f32_e32 v3, v25, v3
	v_dual_mul_f32 v25, v5, v19 :: v_dual_mul_f32 v26, v4, v19
	s_delay_alu instid0(VALU_DEP_3) | instskip(SKIP_1) | instid1(VALU_DEP_2)
	v_dual_fmac_f32 v21, v5, v16 :: v_dual_add_f32 v23, v24, v23
	s_wait_dscnt 0x1
	v_dual_mul_f32 v24, v13, v17 :: v_dual_fma_f32 v4, v4, v18, -v25
	s_delay_alu instid0(VALU_DEP_2) | instskip(NEXT) | instid1(VALU_DEP_2)
	v_dual_fmac_f32 v26, v5, v18 :: v_dual_add_f32 v20, v20, v21
	v_dual_mul_f32 v5, v12, v17 :: v_dual_fma_f32 v17, v12, v16, -v24
	s_delay_alu instid0(VALU_DEP_2) | instskip(NEXT) | instid1(VALU_DEP_4)
	v_dual_mul_f32 v21, v13, v19 :: v_dual_add_f32 v0, v0, v26
	v_add_f32_e32 v4, v57, v4
	s_delay_alu instid0(VALU_DEP_3) | instskip(NEXT) | instid1(VALU_DEP_3)
	v_dual_fmac_f32 v5, v13, v16 :: v_dual_add_f32 v16, v22, v17
	v_dual_mul_f32 v17, v12, v19 :: v_dual_fma_f32 v12, v12, v18, -v21
	s_wait_dscnt 0x0
	v_dual_mul_f32 v19, v7, v9 :: v_dual_mul_f32 v21, v6, v9
	s_delay_alu instid0(VALU_DEP_3) | instskip(NEXT) | instid1(VALU_DEP_3)
	v_add_f32_e32 v1, v1, v5
	v_dual_fmac_f32 v17, v13, v18 :: v_dual_add_f32 v5, v2, v12
	s_delay_alu instid0(VALU_DEP_3) | instskip(SKIP_1) | instid1(VALU_DEP_3)
	v_dual_fma_f32 v2, v6, v8, -v19 :: v_dual_fmac_f32 v21, v7, v8
	v_dual_mul_f32 v12, v7, v11 :: v_dual_mul_f32 v13, v6, v11
	v_add_f32_e32 v3, v3, v17
	s_delay_alu instid0(VALU_DEP_3) | instskip(NEXT) | instid1(VALU_DEP_3)
	v_dual_add_f32 v74, v23, v2 :: v_dual_add_f32 v76, v20, v21
	v_dual_fma_f32 v2, v6, v10, -v12 :: v_dual_fmac_f32 v13, v7, v10
	v_dual_mul_f32 v6, v15, v9 :: v_dual_mul_f32 v7, v14, v9
	v_dual_mul_f32 v9, v15, v11 :: v_dual_mul_f32 v11, v14, v11
	s_delay_alu instid0(VALU_DEP_2) | instskip(NEXT) | instid1(VALU_DEP_2)
	v_dual_add_f32 v2, v4, v2 :: v_dual_fma_f32 v6, v14, v8, -v6
	v_dual_fmac_f32 v7, v15, v8 :: v_dual_fma_f32 v8, v14, v10, -v9
	s_delay_alu instid0(VALU_DEP_3) | instskip(NEXT) | instid1(VALU_DEP_2)
	v_dual_fmac_f32 v11, v15, v10 :: v_dual_add_f32 v4, v0, v13
	v_dual_add_f32 v0, v16, v6 :: v_dual_add_f32 v72, v1, v7
	s_delay_alu instid0(VALU_DEP_2)
	v_dual_add_f32 v70, v5, v8 :: v_dual_add_f32 v68, v3, v11
	s_barrier_signal -1
	s_barrier_wait -1
	s_cbranch_scc1 .LBB75_55
.LBB75_10:                              ;   Parent Loop BB75_4 Depth=1
                                        ;     Parent Loop BB75_7 Depth=2
                                        ; =>    This Inner Loop Header: Depth=3
	v_add_nc_u64_e32 v[6:7], s[50:51], v[32:33]
	v_cmp_eq_u64_e64 s7, s[50:51], v[42:43]
	v_add_nc_u64_e32 v[8:9], v[64:65], v[44:45]
	s_delay_alu instid0(VALU_DEP_3) | instskip(SKIP_3) | instid1(SALU_CYCLE_1)
	v_cmp_le_i64_e64 s6, s[42:43], v[6:7]
	v_cmp_lt_i64_e64 s5, v[6:7], v[34:35]
	s_and_b32 s60, s56, s7
	s_or_b32 s7, s6, s5
	s_or_b32 s7, s7, s60
	s_delay_alu instid0(SALU_CYCLE_1) | instskip(NEXT) | instid1(SALU_CYCLE_1)
	s_nor_b32 s7, s0, s7
	s_and_saveexec_b32 s8, s7
	s_delay_alu instid0(SALU_CYCLE_1)
	s_xor_b32 s7, exec_lo, s8
	s_cbranch_execz .LBB75_12
; %bb.11:                               ;   in Loop: Header=BB75_10 Depth=3
	global_load_b64 v[10:11], v[8:9], off
	s_wait_loadcnt 0x0
	ds_store_b64 v75, v[10:11]
.LBB75_12:                              ;   in Loop: Header=BB75_10 Depth=3
	s_wait_xcnt 0x0
	s_or_saveexec_b32 s7, s7
	s_xor_b32 s59, s60, -1
	s_xor_b32 exec_lo, exec_lo, s7
	s_cbranch_execz .LBB75_18
; %bb.13:                               ;   in Loop: Header=BB75_10 Depth=3
	s_and_saveexec_b32 s8, s59
	s_delay_alu instid0(SALU_CYCLE_1)
	s_xor_b32 s8, exec_lo, s8
; %bb.14:                               ;   in Loop: Header=BB75_10 Depth=3
	ds_store_b64 v75, v[28:29]
; %bb.15:                               ;   in Loop: Header=BB75_10 Depth=3
	s_and_not1_saveexec_b32 s8, s8
; %bb.16:                               ;   in Loop: Header=BB75_10 Depth=3
	ds_store_b64 v75, v[30:31]
; %bb.17:                               ;   in Loop: Header=BB75_10 Depth=3
	s_or_b32 exec_lo, exec_lo, s8
.LBB75_18:                              ;   in Loop: Header=BB75_10 Depth=3
	s_delay_alu instid0(SALU_CYCLE_1) | instskip(SKIP_4) | instid1(SALU_CYCLE_1)
	s_or_b32 exec_lo, exec_lo, s7
	v_cmp_eq_u64_e64 s7, s[50:51], v[46:47]
	v_cmp_gt_i64_e64 s8, v[40:41], v[6:7]
	s_and_b32 s7, s56, s7
	s_or_b32 s6, s6, s8
	s_or_b32 s6, s6, s7
	s_delay_alu instid0(SALU_CYCLE_1) | instskip(NEXT) | instid1(SALU_CYCLE_1)
	s_nor_b32 s6, s3, s6
	s_and_saveexec_b32 s8, s6
	s_delay_alu instid0(SALU_CYCLE_1)
	s_xor_b32 s6, exec_lo, s8
	s_cbranch_execz .LBB75_20
; %bb.19:                               ;   in Loop: Header=BB75_10 Depth=3
	global_load_b64 v[8:9], v[8:9], off offset:128
	s_wait_loadcnt 0x0
	ds_store_b64 v75, v[8:9] offset:128
.LBB75_20:                              ;   in Loop: Header=BB75_10 Depth=3
	s_wait_xcnt 0x0
	s_and_not1_saveexec_b32 s6, s6
	s_cbranch_execz .LBB75_26
; %bb.21:                               ;   in Loop: Header=BB75_10 Depth=3
	s_xor_b32 s7, s7, -1
	s_delay_alu instid0(SALU_CYCLE_1) | instskip(NEXT) | instid1(SALU_CYCLE_1)
	s_and_saveexec_b32 s8, s7
	s_xor_b32 s7, exec_lo, s8
; %bb.22:                               ;   in Loop: Header=BB75_10 Depth=3
	ds_store_b64 v75, v[28:29] offset:128
; %bb.23:                               ;   in Loop: Header=BB75_10 Depth=3
	s_and_not1_saveexec_b32 s7, s7
; %bb.24:                               ;   in Loop: Header=BB75_10 Depth=3
	ds_store_b64 v75, v[30:31] offset:128
; %bb.25:                               ;   in Loop: Header=BB75_10 Depth=3
	s_or_b32 exec_lo, exec_lo, s7
.LBB75_26:                              ;   in Loop: Header=BB75_10 Depth=3
	s_delay_alu instid0(SALU_CYCLE_1) | instskip(SKIP_2) | instid1(VALU_DEP_2)
	s_or_b32 exec_lo, exec_lo, s6
	v_add_nc_u64_e32 v[6:7], 16, v[6:7]
	v_cmp_eq_u64_e64 s7, s[50:51], v[48:49]
	v_cmp_le_i64_e64 s6, s[42:43], v[6:7]
	v_cmp_lt_i64_e64 s8, v[6:7], v[34:35]
	v_add_nc_u64_e32 v[6:7], v[66:67], v[44:45]
	s_and_b32 s61, s56, s7
	s_or_b32 s7, s6, s8
	s_delay_alu instid0(SALU_CYCLE_1) | instskip(NEXT) | instid1(SALU_CYCLE_1)
	s_or_b32 s7, s7, s61
	s_nor_b32 s7, s0, s7
	s_delay_alu instid0(SALU_CYCLE_1) | instskip(NEXT) | instid1(SALU_CYCLE_1)
	s_and_saveexec_b32 s8, s7
	s_xor_b32 s7, exec_lo, s8
	s_cbranch_execz .LBB75_28
; %bb.27:                               ;   in Loop: Header=BB75_10 Depth=3
	global_load_b64 v[8:9], v[6:7], off
	s_wait_loadcnt 0x0
	ds_store_b64 v75, v[8:9] offset:4096
.LBB75_28:                              ;   in Loop: Header=BB75_10 Depth=3
	s_wait_xcnt 0x0
	s_and_not1_saveexec_b32 s7, s7
	s_cbranch_execz .LBB75_34
; %bb.29:                               ;   in Loop: Header=BB75_10 Depth=3
	s_xor_b32 s8, s61, -1
	s_delay_alu instid0(SALU_CYCLE_1) | instskip(NEXT) | instid1(SALU_CYCLE_1)
	s_and_saveexec_b32 s61, s8
	s_xor_b32 s8, exec_lo, s61
; %bb.30:                               ;   in Loop: Header=BB75_10 Depth=3
	ds_store_b64 v75, v[28:29] offset:4096
; %bb.31:                               ;   in Loop: Header=BB75_10 Depth=3
	s_and_not1_saveexec_b32 s8, s8
; %bb.32:                               ;   in Loop: Header=BB75_10 Depth=3
	ds_store_b64 v75, v[30:31] offset:4096
; %bb.33:                               ;   in Loop: Header=BB75_10 Depth=3
	s_or_b32 exec_lo, exec_lo, s8
.LBB75_34:                              ;   in Loop: Header=BB75_10 Depth=3
	s_delay_alu instid0(SALU_CYCLE_1) | instskip(SKIP_1) | instid1(SALU_CYCLE_1)
	s_or_b32 exec_lo, exec_lo, s7
	s_or_b32 s5, s6, s5
	s_or_b32 s5, s5, s60
	s_delay_alu instid0(SALU_CYCLE_1) | instskip(NEXT) | instid1(SALU_CYCLE_1)
	s_nor_b32 s5, s3, s5
	s_and_saveexec_b32 s6, s5
	s_delay_alu instid0(SALU_CYCLE_1)
	s_xor_b32 s5, exec_lo, s6
	s_cbranch_execz .LBB75_36
; %bb.35:                               ;   in Loop: Header=BB75_10 Depth=3
	global_load_b64 v[6:7], v[6:7], off offset:128
	s_wait_loadcnt 0x0
	ds_store_b64 v75, v[6:7] offset:4224
.LBB75_36:                              ;   in Loop: Header=BB75_10 Depth=3
	s_wait_xcnt 0x0
	s_and_not1_saveexec_b32 s5, s5
	s_cbranch_execz .LBB75_42
; %bb.37:                               ;   in Loop: Header=BB75_10 Depth=3
	s_and_saveexec_b32 s6, s59
	s_delay_alu instid0(SALU_CYCLE_1)
	s_xor_b32 s6, exec_lo, s6
; %bb.38:                               ;   in Loop: Header=BB75_10 Depth=3
	ds_store_b64 v75, v[28:29] offset:4224
; %bb.39:                               ;   in Loop: Header=BB75_10 Depth=3
	s_and_not1_saveexec_b32 s6, s6
; %bb.40:                               ;   in Loop: Header=BB75_10 Depth=3
	ds_store_b64 v75, v[30:31] offset:4224
; %bb.41:                               ;   in Loop: Header=BB75_10 Depth=3
	s_or_b32 exec_lo, exec_lo, s6
.LBB75_42:                              ;   in Loop: Header=BB75_10 Depth=3
	s_delay_alu instid0(SALU_CYCLE_1) | instskip(SKIP_3) | instid1(VALU_DEP_3)
	s_or_b32 exec_lo, exec_lo, s5
	v_add_nc_u64_e32 v[8:9], s[50:51], v[34:35]
	v_add_nc_u64_e32 v[6:7], v[60:61], v[44:45]
	v_dual_mov_b32 v10, 0 :: v_dual_mov_b32 v11, 0
	v_cmp_gt_i64_e64 s5, s[42:43], v[8:9]
	s_and_b32 s7, vcc_lo, s5
	s_delay_alu instid0(SALU_CYCLE_1)
	s_and_saveexec_b32 s6, s7
	s_cbranch_execz .LBB75_44
; %bb.43:                               ;   in Loop: Header=BB75_10 Depth=3
	global_load_b64 v[10:11], v[6:7], off
.LBB75_44:                              ;   in Loop: Header=BB75_10 Depth=3
	s_wait_xcnt 0x0
	s_or_b32 exec_lo, exec_lo, s6
	v_cmp_gt_i64_e64 s6, s[20:21], v[8:9]
	s_wait_loadcnt 0x0
	ds_store_b64 v78, v[10:11]
	s_and_b32 s7, vcc_lo, s6
	s_delay_alu instid0(SALU_CYCLE_1) | instskip(NEXT) | instid1(SALU_CYCLE_1)
	s_xor_b32 s7, s7, -1
	s_and_saveexec_b32 s8, s7
	s_delay_alu instid0(SALU_CYCLE_1)
	s_xor_b32 s7, exec_lo, s8
; %bb.45:                               ;   in Loop: Header=BB75_10 Depth=3
	ds_store_b64 v78, v[28:29] offset:128
                                        ; implicit-def: $vgpr6_vgpr7
; %bb.46:                               ;   in Loop: Header=BB75_10 Depth=3
	s_and_not1_saveexec_b32 s7, s7
	s_cbranch_execz .LBB75_48
; %bb.47:                               ;   in Loop: Header=BB75_10 Depth=3
	global_load_b64 v[6:7], v[6:7], off offset:128
	s_wait_loadcnt 0x0
	ds_store_b64 v78, v[6:7] offset:128
.LBB75_48:                              ;   in Loop: Header=BB75_10 Depth=3
	s_wait_xcnt 0x0
	s_or_b32 exec_lo, exec_lo, s7
	v_add_nc_u64_e32 v[6:7], v[62:63], v[44:45]
	v_dual_mov_b32 v8, 0 :: v_dual_mov_b32 v9, 0
	s_and_b32 s7, s4, s5
	s_delay_alu instid0(SALU_CYCLE_1)
	s_and_saveexec_b32 s5, s7
	s_cbranch_execz .LBB75_50
; %bb.49:                               ;   in Loop: Header=BB75_10 Depth=3
	global_load_b64 v[8:9], v[6:7], off
.LBB75_50:                              ;   in Loop: Header=BB75_10 Depth=3
	s_wait_xcnt 0x0
	s_or_b32 exec_lo, exec_lo, s5
	s_and_b32 s5, s4, s6
	s_wait_loadcnt 0x0
	ds_store_b64 v78, v[8:9] offset:4096
	s_xor_b32 s5, s5, -1
	s_delay_alu instid0(SALU_CYCLE_1) | instskip(NEXT) | instid1(SALU_CYCLE_1)
	s_and_saveexec_b32 s6, s5
	s_xor_b32 s5, exec_lo, s6
; %bb.51:                               ;   in Loop: Header=BB75_10 Depth=3
	ds_store_b64 v78, v[28:29] offset:4224
                                        ; implicit-def: $vgpr6_vgpr7
; %bb.52:                               ;   in Loop: Header=BB75_10 Depth=3
	s_and_not1_saveexec_b32 s5, s5
	s_cbranch_execz .LBB75_9
; %bb.53:                               ;   in Loop: Header=BB75_10 Depth=3
	global_load_b64 v[6:7], v[6:7], off offset:128
	s_wait_loadcnt 0x0
	ds_store_b64 v78, v[6:7] offset:4224
	s_branch .LBB75_9
.LBB75_54:                              ;   in Loop: Header=BB75_7 Depth=2
	v_dual_mov_b32 v74, 0 :: v_dual_mov_b32 v76, 0
	v_dual_mov_b32 v2, 0 :: v_dual_mov_b32 v4, 0
	;; [unrolled: 1-line block ×4, first 2 shown]
.LBB75_55:                              ;   in Loop: Header=BB75_7 Depth=2
	v_mul_u64_e32 v[6:7], s[24:25], v[58:59]
	v_cmp_gt_i32_e32 vcc_lo, s30, v58
	s_and_b32 s5, s1, vcc_lo
	s_delay_alu instid0(VALU_DEP_2)
	v_lshl_add_u64 v[6:7], v[6:7], 3, s[48:49]
	s_and_saveexec_b32 s4, s5
	s_cbranch_execz .LBB75_57
; %bb.56:                               ;   in Loop: Header=BB75_7 Depth=2
	s_delay_alu instid0(VALU_DEP_1) | instskip(SKIP_4) | instid1(VALU_DEP_1)
	v_lshl_add_u64 v[8:9], v[34:35], 3, v[6:7]
	v_mov_b64_e32 v[12:13], s[40:41]
	v_mov_b64_e32 v[14:15], s[36:37]
	global_load_b64 v[10:11], v[8:9], off
	v_pk_mul_f32 v[12:13], v[76:77], v[12:13] op_sel_hi:[0,1]
	v_pk_fma_f32 v[16:17], v[74:75], v[14:15], v[12:13] op_sel_hi:[0,1,1]
	v_pk_fma_f32 v[12:13], v[74:75], v[14:15], v[12:13] neg_lo:[0,0,1] neg_hi:[0,0,1]
	s_delay_alu instid0(VALU_DEP_2) | instskip(SKIP_1) | instid1(VALU_DEP_1)
	v_mov_b32_e32 v13, v17
	s_wait_loadcnt 0x0
	v_pk_add_f32 v[10:11], v[10:11], v[12:13]
	global_store_b64 v[8:9], v[10:11], off
.LBB75_57:                              ;   in Loop: Header=BB75_7 Depth=2
	s_wait_xcnt 0x0
	s_or_b32 exec_lo, exec_lo, s4
	s_and_b32 s5, s2, vcc_lo
	s_delay_alu instid0(SALU_CYCLE_1)
	s_and_saveexec_b32 s4, s5
	s_cbranch_execz .LBB75_59
; %bb.58:                               ;   in Loop: Header=BB75_7 Depth=2
	v_lshl_add_u64 v[6:7], v[38:39], 3, v[6:7]
	v_mov_b64_e32 v[10:11], s[40:41]
	global_load_b64 v[8:9], v[6:7], off
	v_pk_mul_f32 v[4:5], v[4:5], v[10:11] op_sel_hi:[0,1]
	v_mov_b64_e32 v[10:11], s[36:37]
	s_delay_alu instid0(VALU_DEP_1) | instskip(SKIP_1) | instid1(VALU_DEP_2)
	v_pk_fma_f32 v[12:13], v[2:3], v[10:11], v[4:5] op_sel_hi:[0,1,1]
	v_pk_fma_f32 v[2:3], v[2:3], v[10:11], v[4:5] neg_lo:[0,0,1] neg_hi:[0,0,1]
	v_mov_b32_e32 v3, v13
	s_wait_loadcnt 0x0
	s_delay_alu instid0(VALU_DEP_1)
	v_pk_add_f32 v[2:3], v[8:9], v[2:3]
	global_store_b64 v[6:7], v[2:3], off
.LBB75_59:                              ;   in Loop: Header=BB75_7 Depth=2
	s_wait_xcnt 0x0
	s_or_b32 exec_lo, exec_lo, s4
	v_add_nc_u32_e32 v2, 16, v58
	s_delay_alu instid0(VALU_DEP_1) | instskip(SKIP_1) | instid1(VALU_DEP_2)
	v_ashrrev_i32_e32 v3, 31, v2
	v_cmp_gt_i32_e32 vcc_lo, s30, v2
	v_mul_u64_e32 v[4:5], s[24:25], v[2:3]
	s_and_b32 s5, s1, vcc_lo
	s_delay_alu instid0(VALU_DEP_1)
	v_lshl_add_u64 v[2:3], v[4:5], 3, s[48:49]
	s_and_saveexec_b32 s4, s5
	s_cbranch_execz .LBB75_61
; %bb.60:                               ;   in Loop: Header=BB75_7 Depth=2
	s_delay_alu instid0(VALU_DEP_1) | instskip(SKIP_4) | instid1(VALU_DEP_1)
	v_lshl_add_u64 v[4:5], v[34:35], 3, v[2:3]
	v_mov_b64_e32 v[8:9], s[40:41]
	v_mov_b64_e32 v[10:11], s[36:37]
	global_load_b64 v[6:7], v[4:5], off
	v_pk_mul_f32 v[8:9], v[72:73], v[8:9] op_sel_hi:[0,1]
	v_pk_fma_f32 v[12:13], v[0:1], v[10:11], v[8:9] op_sel_hi:[0,1,1]
	v_pk_fma_f32 v[0:1], v[0:1], v[10:11], v[8:9] neg_lo:[0,0,1] neg_hi:[0,0,1]
	s_delay_alu instid0(VALU_DEP_2) | instskip(SKIP_1) | instid1(VALU_DEP_1)
	v_mov_b32_e32 v1, v13
	s_wait_loadcnt 0x0
	v_pk_add_f32 v[0:1], v[6:7], v[0:1]
	global_store_b64 v[4:5], v[0:1], off
.LBB75_61:                              ;   in Loop: Header=BB75_7 Depth=2
	s_wait_xcnt 0x0
	s_or_b32 exec_lo, exec_lo, s4
	s_and_b32 s5, s2, vcc_lo
	s_delay_alu instid0(SALU_CYCLE_1)
	s_and_saveexec_b32 s4, s5
	s_cbranch_execz .LBB75_6
; %bb.62:                               ;   in Loop: Header=BB75_7 Depth=2
	v_lshl_add_u64 v[0:1], v[38:39], 3, v[2:3]
	v_mov_b64_e32 v[4:5], s[40:41]
	v_mov_b64_e32 v[6:7], s[36:37]
	global_load_b64 v[2:3], v[0:1], off
	v_pk_mul_f32 v[4:5], v[68:69], v[4:5] op_sel_hi:[0,1]
	s_delay_alu instid0(VALU_DEP_1) | instskip(SKIP_1) | instid1(VALU_DEP_2)
	v_pk_fma_f32 v[8:9], v[70:71], v[6:7], v[4:5] op_sel_hi:[0,1,1]
	v_pk_fma_f32 v[4:5], v[70:71], v[6:7], v[4:5] neg_lo:[0,0,1] neg_hi:[0,0,1]
	v_mov_b32_e32 v5, v9
	s_wait_loadcnt 0x0
	s_delay_alu instid0(VALU_DEP_1)
	v_pk_add_f32 v[2:3], v[2:3], v[4:5]
	global_store_b64 v[0:1], v[2:3], off
	s_branch .LBB75_6
.LBB75_63:
	s_sendmsg sendmsg(MSG_DEALLOC_VGPRS)
	s_endpgm
	.section	.rodata,"a",@progbits
	.p2align	6, 0x0
	.amdhsa_kernel _ZL30rocblas_trmm_outofplace_kernelI19rocblas_complex_numIfELi32ELi2ELb1ELb1ELb0ELb0ES1_KS1_S1_Ev17rocblas_diagonal_iiT6_lPT7_lllS6_lllPT8_llli
		.amdhsa_group_segment_fixed_size 16384
		.amdhsa_private_segment_fixed_size 0
		.amdhsa_kernarg_size 392
		.amdhsa_user_sgpr_count 2
		.amdhsa_user_sgpr_dispatch_ptr 0
		.amdhsa_user_sgpr_queue_ptr 0
		.amdhsa_user_sgpr_kernarg_segment_ptr 1
		.amdhsa_user_sgpr_dispatch_id 0
		.amdhsa_user_sgpr_kernarg_preload_length 0
		.amdhsa_user_sgpr_kernarg_preload_offset 0
		.amdhsa_user_sgpr_private_segment_size 0
		.amdhsa_wavefront_size32 1
		.amdhsa_uses_dynamic_stack 0
		.amdhsa_enable_private_segment 0
		.amdhsa_system_sgpr_workgroup_id_x 1
		.amdhsa_system_sgpr_workgroup_id_y 1
		.amdhsa_system_sgpr_workgroup_id_z 1
		.amdhsa_system_sgpr_workgroup_info 0
		.amdhsa_system_vgpr_workitem_id 1
		.amdhsa_next_free_vgpr 88
		.amdhsa_next_free_sgpr 62
		.amdhsa_named_barrier_count 0
		.amdhsa_reserve_vcc 1
		.amdhsa_float_round_mode_32 0
		.amdhsa_float_round_mode_16_64 0
		.amdhsa_float_denorm_mode_32 3
		.amdhsa_float_denorm_mode_16_64 3
		.amdhsa_fp16_overflow 0
		.amdhsa_memory_ordered 1
		.amdhsa_forward_progress 1
		.amdhsa_inst_pref_size 59
		.amdhsa_round_robin_scheduling 0
		.amdhsa_exception_fp_ieee_invalid_op 0
		.amdhsa_exception_fp_denorm_src 0
		.amdhsa_exception_fp_ieee_div_zero 0
		.amdhsa_exception_fp_ieee_overflow 0
		.amdhsa_exception_fp_ieee_underflow 0
		.amdhsa_exception_fp_ieee_inexact 0
		.amdhsa_exception_int_div_zero 0
	.end_amdhsa_kernel
	.section	.text._ZL30rocblas_trmm_outofplace_kernelI19rocblas_complex_numIfELi32ELi2ELb1ELb1ELb0ELb0ES1_KS1_S1_Ev17rocblas_diagonal_iiT6_lPT7_lllS6_lllPT8_llli,"axG",@progbits,_ZL30rocblas_trmm_outofplace_kernelI19rocblas_complex_numIfELi32ELi2ELb1ELb1ELb0ELb0ES1_KS1_S1_Ev17rocblas_diagonal_iiT6_lPT7_lllS6_lllPT8_llli,comdat
.Lfunc_end75:
	.size	_ZL30rocblas_trmm_outofplace_kernelI19rocblas_complex_numIfELi32ELi2ELb1ELb1ELb0ELb0ES1_KS1_S1_Ev17rocblas_diagonal_iiT6_lPT7_lllS6_lllPT8_llli, .Lfunc_end75-_ZL30rocblas_trmm_outofplace_kernelI19rocblas_complex_numIfELi32ELi2ELb1ELb1ELb0ELb0ES1_KS1_S1_Ev17rocblas_diagonal_iiT6_lPT7_lllS6_lllPT8_llli
                                        ; -- End function
	.set _ZL30rocblas_trmm_outofplace_kernelI19rocblas_complex_numIfELi32ELi2ELb1ELb1ELb0ELb0ES1_KS1_S1_Ev17rocblas_diagonal_iiT6_lPT7_lllS6_lllPT8_llli.num_vgpr, 88
	.set _ZL30rocblas_trmm_outofplace_kernelI19rocblas_complex_numIfELi32ELi2ELb1ELb1ELb0ELb0ES1_KS1_S1_Ev17rocblas_diagonal_iiT6_lPT7_lllS6_lllPT8_llli.num_agpr, 0
	.set _ZL30rocblas_trmm_outofplace_kernelI19rocblas_complex_numIfELi32ELi2ELb1ELb1ELb0ELb0ES1_KS1_S1_Ev17rocblas_diagonal_iiT6_lPT7_lllS6_lllPT8_llli.numbered_sgpr, 62
	.set _ZL30rocblas_trmm_outofplace_kernelI19rocblas_complex_numIfELi32ELi2ELb1ELb1ELb0ELb0ES1_KS1_S1_Ev17rocblas_diagonal_iiT6_lPT7_lllS6_lllPT8_llli.num_named_barrier, 0
	.set _ZL30rocblas_trmm_outofplace_kernelI19rocblas_complex_numIfELi32ELi2ELb1ELb1ELb0ELb0ES1_KS1_S1_Ev17rocblas_diagonal_iiT6_lPT7_lllS6_lllPT8_llli.private_seg_size, 0
	.set _ZL30rocblas_trmm_outofplace_kernelI19rocblas_complex_numIfELi32ELi2ELb1ELb1ELb0ELb0ES1_KS1_S1_Ev17rocblas_diagonal_iiT6_lPT7_lllS6_lllPT8_llli.uses_vcc, 1
	.set _ZL30rocblas_trmm_outofplace_kernelI19rocblas_complex_numIfELi32ELi2ELb1ELb1ELb0ELb0ES1_KS1_S1_Ev17rocblas_diagonal_iiT6_lPT7_lllS6_lllPT8_llli.uses_flat_scratch, 0
	.set _ZL30rocblas_trmm_outofplace_kernelI19rocblas_complex_numIfELi32ELi2ELb1ELb1ELb0ELb0ES1_KS1_S1_Ev17rocblas_diagonal_iiT6_lPT7_lllS6_lllPT8_llli.has_dyn_sized_stack, 0
	.set _ZL30rocblas_trmm_outofplace_kernelI19rocblas_complex_numIfELi32ELi2ELb1ELb1ELb0ELb0ES1_KS1_S1_Ev17rocblas_diagonal_iiT6_lPT7_lllS6_lllPT8_llli.has_recursion, 0
	.set _ZL30rocblas_trmm_outofplace_kernelI19rocblas_complex_numIfELi32ELi2ELb1ELb1ELb0ELb0ES1_KS1_S1_Ev17rocblas_diagonal_iiT6_lPT7_lllS6_lllPT8_llli.has_indirect_call, 0
	.section	.AMDGPU.csdata,"",@progbits
; Kernel info:
; codeLenInByte = 7464
; TotalNumSgprs: 64
; NumVgprs: 88
; ScratchSize: 0
; MemoryBound: 1
; FloatMode: 240
; IeeeMode: 1
; LDSByteSize: 16384 bytes/workgroup (compile time only)
; SGPRBlocks: 0
; VGPRBlocks: 5
; NumSGPRsForWavesPerEU: 64
; NumVGPRsForWavesPerEU: 88
; NamedBarCnt: 0
; Occupancy: 10
; WaveLimiterHint : 0
; COMPUTE_PGM_RSRC2:SCRATCH_EN: 0
; COMPUTE_PGM_RSRC2:USER_SGPR: 2
; COMPUTE_PGM_RSRC2:TRAP_HANDLER: 0
; COMPUTE_PGM_RSRC2:TGID_X_EN: 1
; COMPUTE_PGM_RSRC2:TGID_Y_EN: 1
; COMPUTE_PGM_RSRC2:TGID_Z_EN: 1
; COMPUTE_PGM_RSRC2:TIDIG_COMP_CNT: 1
	.section	.text._ZL30rocblas_trmm_outofplace_kernelI19rocblas_complex_numIfELi32ELi2ELb1ELb0ELb1ELb0EPKS1_S2_S1_Ev17rocblas_diagonal_iiT6_lPT7_lllS7_lllPT8_llli,"axG",@progbits,_ZL30rocblas_trmm_outofplace_kernelI19rocblas_complex_numIfELi32ELi2ELb1ELb0ELb1ELb0EPKS1_S2_S1_Ev17rocblas_diagonal_iiT6_lPT7_lllS7_lllPT8_llli,comdat
	.globl	_ZL30rocblas_trmm_outofplace_kernelI19rocblas_complex_numIfELi32ELi2ELb1ELb0ELb1ELb0EPKS1_S2_S1_Ev17rocblas_diagonal_iiT6_lPT7_lllS7_lllPT8_llli ; -- Begin function _ZL30rocblas_trmm_outofplace_kernelI19rocblas_complex_numIfELi32ELi2ELb1ELb0ELb1ELb0EPKS1_S2_S1_Ev17rocblas_diagonal_iiT6_lPT7_lllS7_lllPT8_llli
	.p2align	8
	.type	_ZL30rocblas_trmm_outofplace_kernelI19rocblas_complex_numIfELi32ELi2ELb1ELb0ELb1ELb0EPKS1_S2_S1_Ev17rocblas_diagonal_iiT6_lPT7_lllS7_lllPT8_llli,@function
_ZL30rocblas_trmm_outofplace_kernelI19rocblas_complex_numIfELi32ELi2ELb1ELb0ELb1ELb0EPKS1_S2_S1_Ev17rocblas_diagonal_iiT6_lPT7_lllS7_lllPT8_llli: ; @_ZL30rocblas_trmm_outofplace_kernelI19rocblas_complex_numIfELi32ELi2ELb1ELb0ELb1ELb0EPKS1_S2_S1_Ev17rocblas_diagonal_iiT6_lPT7_lllS7_lllPT8_llli
; %bb.0:
	s_load_b32 s11, s[0:1], 0x80
	s_bfe_u32 s2, ttmp6, 0x40014
	s_lshr_b32 s3, ttmp7, 16
	s_add_co_i32 s2, s2, 1
	s_bfe_u32 s5, ttmp6, 0x40008
	s_mul_i32 s2, s3, s2
	s_getreg_b32 s4, hwreg(HW_REG_IB_STS2, 6, 4)
	s_add_co_i32 s5, s5, s2
	s_cmp_eq_u32 s4, 0
	s_mov_b32 s35, 0
	s_cselect_b32 s34, s3, s5
	s_wait_kmcnt 0x0
	s_cmp_ge_u32 s34, s11
	s_cbranch_scc1 .LBB76_64
; %bb.1:
	s_clause 0x1
	s_load_b96 s[8:10], s[0:1], 0x0
	s_load_b256 s[36:43], s[0:1], 0x50
	s_bfe_u32 s3, ttmp6, 0x4000c
	s_and_b32 s2, ttmp6, 15
	s_add_co_i32 s3, s3, 1
	s_bfe_u32 s6, ttmp6, 0x40010
	s_mul_i32 s3, ttmp9, s3
	s_and_b32 s5, ttmp7, 0xffff
	s_add_co_i32 s6, s6, 1
	s_add_co_i32 s14, s2, s3
	s_bfe_u32 s7, ttmp6, 0x40004
	s_mul_i32 s6, s5, s6
	v_and_b32_e32 v8, 0x3ff, v0
	s_add_co_i32 s7, s7, s6
	v_bfe_u32 v61, v0, 10, 10
	s_load_b128 s[28:31], s[0:1], 0x70
	v_mov_b64_e32 v[22:23], 0
	v_mov_b64_e32 v[24:25], 0x3f800000
	s_delay_alu instid0(VALU_DEP_3) | instskip(SKIP_4) | instid1(SALU_CYCLE_1)
	v_lshlrev_b32_e32 v9, 8, v61
	s_wait_kmcnt 0x0
	s_add_co_i32 s12, s10, -1
	s_mov_b32 s44, s10
	s_ashr_i32 s13, s12, 31
	s_lshr_b32 s2, s13, 27
	v_add_nc_u32_e32 v65, 0x2000, v9
	s_add_co_i32 s12, s12, s2
	s_lshl_b64 s[2:3], s[42:43], 3
	s_ashr_i32 s33, s12, 5
	s_cmp_eq_u32 s4, 0
	s_add_nc_u64 s[40:41], s[40:41], s[2:3]
	s_cselect_b32 s48, s5, s7
	s_cselect_b32 s4, ttmp9, s14
	s_cmp_le_i32 s48, s33
	s_load_b512 s[12:27], s[0:1], 0x10
	s_cselect_b32 s49, -1, 0
	s_lshl_b32 s6, s4, 5
	s_delay_alu instid0(SALU_CYCLE_1) | instskip(SKIP_3) | instid1(VALU_DEP_2)
	v_dual_lshlrev_b32 v63, 3, v8 :: v_dual_add_nc_u32 v26, s6, v61
	v_add_nc_u32_e32 v20, s6, v8
	s_sub_co_i32 s50, s9, s6
	s_mov_b32 s42, s9
	v_add_nc_u32_e32 v67, v63, v9
	s_cmp_gt_i32 s50, 0
	v_ashrrev_i32_e32 v21, 31, v20
	s_cselect_b32 s51, -1, 0
	s_cmp_eq_u32 s8, 0x84
	v_dual_add_nc_u32 v69, v65, v63 :: v_dual_ashrrev_i32 v27, 31, v26
	s_delay_alu instid0(VALU_DEP_2)
	v_lshlrev_b64_e32 v[2:3], 3, v[20:21]
	s_cselect_b32 s52, -1, 0
	v_add_nc_u64_e32 v[30:31], 16, v[20:21]
	v_add_nc_u32_e32 v28, 16, v20
	v_sub_nc_u64_e32 v[32:33], v[20:21], v[26:27]
	s_wait_kmcnt 0x0
	v_mul_u64_e32 v[4:5], s[20:21], v[20:21]
	s_lshl_b64 s[4:5], s[18:19], 3
	v_add_nc_u64_e32 v[0:1], 0x80, v[2:3]
	s_lshl_b64 s[2:3], s[26:27], 3
	s_ashr_i32 s43, s9, 31
	s_add_nc_u64 s[18:19], s[0:1], 0x88
	v_add_nc_u64_e32 v[34:35], -16, v[32:33]
	v_cmp_le_i32_e64 s0, s9, v20
	v_cmp_gt_i32_e64 s1, s9, v20
	v_mad_nc_u64_u32 v[6:7], s20, v0, s[4:5]
	v_ashrrev_i32_e32 v29, 31, v28
	v_add_nc_u32_e32 v71, 0x800, v63
	v_add_nc_u32_e32 v72, 0x1000, v63
	v_add_nc_u32_e32 v73, 0x1800, v63
	s_ashr_i32 s45, s10, 31
	s_lshl_b64 s[22:23], s[22:23], 3
	v_mad_u32 v0, s21, v0, v7
	s_delay_alu instid0(VALU_DEP_1)
	v_mad_u32 v7, s20, v1, v0
	v_lshlrev_b64_e32 v[0:1], 3, v[26:27]
	v_lshl_add_u64 v[4:5], v[4:5], 3, s[4:5]
	s_add_nc_u64 s[4:5], s[24:25], s[2:3]
	v_cmp_le_i64_e64 s3, s[42:43], v[30:31]
	v_add_nc_u64_e32 v[36:37], s[4:5], v[2:3]
	v_cmp_gt_i32_e64 s2, s9, v28
	s_add_nc_u64 s[20:21], s[42:43], -16
	v_add_nc_u64_e32 v[4:5], v[4:5], v[0:1]
	s_lshl_b64 s[24:25], s[36:37], 3
	v_add_nc_u64_e32 v[0:1], v[6:7], v[0:1]
	s_delay_alu instid0(VALU_DEP_2) | instskip(NEXT) | instid1(VALU_DEP_2)
	v_add_nc_u64_e32 v[38:39], s[16:17], v[4:5]
	v_add_nc_u64_e32 v[40:41], s[16:17], v[0:1]
	s_lshl_b64 s[16:17], s[38:39], 3
	s_branch .LBB76_4
.LBB76_2:                               ;   in Loop: Header=BB76_4 Depth=1
	s_add_co_i32 s34, s34, 0x10000
	s_delay_alu instid0(SALU_CYCLE_1)
	s_cmp_ge_u32 s34, s11
	s_cselect_b32 s4, -1, 0
.LBB76_3:                               ;   in Loop: Header=BB76_4 Depth=1
	s_delay_alu instid0(SALU_CYCLE_1)
	s_and_b32 vcc_lo, exec_lo, s4
	s_cbranch_vccnz .LBB76_64
.LBB76_4:                               ; =>This Loop Header: Depth=1
                                        ;     Child Loop BB76_8 Depth 2
                                        ;       Child Loop BB76_11 Depth 3
	s_mul_u64 s[4:5], s[14:15], s[34:35]
	v_mov_b32_e32 v0, 0
	s_lshl_b64 s[4:5], s[4:5], 3
	s_delay_alu instid0(SALU_CYCLE_1)
	s_add_nc_u64 s[4:5], s[12:13], s[4:5]
	global_load_b64 v[42:43], v0, s[4:5]
	s_wait_xcnt 0x0
	s_mov_b32 s4, -1
	s_wait_loadcnt 0x0
	v_or_b32_e32 v0, v42, v43
	s_delay_alu instid0(VALU_DEP_1) | instskip(NEXT) | instid1(VALU_DEP_1)
	v_and_b32_e32 v0, 0x7fffffff, v0
	v_cmp_eq_u32_e32 vcc_lo, 0, v0
	s_cbranch_vccnz .LBB76_3
; %bb.5:                                ;   in Loop: Header=BB76_4 Depth=1
	s_and_not1_b32 vcc_lo, exec_lo, s49
	s_cbranch_vccnz .LBB76_2
; %bb.6:                                ;   in Loop: Header=BB76_4 Depth=1
	s_load_b32 s9, s[18:19], 0x4
	v_mad_nc_u64_u32 v[44:45], s16, s34, v[36:37]
	v_mad_nc_u64_u32 v[46:47], s22, s34, v[40:41]
	;; [unrolled: 1-line block ×3, first 2 shown]
	s_mul_i32 s6, s23, s34
	s_mul_u64 s[4:5], s[30:31], s[34:35]
	v_lshl_add_u32 v52, s48, 5, v61
	v_dual_mov_b32 v50, v43 :: v_dual_mov_b32 v51, v42
	s_lshl_b64 s[4:5], s[4:5], 3
	s_mov_b32 s54, s48
	s_add_nc_u64 s[26:27], s[40:41], s[4:5]
	v_mad_u32 v45, s17, s34, v45
	s_delay_alu instid0(VALU_DEP_4)
	v_dual_add_nc_u32 v47, s6, v47 :: v_dual_add_nc_u32 v49, s6, v49
	s_wait_kmcnt 0x0
	s_lshl_b32 s53, s9, 5
	s_branch .LBB76_8
.LBB76_7:                               ;   in Loop: Header=BB76_8 Depth=2
	s_wait_xcnt 0x0
	s_or_b32 exec_lo, exec_lo, s4
	v_add_nc_u32_e32 v52, s53, v52
	s_add_co_i32 s54, s9, s54
	s_delay_alu instid0(SALU_CYCLE_1)
	s_cmp_gt_i32 s54, s33
	s_cbranch_scc1 .LBB76_2
.LBB76_8:                               ;   Parent Loop BB76_4 Depth=1
                                        ; =>  This Loop Header: Depth=2
                                        ;       Child Loop BB76_11 Depth 3
	v_lshl_add_u32 v54, s54, 5, v61
	s_and_not1_b32 vcc_lo, exec_lo, s51
	s_delay_alu instid0(VALU_DEP_1)
	v_ashrrev_i32_e32 v55, 31, v54
	s_cbranch_vccnz .LBB76_55
; %bb.9:                                ;   in Loop: Header=BB76_8 Depth=2
	v_dual_mov_b32 v16, 0 :: v_dual_ashrrev_i32 v53, 31, v52
	v_mad_nc_u64_u32 v[56:57], s24, v52, v[44:45]
	s_delay_alu instid0(VALU_DEP_3) | instskip(SKIP_1) | instid1(VALU_DEP_4)
	v_sub_nc_u64_e32 v[2:3], s[44:45], v[54:55]
	v_dual_mov_b32 v18, 0 :: v_dual_mov_b32 v62, 0
	v_lshl_add_u64 v[0:1], v[52:53], 3, 0x80
	v_dual_mov_b32 v60, 0 :: v_dual_mov_b32 v66, 0
	v_dual_mov_b32 v64, 0 :: v_dual_mov_b32 v70, 0
	s_delay_alu instid0(VALU_DEP_3)
	v_mad_nc_u64_u32 v[58:59], s36, v0, v[44:45]
	v_cmp_lt_i64_e64 s4, 16, v[2:3]
	v_mad_u32 v4, s25, v52, v57
	v_mov_b32_e32 v68, 0
	s_mov_b64 s[38:39], 0
	s_mov_b64 s[46:47], 0
	v_cmp_lt_i64_e32 vcc_lo, 0, v[2:3]
	v_mad_u32 v0, s37, v0, v59
	s_delay_alu instid0(VALU_DEP_4) | instskip(NEXT) | instid1(VALU_DEP_2)
	v_mad_u32 v57, s24, v53, v4
	v_mad_u32 v59, s36, v1, v0
	s_branch .LBB76_11
.LBB76_10:                              ;   in Loop: Header=BB76_11 Depth=3
	s_wait_xcnt 0x0
	s_or_b32 exec_lo, exec_lo, s5
	s_wait_dscnt 0x0
	s_barrier_signal -1
	s_barrier_wait -1
	ds_load_b128 v[74:77], v65
	ds_load_2addr_b64 v[78:81], v63 offset1:16
	ds_load_b128 v[82:85], v65 offset:4096
	ds_load_b128 v[8:11], v65 offset:16
	;; [unrolled: 1-line block ×4, first 2 shown]
	ds_load_2addr_b64 v[86:89], v63 offset0:32 offset1:48
	ds_load_b128 v[12:15], v65 offset:4112
	s_add_nc_u64 s[46:47], s[46:47], 32
	s_add_nc_u64 s[38:39], s[38:39], 0x100
	s_cmp_ge_i32 s46, s50
	s_wait_dscnt 0x6
	v_dual_mul_f32 v17, v75, v79 :: v_dual_mul_f32 v19, v74, v79
	v_dual_mul_f32 v53, v75, v81 :: v_dual_mul_f32 v90, v74, v81
	s_wait_dscnt 0x5
	v_dual_mul_f32 v91, v83, v79 :: v_dual_mul_f32 v79, v82, v79
	v_dual_mul_f32 v92, v83, v81 :: v_dual_mul_f32 v93, v82, v81
	v_dual_fma_f32 v17, v74, v78, -v17 :: v_dual_fmac_f32 v19, v75, v78
	v_dual_fma_f32 v53, v74, v80, -v53 :: v_dual_fmac_f32 v90, v75, v80
	s_delay_alu instid0(VALU_DEP_3) | instskip(NEXT) | instid1(VALU_DEP_3)
	v_dual_fma_f32 v74, v82, v78, -v91 :: v_dual_fma_f32 v75, v82, v80, -v92
	v_dual_fmac_f32 v79, v83, v78 :: v_dual_add_f32 v17, v68, v17
	s_delay_alu instid0(VALU_DEP_3) | instskip(SKIP_2) | instid1(VALU_DEP_3)
	v_dual_add_f32 v19, v70, v19 :: v_dual_add_f32 v53, v64, v53
	s_wait_dscnt 0x1
	v_dual_add_f32 v64, v66, v90 :: v_dual_mul_f32 v66, v77, v87
	v_dual_add_f32 v60, v60, v74 :: v_dual_add_f32 v62, v62, v79
	v_dual_fmac_f32 v93, v83, v80 :: v_dual_add_f32 v18, v18, v75
	ds_load_2addr_b64 v[78:81], v63 offset0:64 offset1:80
	v_dual_mul_f32 v68, v76, v87 :: v_dual_fma_f32 v66, v76, v86, -v66
	v_mul_f32_e32 v70, v77, v89
	v_add_f32_e32 v74, v16, v93
	s_delay_alu instid0(VALU_DEP_3) | instskip(NEXT) | instid1(VALU_DEP_4)
	v_dual_mul_f32 v75, v84, v89 :: v_dual_fmac_f32 v68, v77, v86
	v_dual_mul_f32 v16, v76, v89 :: v_dual_add_f32 v66, v17, v66
	s_delay_alu instid0(VALU_DEP_4) | instskip(NEXT) | instid1(VALU_DEP_3)
	v_dual_fma_f32 v17, v76, v88, -v70 :: v_dual_mul_f32 v70, v85, v87
	v_add_f32_e32 v68, v19, v68
	s_delay_alu instid0(VALU_DEP_3) | instskip(NEXT) | instid1(VALU_DEP_3)
	v_dual_fmac_f32 v16, v77, v88 :: v_dual_mul_f32 v19, v84, v87
	v_dual_add_f32 v53, v53, v17 :: v_dual_fma_f32 v17, v84, v86, -v70
	s_delay_alu instid0(VALU_DEP_2) | instskip(NEXT) | instid1(VALU_DEP_3)
	v_dual_mul_f32 v70, v85, v89 :: v_dual_add_f32 v64, v64, v16
	v_fmac_f32_e32 v19, v85, v86
	s_delay_alu instid0(VALU_DEP_3) | instskip(SKIP_1) | instid1(VALU_DEP_3)
	v_dual_fmac_f32 v75, v85, v88 :: v_dual_add_f32 v60, v60, v17
	s_wait_dscnt 0x0
	v_dual_mul_f32 v17, v9, v79 :: v_dual_fma_f32 v16, v84, v88, -v70
	s_delay_alu instid0(VALU_DEP_3) | instskip(SKIP_1) | instid1(VALU_DEP_3)
	v_add_f32_e32 v62, v62, v19
	v_dual_mul_f32 v70, v8, v79 :: v_dual_mul_f32 v82, v9, v81
	v_dual_fma_f32 v77, v8, v78, -v17 :: v_dual_add_f32 v76, v18, v16
	ds_load_2addr_b64 v[16:19], v63 offset0:96 offset1:112
	v_dual_fmac_f32 v70, v9, v78 :: v_dual_add_f32 v83, v74, v75
	v_mul_f32_e32 v74, v8, v81
	v_dual_add_f32 v66, v66, v77 :: v_dual_fma_f32 v8, v8, v80, -v82
	s_delay_alu instid0(VALU_DEP_3) | instskip(NEXT) | instid1(VALU_DEP_3)
	v_dual_add_f32 v68, v68, v70 :: v_dual_mul_f32 v70, v13, v79
	v_dual_mul_f32 v75, v12, v79 :: v_dual_fmac_f32 v74, v9, v80
	v_mul_f32_e32 v9, v13, v81
	s_delay_alu instid0(VALU_DEP_3) | instskip(NEXT) | instid1(VALU_DEP_3)
	v_dual_add_f32 v8, v53, v8 :: v_dual_fma_f32 v53, v12, v78, -v70
	v_dual_fmac_f32 v75, v13, v78 :: v_dual_mul_f32 v70, v12, v81
	s_delay_alu instid0(VALU_DEP_3) | instskip(SKIP_1) | instid1(VALU_DEP_3)
	v_fma_f32 v9, v12, v80, -v9
	v_add_f32_e32 v64, v64, v74
	v_dual_add_f32 v12, v60, v53 :: v_dual_add_f32 v53, v62, v75
	s_wait_dscnt 0x0
	v_dual_fmac_f32 v70, v13, v80 :: v_dual_mul_f32 v13, v11, v17
	v_mul_f32_e32 v60, v10, v17
	v_dual_add_f32 v9, v76, v9 :: v_dual_mul_f32 v62, v11, v19
	ds_load_2addr_b64 v[74:77], v63 offset0:128 offset1:144
	v_dual_fma_f32 v13, v10, v16, -v13 :: v_dual_add_f32 v70, v83, v70
	v_dual_mul_f32 v78, v10, v19 :: v_dual_fmac_f32 v60, v11, v16
	v_fma_f32 v10, v10, v18, -v62
	s_delay_alu instid0(VALU_DEP_3) | instskip(SKIP_1) | instid1(VALU_DEP_4)
	v_add_f32_e32 v62, v66, v13
	v_mul_f32_e32 v13, v15, v17
	v_dual_fmac_f32 v78, v11, v18 :: v_dual_add_f32 v11, v68, v60
	s_delay_alu instid0(VALU_DEP_4) | instskip(NEXT) | instid1(VALU_DEP_2)
	v_dual_add_f32 v60, v8, v10 :: v_dual_mul_f32 v8, v14, v17
	v_dual_fma_f32 v10, v14, v16, -v13 :: v_dual_add_f32 v17, v64, v78
	v_mul_f32_e32 v13, v15, v19
	ds_load_b128 v[78:81], v65 offset:4128
	v_dual_fmac_f32 v8, v15, v16 :: v_dual_add_f32 v16, v12, v10
	v_dual_mul_f32 v10, v14, v19 :: v_dual_fma_f32 v12, v14, v18, -v13
	s_wait_dscnt 0x1
	v_mul_f32_e32 v13, v5, v75
	s_delay_alu instid0(VALU_DEP_3) | instskip(NEXT) | instid1(VALU_DEP_3)
	v_dual_add_f32 v19, v53, v8 :: v_dual_mul_f32 v8, v4, v75
	v_dual_fmac_f32 v10, v15, v18 :: v_dual_add_f32 v18, v9, v12
	s_delay_alu instid0(VALU_DEP_3) | instskip(SKIP_3) | instid1(VALU_DEP_2)
	v_fma_f32 v9, v4, v74, -v13
	ds_load_2addr_b64 v[12:15], v63 offset0:160 offset1:176
	v_dual_fmac_f32 v8, v5, v74 :: v_dual_mul_f32 v53, v5, v77
	v_dual_add_f32 v64, v70, v10 :: v_dual_mul_f32 v66, v4, v77
	v_dual_add_f32 v62, v62, v9 :: v_dual_add_f32 v68, v11, v8
	ds_load_b128 v[8:11], v65 offset:4144
	s_wait_dscnt 0x2
	v_dual_fma_f32 v4, v4, v76, -v53 :: v_dual_mul_f32 v53, v79, v75
	v_dual_fmac_f32 v66, v5, v76 :: v_dual_mul_f32 v5, v78, v75
	s_delay_alu instid0(VALU_DEP_2) | instskip(NEXT) | instid1(VALU_DEP_3)
	v_dual_add_f32 v4, v60, v4 :: v_dual_mul_f32 v60, v79, v77
	v_fma_f32 v53, v78, v74, -v53
	s_delay_alu instid0(VALU_DEP_3) | instskip(NEXT) | instid1(VALU_DEP_3)
	v_dual_add_f32 v17, v17, v66 :: v_dual_mul_f32 v66, v78, v77
	v_dual_fmac_f32 v5, v79, v74 :: v_dual_fma_f32 v60, v78, v76, -v60
	s_delay_alu instid0(VALU_DEP_3)
	v_add_f32_e32 v16, v16, v53
	s_wait_dscnt 0x1
	v_mul_f32_e32 v53, v7, v13
	v_fmac_f32_e32 v66, v79, v76
	ds_load_2addr_b64 v[74:77], v63 offset0:192 offset1:208
	v_dual_add_f32 v60, v18, v60 :: v_dual_add_f32 v5, v19, v5
	v_dual_fma_f32 v19, v6, v12, -v53 :: v_dual_mul_f32 v18, v6, v13
	v_dual_mul_f32 v53, v7, v15 :: v_dual_add_f32 v64, v64, v66
	s_delay_alu instid0(VALU_DEP_2) | instskip(NEXT) | instid1(VALU_DEP_2)
	v_dual_add_f32 v62, v62, v19 :: v_dual_fmac_f32 v18, v7, v12
	v_dual_mul_f32 v19, v6, v15 :: v_dual_fma_f32 v6, v6, v14, -v53
	v_dual_mul_f32 v53, v81, v13 :: v_dual_mul_f32 v13, v80, v13
	s_delay_alu instid0(VALU_DEP_3) | instskip(NEXT) | instid1(VALU_DEP_3)
	v_add_f32_e32 v66, v68, v18
	v_fmac_f32_e32 v19, v7, v14
	s_delay_alu instid0(VALU_DEP_4) | instskip(NEXT) | instid1(VALU_DEP_4)
	v_dual_add_f32 v4, v4, v6 :: v_dual_mul_f32 v7, v81, v15
	v_fma_f32 v6, v80, v12, -v53
	v_fmac_f32_e32 v13, v81, v12
	s_delay_alu instid0(VALU_DEP_4) | instskip(NEXT) | instid1(VALU_DEP_4)
	v_add_f32_e32 v12, v17, v19
	v_dual_mul_f32 v15, v80, v15 :: v_dual_fma_f32 v7, v80, v14, -v7
	s_delay_alu instid0(VALU_DEP_4)
	v_add_f32_e32 v6, v16, v6
	ds_load_2addr_b64 v[16:19], v63 offset0:224 offset1:240
	v_add_f32_e32 v5, v5, v13
	s_wait_dscnt 0x1
	v_mul_f32_e32 v13, v1, v75
	v_dual_fmac_f32 v15, v81, v14 :: v_dual_mul_f32 v14, v0, v75
	v_dual_add_f32 v7, v60, v7 :: v_dual_mul_f32 v53, v1, v77
	s_delay_alu instid0(VALU_DEP_3) | instskip(NEXT) | instid1(VALU_DEP_3)
	v_dual_fma_f32 v13, v0, v74, -v13 :: v_dual_mul_f32 v60, v0, v77
	v_dual_fmac_f32 v14, v1, v74 :: v_dual_add_f32 v64, v64, v15
	s_delay_alu instid0(VALU_DEP_2) | instskip(NEXT) | instid1(VALU_DEP_2)
	v_dual_fma_f32 v0, v0, v76, -v53 :: v_dual_add_f32 v62, v62, v13
	v_dual_fmac_f32 v60, v1, v76 :: v_dual_add_f32 v53, v66, v14
	v_dual_mul_f32 v1, v9, v75 :: v_dual_mul_f32 v13, v8, v75
	s_delay_alu instid0(VALU_DEP_3) | instskip(NEXT) | instid1(VALU_DEP_3)
	v_dual_add_f32 v0, v4, v0 :: v_dual_mul_f32 v4, v9, v77
	v_add_f32_e32 v60, v12, v60
	s_delay_alu instid0(VALU_DEP_3) | instskip(NEXT) | instid1(VALU_DEP_3)
	v_dual_fma_f32 v1, v8, v74, -v1 :: v_dual_mul_f32 v66, v8, v77
	v_dual_fmac_f32 v13, v9, v74 :: v_dual_fma_f32 v4, v8, v76, -v4
	s_wait_dscnt 0x0
	v_mul_f32_e32 v8, v3, v17
	s_delay_alu instid0(VALU_DEP_3) | instskip(NEXT) | instid1(VALU_DEP_3)
	v_dual_add_f32 v1, v6, v1 :: v_dual_fmac_f32 v66, v9, v76
	v_dual_add_f32 v68, v5, v13 :: v_dual_add_f32 v9, v7, v4
	s_delay_alu instid0(VALU_DEP_3) | instskip(NEXT) | instid1(VALU_DEP_3)
	v_dual_fma_f32 v4, v2, v16, -v8 :: v_dual_mul_f32 v5, v2, v17
	v_dual_mul_f32 v6, v3, v19 :: v_dual_add_f32 v64, v64, v66
	ds_load_b128 v[12:15], v65 offset:64
	ds_load_2addr_b64 v[74:77], v71 offset1:16
	v_dual_mul_f32 v7, v2, v19 :: v_dual_fmac_f32 v5, v3, v16
	v_dual_add_f32 v62, v62, v4 :: v_dual_mul_f32 v4, v11, v17
	s_delay_alu instid0(VALU_DEP_2) | instskip(SKIP_1) | instid1(VALU_DEP_4)
	v_dual_fma_f32 v2, v2, v18, -v6 :: v_dual_fmac_f32 v7, v3, v18
	v_mul_f32_e32 v3, v10, v17
	v_add_f32_e32 v53, v53, v5
	ds_load_b128 v[78:81], v65 offset:4160
	v_dual_add_f32 v17, v0, v2 :: v_dual_fma_f32 v0, v10, v16, -v4
	v_dual_mul_f32 v2, v11, v19 :: v_dual_fmac_f32 v3, v11, v16
	v_add_f32_e32 v60, v60, v7
	ds_load_b128 v[4:7], v65 offset:80
	v_dual_add_f32 v16, v1, v0 :: v_dual_fma_f32 v0, v10, v18, -v2
	v_mul_f32_e32 v1, v10, v19
	v_add_f32_e32 v19, v68, v3
	s_wait_dscnt 0x2
	v_dual_mul_f32 v2, v13, v75 :: v_dual_mul_f32 v3, v12, v75
	s_delay_alu instid0(VALU_DEP_3) | instskip(NEXT) | instid1(VALU_DEP_2)
	v_dual_fmac_f32 v1, v11, v18 :: v_dual_add_f32 v18, v9, v0
	v_fma_f32 v0, v12, v74, -v2
	ds_load_2addr_b64 v[8:11], v71 offset0:32 offset1:48
	v_dual_fmac_f32 v3, v13, v74 :: v_dual_mul_f32 v2, v13, v77
	s_wait_dscnt 0x2
	v_dual_mul_f32 v66, v12, v77 :: v_dual_mul_f32 v68, v79, v75
	v_dual_add_f32 v64, v64, v1 :: v_dual_add_f32 v62, v62, v0
	s_delay_alu instid0(VALU_DEP_3) | instskip(NEXT) | instid1(VALU_DEP_3)
	v_dual_fma_f32 v12, v12, v76, -v2 :: v_dual_add_f32 v53, v53, v3
	v_dual_fmac_f32 v66, v13, v76 :: v_dual_mul_f32 v13, v78, v75
	s_delay_alu instid0(VALU_DEP_2) | instskip(NEXT) | instid1(VALU_DEP_2)
	v_dual_fma_f32 v68, v78, v74, -v68 :: v_dual_add_f32 v12, v17, v12
	v_dual_mul_f32 v17, v79, v77 :: v_dual_add_f32 v60, v60, v66
	s_delay_alu instid0(VALU_DEP_3) | instskip(NEXT) | instid1(VALU_DEP_3)
	v_dual_mul_f32 v66, v78, v77 :: v_dual_fmac_f32 v13, v79, v74
	v_add_f32_e32 v68, v16, v68
	s_delay_alu instid0(VALU_DEP_3)
	v_fma_f32 v17, v78, v76, -v17
	ds_load_b128 v[0:3], v65 offset:4176
	s_wait_dscnt 0x1
	v_mul_f32_e32 v16, v15, v9
	v_add_f32_e32 v13, v19, v13
	v_dual_fmac_f32 v66, v79, v76 :: v_dual_add_f32 v70, v18, v17
	s_delay_alu instid0(VALU_DEP_3) | instskip(SKIP_3) | instid1(VALU_DEP_2)
	v_dual_mul_f32 v74, v14, v9 :: v_dual_fma_f32 v75, v14, v8, -v16
	ds_load_2addr_b64 v[16:19], v71 offset0:64 offset1:80
	v_dual_mul_f32 v76, v15, v11 :: v_dual_add_f32 v64, v64, v66
	v_dual_fmac_f32 v74, v15, v8 :: v_dual_add_f32 v62, v62, v75
	v_dual_mul_f32 v66, v14, v11 :: v_dual_fma_f32 v14, v14, v10, -v76
	v_dual_mul_f32 v75, v81, v9 :: v_dual_mul_f32 v9, v80, v9
	s_delay_alu instid0(VALU_DEP_3) | instskip(NEXT) | instid1(VALU_DEP_3)
	v_add_f32_e32 v53, v53, v74
	v_fmac_f32_e32 v66, v15, v10
	s_delay_alu instid0(VALU_DEP_4) | instskip(NEXT) | instid1(VALU_DEP_4)
	v_add_f32_e32 v74, v12, v14
	v_dual_fma_f32 v12, v80, v8, -v75 :: v_dual_fmac_f32 v9, v81, v8
	s_delay_alu instid0(VALU_DEP_3) | instskip(SKIP_1) | instid1(VALU_DEP_3)
	v_dual_mul_f32 v8, v81, v11 :: v_dual_add_f32 v60, v60, v66
	v_mul_f32_e32 v11, v80, v11
	v_dual_add_f32 v66, v68, v12 :: v_dual_add_f32 v9, v13, v9
	s_wait_dscnt 0x0
	s_delay_alu instid0(VALU_DEP_3) | instskip(SKIP_3) | instid1(VALU_DEP_2)
	v_dual_fma_f32 v8, v80, v10, -v8 :: v_dual_mul_f32 v68, v5, v17
	ds_load_2addr_b64 v[12:15], v71 offset0:96 offset1:112
	v_dual_fmac_f32 v11, v81, v10 :: v_dual_mul_f32 v10, v4, v17
	v_dual_add_f32 v8, v70, v8 :: v_dual_mul_f32 v70, v5, v19
	v_dual_fma_f32 v68, v4, v16, -v68 :: v_dual_fmac_f32 v10, v5, v16
	v_mul_f32_e32 v75, v4, v19
	s_delay_alu instid0(VALU_DEP_2) | instskip(NEXT) | instid1(VALU_DEP_4)
	v_dual_add_f32 v64, v64, v11 :: v_dual_add_f32 v62, v62, v68
	v_fma_f32 v4, v4, v18, -v70
	s_delay_alu instid0(VALU_DEP_4) | instskip(NEXT) | instid1(VALU_DEP_4)
	v_add_f32_e32 v53, v53, v10
	v_fmac_f32_e32 v75, v5, v18
	v_dual_mul_f32 v5, v1, v17 :: v_dual_mul_f32 v10, v0, v17
	s_delay_alu instid0(VALU_DEP_4) | instskip(NEXT) | instid1(VALU_DEP_3)
	v_dual_add_f32 v4, v74, v4 :: v_dual_mul_f32 v11, v1, v19
	v_add_f32_e32 v60, v60, v75
	s_delay_alu instid0(VALU_DEP_3) | instskip(NEXT) | instid1(VALU_DEP_3)
	v_dual_fma_f32 v5, v0, v16, -v5 :: v_dual_mul_f32 v68, v0, v19
	v_dual_fmac_f32 v10, v1, v16 :: v_dual_fma_f32 v0, v0, v18, -v11
	s_wait_dscnt 0x0
	v_mul_f32_e32 v11, v7, v13
	s_delay_alu instid0(VALU_DEP_3) | instskip(NEXT) | instid1(VALU_DEP_3)
	v_dual_add_f32 v5, v66, v5 :: v_dual_fmac_f32 v68, v1, v18
	v_dual_add_f32 v66, v9, v10 :: v_dual_add_f32 v0, v8, v0
	s_delay_alu instid0(VALU_DEP_3)
	v_dual_fma_f32 v1, v6, v12, -v11 :: v_dual_mul_f32 v70, v6, v13
	ds_load_b128 v[8:11], v65 offset:96
	ds_load_2addr_b64 v[16:19], v71 offset0:128 offset1:144
	v_dual_mul_f32 v74, v7, v15 :: v_dual_add_f32 v64, v64, v68
	v_dual_mul_f32 v68, v6, v15 :: v_dual_fmac_f32 v70, v7, v12
	v_add_f32_e32 v1, v62, v1
	s_delay_alu instid0(VALU_DEP_3) | instskip(NEXT) | instid1(VALU_DEP_3)
	v_dual_fma_f32 v6, v6, v14, -v74 :: v_dual_mul_f32 v62, v3, v13
	v_dual_fmac_f32 v68, v7, v14 :: v_dual_mul_f32 v13, v2, v13
	s_delay_alu instid0(VALU_DEP_4) | instskip(NEXT) | instid1(VALU_DEP_3)
	v_add_f32_e32 v53, v53, v70
	v_dual_add_f32 v70, v4, v6 :: v_dual_fma_f32 v4, v2, v12, -v62
	s_delay_alu instid0(VALU_DEP_3) | instskip(NEXT) | instid1(VALU_DEP_4)
	v_dual_mul_f32 v6, v3, v15 :: v_dual_add_f32 v60, v60, v68
	v_fmac_f32_e32 v13, v3, v12
	ds_load_b128 v[74:77], v65 offset:4192
	v_dual_add_f32 v62, v5, v4 :: v_dual_fma_f32 v12, v2, v14, -v6
	s_wait_dscnt 0x1
	v_dual_mul_f32 v2, v2, v15 :: v_dual_mul_f32 v15, v9, v17
	v_mul_f32_e32 v68, v8, v17
	s_delay_alu instid0(VALU_DEP_3) | instskip(NEXT) | instid1(VALU_DEP_3)
	v_dual_add_f32 v66, v66, v13 :: v_dual_add_f32 v78, v0, v12
	v_dual_fmac_f32 v2, v3, v14 :: v_dual_fma_f32 v0, v8, v16, -v15
	s_delay_alu instid0(VALU_DEP_3)
	v_fmac_f32_e32 v68, v9, v16
	ds_load_2addr_b64 v[12:15], v71 offset0:160 offset1:176
	v_mul_f32_e32 v3, v9, v19
	ds_load_b128 v[4:7], v65 offset:112
	v_dual_mul_f32 v80, v8, v19 :: v_dual_add_f32 v53, v53, v68
	v_dual_add_f32 v64, v64, v2 :: v_dual_add_f32 v79, v1, v0
	s_delay_alu instid0(VALU_DEP_2) | instskip(SKIP_2) | instid1(VALU_DEP_2)
	v_dual_fma_f32 v8, v8, v18, -v3 :: v_dual_fmac_f32 v80, v9, v18
	s_wait_dscnt 0x2
	v_dual_mul_f32 v9, v74, v17 :: v_dual_mul_f32 v68, v75, v17
	v_dual_mul_f32 v17, v75, v19 :: v_dual_add_f32 v8, v70, v8
	s_delay_alu instid0(VALU_DEP_3) | instskip(NEXT) | instid1(VALU_DEP_3)
	v_dual_add_f32 v60, v60, v80 :: v_dual_mul_f32 v70, v74, v19
	v_dual_fma_f32 v68, v74, v16, -v68 :: v_dual_fmac_f32 v9, v75, v16
	s_delay_alu instid0(VALU_DEP_3)
	v_fma_f32 v16, v74, v18, -v17
	ds_load_b128 v[0:3], v65 offset:4208
	v_dual_fmac_f32 v70, v75, v18 :: v_dual_add_f32 v62, v62, v68
	s_wait_dscnt 0x2
	v_mul_f32_e32 v17, v11, v13
	v_dual_add_f32 v9, v66, v9 :: v_dual_mul_f32 v75, v11, v15
	s_delay_alu instid0(VALU_DEP_3) | instskip(NEXT) | instid1(VALU_DEP_3)
	v_dual_add_f32 v66, v78, v16 :: v_dual_add_f32 v64, v64, v70
	v_dual_mul_f32 v68, v10, v13 :: v_dual_fma_f32 v74, v10, v12, -v17
	ds_load_2addr_b64 v[16:19], v71 offset0:192 offset1:208
	v_fmac_f32_e32 v68, v11, v12
	v_dual_add_f32 v70, v79, v74 :: v_dual_mul_f32 v74, v10, v15
	v_dual_fma_f32 v10, v10, v14, -v75 :: v_dual_mul_f32 v75, v77, v13
	s_delay_alu instid0(VALU_DEP_3) | instskip(NEXT) | instid1(VALU_DEP_3)
	v_dual_mul_f32 v13, v76, v13 :: v_dual_add_f32 v53, v53, v68
	v_fmac_f32_e32 v74, v11, v14
	s_delay_alu instid0(VALU_DEP_3) | instskip(NEXT) | instid1(VALU_DEP_4)
	v_add_f32_e32 v8, v8, v10
	v_dual_fma_f32 v10, v76, v12, -v75 :: v_dual_mul_f32 v11, v77, v15
	s_delay_alu instid0(VALU_DEP_4) | instskip(NEXT) | instid1(VALU_DEP_4)
	v_dual_fmac_f32 v13, v77, v12 :: v_dual_mul_f32 v68, v76, v15
	v_add_f32_e32 v60, v60, v74
	s_delay_alu instid0(VALU_DEP_3) | instskip(NEXT) | instid1(VALU_DEP_3)
	v_add_f32_e32 v10, v62, v10
	v_dual_fma_f32 v11, v76, v14, -v11 :: v_dual_add_f32 v9, v9, v13
	s_wait_dscnt 0x0
	v_mul_f32_e32 v62, v5, v17
	v_dual_fmac_f32 v68, v77, v14 :: v_dual_mul_f32 v74, v4, v17
	ds_load_2addr_b64 v[12:15], v71 offset0:224 offset1:240
	v_dual_add_f32 v11, v66, v11 :: v_dual_fma_f32 v62, v4, v16, -v62
	v_dual_mul_f32 v66, v5, v19 :: v_dual_fmac_f32 v74, v5, v16
	v_mul_f32_e32 v75, v4, v19
	s_delay_alu instid0(VALU_DEP_3) | instskip(NEXT) | instid1(VALU_DEP_3)
	v_dual_add_f32 v64, v64, v68 :: v_dual_add_f32 v62, v70, v62
	v_fma_f32 v4, v4, v18, -v66
	s_delay_alu instid0(VALU_DEP_3) | instskip(SKIP_1) | instid1(VALU_DEP_3)
	v_dual_mul_f32 v66, v0, v19 :: v_dual_fmac_f32 v75, v5, v18
	v_dual_mul_f32 v5, v1, v17 :: v_dual_mul_f32 v17, v0, v17
	v_dual_add_f32 v4, v8, v4 :: v_dual_mul_f32 v8, v1, v19
	s_delay_alu instid0(VALU_DEP_3) | instskip(NEXT) | instid1(VALU_DEP_3)
	v_add_f32_e32 v60, v60, v75
	v_fma_f32 v5, v0, v16, -v5
	s_delay_alu instid0(VALU_DEP_4) | instskip(SKIP_2) | instid1(VALU_DEP_3)
	v_dual_fmac_f32 v17, v1, v16 :: v_dual_fmac_f32 v66, v1, v18
	s_wait_dscnt 0x0
	v_dual_fma_f32 v0, v0, v18, -v8 :: v_dual_mul_f32 v8, v7, v13
	v_add_f32_e32 v5, v10, v5
	s_delay_alu instid0(VALU_DEP_3) | instskip(NEXT) | instid1(VALU_DEP_3)
	v_add_f32_e32 v68, v9, v17
	v_dual_add_f32 v53, v53, v74 :: v_dual_add_f32 v0, v11, v0
	s_delay_alu instid0(VALU_DEP_4)
	v_dual_fma_f32 v1, v6, v12, -v8 :: v_dual_mul_f32 v70, v6, v13
	ds_load_b128 v[8:11], v65 offset:128
	ds_load_2addr_b64 v[16:19], v72 offset1:16
	v_dual_mul_f32 v74, v7, v15 :: v_dual_add_f32 v64, v64, v66
	v_dual_mul_f32 v66, v6, v15 :: v_dual_fmac_f32 v70, v7, v12
	v_add_f32_e32 v1, v62, v1
	s_delay_alu instid0(VALU_DEP_3) | instskip(NEXT) | instid1(VALU_DEP_3)
	v_dual_fma_f32 v6, v6, v14, -v74 :: v_dual_mul_f32 v62, v3, v13
	v_dual_fmac_f32 v66, v7, v14 :: v_dual_mul_f32 v13, v2, v13
	s_delay_alu instid0(VALU_DEP_4) | instskip(NEXT) | instid1(VALU_DEP_3)
	v_add_f32_e32 v53, v53, v70
	v_dual_add_f32 v70, v4, v6 :: v_dual_fma_f32 v4, v2, v12, -v62
	s_delay_alu instid0(VALU_DEP_3) | instskip(NEXT) | instid1(VALU_DEP_4)
	v_dual_mul_f32 v6, v3, v15 :: v_dual_add_f32 v60, v60, v66
	v_fmac_f32_e32 v13, v3, v12
	ds_load_b128 v[74:77], v65 offset:4224
	v_dual_add_f32 v62, v5, v4 :: v_dual_fma_f32 v12, v2, v14, -v6
	s_wait_dscnt 0x1
	v_dual_mul_f32 v2, v2, v15 :: v_dual_mul_f32 v15, v9, v17
	v_add_f32_e32 v66, v68, v13
	v_mul_f32_e32 v68, v8, v17
	s_delay_alu instid0(VALU_DEP_3) | instskip(NEXT) | instid1(VALU_DEP_4)
	v_dual_add_f32 v78, v0, v12 :: v_dual_fmac_f32 v2, v3, v14
	v_fma_f32 v0, v8, v16, -v15
	ds_load_2addr_b64 v[12:15], v72 offset0:32 offset1:48
	v_mul_f32_e32 v3, v9, v19
	ds_load_b128 v[4:7], v65 offset:144
	v_dual_fmac_f32 v68, v9, v16 :: v_dual_mul_f32 v80, v8, v19
	v_dual_add_f32 v64, v64, v2 :: v_dual_add_f32 v79, v1, v0
	s_delay_alu instid0(VALU_DEP_2) | instskip(SKIP_1) | instid1(VALU_DEP_3)
	v_dual_fma_f32 v8, v8, v18, -v3 :: v_dual_add_f32 v53, v53, v68
	s_wait_dscnt 0x2
	v_dual_fmac_f32 v80, v9, v18 :: v_dual_mul_f32 v9, v74, v17
	s_delay_alu instid0(VALU_DEP_2) | instskip(NEXT) | instid1(VALU_DEP_2)
	v_dual_mul_f32 v68, v75, v17 :: v_dual_add_f32 v8, v70, v8
	v_dual_mul_f32 v17, v75, v19 :: v_dual_add_f32 v60, v60, v80
	s_delay_alu instid0(VALU_DEP_2) | instskip(NEXT) | instid1(VALU_DEP_4)
	v_dual_mul_f32 v70, v74, v19 :: v_dual_fma_f32 v68, v74, v16, -v68
	v_fmac_f32_e32 v9, v75, v16
	s_delay_alu instid0(VALU_DEP_3)
	v_fma_f32 v16, v74, v18, -v17
	ds_load_b128 v[0:3], v65 offset:4240
	s_wait_dscnt 0x2
	v_dual_mul_f32 v17, v11, v13 :: v_dual_add_f32 v62, v62, v68
	v_dual_fmac_f32 v70, v75, v18 :: v_dual_add_f32 v9, v66, v9
	v_dual_mul_f32 v75, v11, v15 :: v_dual_add_f32 v66, v78, v16
	s_delay_alu instid0(VALU_DEP_3) | instskip(SKIP_4) | instid1(VALU_DEP_3)
	v_dual_mul_f32 v68, v10, v13 :: v_dual_fma_f32 v74, v10, v12, -v17
	ds_load_2addr_b64 v[16:19], v72 offset0:64 offset1:80
	v_dual_add_f32 v64, v64, v70 :: v_dual_fmac_f32 v68, v11, v12
	v_dual_add_f32 v70, v79, v74 :: v_dual_mul_f32 v74, v10, v15
	v_dual_fma_f32 v10, v10, v14, -v75 :: v_dual_mul_f32 v75, v77, v13
	v_dual_mul_f32 v13, v76, v13 :: v_dual_add_f32 v53, v53, v68
	s_delay_alu instid0(VALU_DEP_3) | instskip(NEXT) | instid1(VALU_DEP_3)
	v_fmac_f32_e32 v74, v11, v14
	v_add_f32_e32 v8, v8, v10
	s_delay_alu instid0(VALU_DEP_4) | instskip(NEXT) | instid1(VALU_DEP_4)
	v_dual_fma_f32 v10, v76, v12, -v75 :: v_dual_mul_f32 v11, v77, v15
	v_dual_fmac_f32 v13, v77, v12 :: v_dual_mul_f32 v68, v76, v15
	s_delay_alu instid0(VALU_DEP_4) | instskip(NEXT) | instid1(VALU_DEP_3)
	v_add_f32_e32 v60, v60, v74
	v_add_f32_e32 v10, v62, v10
	s_delay_alu instid0(VALU_DEP_3)
	v_dual_fma_f32 v11, v76, v14, -v11 :: v_dual_add_f32 v9, v9, v13
	s_wait_dscnt 0x0
	v_mul_f32_e32 v62, v5, v17
	v_dual_fmac_f32 v68, v77, v14 :: v_dual_mul_f32 v74, v4, v17
	ds_load_2addr_b64 v[12:15], v72 offset0:96 offset1:112
	v_dual_add_f32 v11, v66, v11 :: v_dual_fma_f32 v62, v4, v16, -v62
	v_dual_mul_f32 v66, v5, v19 :: v_dual_fmac_f32 v74, v5, v16
	v_mul_f32_e32 v75, v4, v19
	s_delay_alu instid0(VALU_DEP_3) | instskip(NEXT) | instid1(VALU_DEP_3)
	v_dual_add_f32 v64, v64, v68 :: v_dual_add_f32 v62, v70, v62
	v_fma_f32 v4, v4, v18, -v66
	s_delay_alu instid0(VALU_DEP_3) | instskip(SKIP_1) | instid1(VALU_DEP_3)
	v_dual_mul_f32 v66, v0, v19 :: v_dual_fmac_f32 v75, v5, v18
	v_dual_mul_f32 v5, v1, v17 :: v_dual_mul_f32 v17, v0, v17
	v_dual_add_f32 v4, v8, v4 :: v_dual_mul_f32 v8, v1, v19
	s_delay_alu instid0(VALU_DEP_3) | instskip(NEXT) | instid1(VALU_DEP_3)
	v_add_f32_e32 v60, v60, v75
	v_fma_f32 v5, v0, v16, -v5
	s_delay_alu instid0(VALU_DEP_4) | instskip(SKIP_2) | instid1(VALU_DEP_3)
	v_dual_fmac_f32 v17, v1, v16 :: v_dual_fmac_f32 v66, v1, v18
	s_wait_dscnt 0x0
	v_dual_fma_f32 v0, v0, v18, -v8 :: v_dual_mul_f32 v8, v7, v13
	v_add_f32_e32 v5, v10, v5
	s_delay_alu instid0(VALU_DEP_3) | instskip(NEXT) | instid1(VALU_DEP_3)
	v_add_f32_e32 v68, v9, v17
	v_dual_add_f32 v53, v53, v74 :: v_dual_add_f32 v0, v11, v0
	s_delay_alu instid0(VALU_DEP_4)
	v_dual_fma_f32 v1, v6, v12, -v8 :: v_dual_mul_f32 v70, v6, v13
	ds_load_b128 v[8:11], v65 offset:160
	ds_load_2addr_b64 v[16:19], v72 offset0:128 offset1:144
	v_dual_mul_f32 v74, v7, v15 :: v_dual_add_f32 v64, v64, v66
	v_dual_mul_f32 v66, v6, v15 :: v_dual_fmac_f32 v70, v7, v12
	v_add_f32_e32 v1, v62, v1
	s_delay_alu instid0(VALU_DEP_3) | instskip(NEXT) | instid1(VALU_DEP_3)
	v_dual_fma_f32 v6, v6, v14, -v74 :: v_dual_mul_f32 v62, v3, v13
	v_dual_fmac_f32 v66, v7, v14 :: v_dual_mul_f32 v13, v2, v13
	s_delay_alu instid0(VALU_DEP_4) | instskip(NEXT) | instid1(VALU_DEP_3)
	v_add_f32_e32 v53, v53, v70
	v_dual_add_f32 v70, v4, v6 :: v_dual_fma_f32 v4, v2, v12, -v62
	s_delay_alu instid0(VALU_DEP_3) | instskip(NEXT) | instid1(VALU_DEP_4)
	v_dual_mul_f32 v6, v3, v15 :: v_dual_add_f32 v60, v60, v66
	v_fmac_f32_e32 v13, v3, v12
	ds_load_b128 v[74:77], v65 offset:4256
	v_dual_add_f32 v62, v5, v4 :: v_dual_fma_f32 v12, v2, v14, -v6
	s_wait_dscnt 0x1
	v_dual_mul_f32 v2, v2, v15 :: v_dual_mul_f32 v15, v9, v17
	v_add_f32_e32 v66, v68, v13
	v_mul_f32_e32 v68, v8, v17
	s_delay_alu instid0(VALU_DEP_3) | instskip(NEXT) | instid1(VALU_DEP_4)
	v_dual_add_f32 v78, v0, v12 :: v_dual_fmac_f32 v2, v3, v14
	v_fma_f32 v0, v8, v16, -v15
	ds_load_2addr_b64 v[12:15], v72 offset0:160 offset1:176
	v_mul_f32_e32 v3, v9, v19
	ds_load_b128 v[4:7], v65 offset:176
	v_dual_fmac_f32 v68, v9, v16 :: v_dual_mul_f32 v80, v8, v19
	v_dual_add_f32 v64, v64, v2 :: v_dual_add_f32 v79, v1, v0
	s_delay_alu instid0(VALU_DEP_2) | instskip(SKIP_1) | instid1(VALU_DEP_3)
	v_dual_fma_f32 v8, v8, v18, -v3 :: v_dual_add_f32 v53, v53, v68
	s_wait_dscnt 0x2
	v_dual_fmac_f32 v80, v9, v18 :: v_dual_mul_f32 v9, v74, v17
	s_delay_alu instid0(VALU_DEP_2) | instskip(NEXT) | instid1(VALU_DEP_2)
	v_dual_mul_f32 v68, v75, v17 :: v_dual_add_f32 v8, v70, v8
	v_dual_mul_f32 v17, v75, v19 :: v_dual_add_f32 v60, v60, v80
	s_delay_alu instid0(VALU_DEP_2) | instskip(NEXT) | instid1(VALU_DEP_4)
	v_dual_mul_f32 v70, v74, v19 :: v_dual_fma_f32 v68, v74, v16, -v68
	v_fmac_f32_e32 v9, v75, v16
	s_delay_alu instid0(VALU_DEP_3)
	v_fma_f32 v16, v74, v18, -v17
	ds_load_b128 v[0:3], v65 offset:4272
	s_wait_dscnt 0x2
	v_dual_mul_f32 v17, v11, v13 :: v_dual_add_f32 v62, v62, v68
	v_dual_fmac_f32 v70, v75, v18 :: v_dual_add_f32 v9, v66, v9
	v_dual_mul_f32 v75, v11, v15 :: v_dual_add_f32 v66, v78, v16
	s_delay_alu instid0(VALU_DEP_3) | instskip(SKIP_4) | instid1(VALU_DEP_3)
	v_dual_mul_f32 v68, v10, v13 :: v_dual_fma_f32 v74, v10, v12, -v17
	ds_load_2addr_b64 v[16:19], v72 offset0:192 offset1:208
	v_dual_add_f32 v64, v64, v70 :: v_dual_fmac_f32 v68, v11, v12
	v_dual_add_f32 v70, v79, v74 :: v_dual_mul_f32 v74, v10, v15
	v_dual_fma_f32 v10, v10, v14, -v75 :: v_dual_mul_f32 v75, v77, v13
	v_dual_mul_f32 v13, v76, v13 :: v_dual_add_f32 v53, v53, v68
	s_delay_alu instid0(VALU_DEP_3) | instskip(NEXT) | instid1(VALU_DEP_3)
	v_fmac_f32_e32 v74, v11, v14
	v_add_f32_e32 v8, v8, v10
	s_delay_alu instid0(VALU_DEP_4) | instskip(NEXT) | instid1(VALU_DEP_4)
	v_dual_fma_f32 v10, v76, v12, -v75 :: v_dual_mul_f32 v11, v77, v15
	v_dual_fmac_f32 v13, v77, v12 :: v_dual_mul_f32 v68, v76, v15
	s_delay_alu instid0(VALU_DEP_4) | instskip(NEXT) | instid1(VALU_DEP_3)
	v_add_f32_e32 v60, v60, v74
	v_add_f32_e32 v10, v62, v10
	s_delay_alu instid0(VALU_DEP_3)
	v_dual_fma_f32 v11, v76, v14, -v11 :: v_dual_add_f32 v9, v9, v13
	s_wait_dscnt 0x0
	v_mul_f32_e32 v62, v5, v17
	v_dual_fmac_f32 v68, v77, v14 :: v_dual_mul_f32 v74, v4, v17
	ds_load_2addr_b64 v[12:15], v72 offset0:224 offset1:240
	v_dual_add_f32 v11, v66, v11 :: v_dual_fma_f32 v62, v4, v16, -v62
	v_dual_mul_f32 v66, v5, v19 :: v_dual_fmac_f32 v74, v5, v16
	v_mul_f32_e32 v75, v4, v19
	s_delay_alu instid0(VALU_DEP_3) | instskip(NEXT) | instid1(VALU_DEP_3)
	v_dual_add_f32 v64, v64, v68 :: v_dual_add_f32 v62, v70, v62
	v_fma_f32 v4, v4, v18, -v66
	s_delay_alu instid0(VALU_DEP_3) | instskip(SKIP_1) | instid1(VALU_DEP_3)
	v_dual_mul_f32 v66, v0, v19 :: v_dual_fmac_f32 v75, v5, v18
	v_dual_mul_f32 v5, v1, v17 :: v_dual_mul_f32 v17, v0, v17
	v_dual_add_f32 v4, v8, v4 :: v_dual_mul_f32 v8, v1, v19
	s_delay_alu instid0(VALU_DEP_3) | instskip(NEXT) | instid1(VALU_DEP_3)
	v_add_f32_e32 v60, v60, v75
	v_fma_f32 v5, v0, v16, -v5
	s_delay_alu instid0(VALU_DEP_4) | instskip(SKIP_2) | instid1(VALU_DEP_3)
	v_dual_fmac_f32 v17, v1, v16 :: v_dual_fmac_f32 v66, v1, v18
	s_wait_dscnt 0x0
	v_dual_fma_f32 v0, v0, v18, -v8 :: v_dual_mul_f32 v8, v7, v13
	v_add_f32_e32 v5, v10, v5
	s_delay_alu instid0(VALU_DEP_3) | instskip(NEXT) | instid1(VALU_DEP_3)
	v_add_f32_e32 v68, v9, v17
	v_dual_add_f32 v53, v53, v74 :: v_dual_add_f32 v0, v11, v0
	s_delay_alu instid0(VALU_DEP_4)
	v_dual_fma_f32 v1, v6, v12, -v8 :: v_dual_mul_f32 v70, v6, v13
	ds_load_b128 v[8:11], v65 offset:192
	ds_load_2addr_b64 v[16:19], v73 offset1:16
	v_dual_mul_f32 v74, v7, v15 :: v_dual_add_f32 v64, v64, v66
	v_dual_mul_f32 v66, v6, v15 :: v_dual_fmac_f32 v70, v7, v12
	v_add_f32_e32 v1, v62, v1
	s_delay_alu instid0(VALU_DEP_3) | instskip(NEXT) | instid1(VALU_DEP_3)
	v_dual_fma_f32 v6, v6, v14, -v74 :: v_dual_mul_f32 v62, v3, v13
	v_dual_fmac_f32 v66, v7, v14 :: v_dual_mul_f32 v13, v2, v13
	s_delay_alu instid0(VALU_DEP_4) | instskip(NEXT) | instid1(VALU_DEP_3)
	v_add_f32_e32 v53, v53, v70
	v_dual_add_f32 v70, v4, v6 :: v_dual_fma_f32 v4, v2, v12, -v62
	s_delay_alu instid0(VALU_DEP_3) | instskip(NEXT) | instid1(VALU_DEP_4)
	v_dual_mul_f32 v6, v3, v15 :: v_dual_add_f32 v60, v60, v66
	v_fmac_f32_e32 v13, v3, v12
	ds_load_b128 v[74:77], v65 offset:4288
	v_dual_add_f32 v62, v5, v4 :: v_dual_fma_f32 v12, v2, v14, -v6
	s_wait_dscnt 0x1
	v_dual_mul_f32 v2, v2, v15 :: v_dual_mul_f32 v15, v9, v17
	v_add_f32_e32 v66, v68, v13
	v_mul_f32_e32 v68, v8, v17
	s_delay_alu instid0(VALU_DEP_3) | instskip(NEXT) | instid1(VALU_DEP_4)
	v_dual_add_f32 v78, v0, v12 :: v_dual_fmac_f32 v2, v3, v14
	v_fma_f32 v0, v8, v16, -v15
	ds_load_2addr_b64 v[12:15], v73 offset0:32 offset1:48
	v_mul_f32_e32 v3, v9, v19
	ds_load_b128 v[4:7], v65 offset:208
	v_dual_fmac_f32 v68, v9, v16 :: v_dual_mul_f32 v80, v8, v19
	v_dual_add_f32 v64, v64, v2 :: v_dual_add_f32 v79, v1, v0
	s_delay_alu instid0(VALU_DEP_2) | instskip(SKIP_1) | instid1(VALU_DEP_3)
	v_dual_fma_f32 v8, v8, v18, -v3 :: v_dual_add_f32 v53, v53, v68
	s_wait_dscnt 0x2
	v_dual_fmac_f32 v80, v9, v18 :: v_dual_mul_f32 v9, v74, v17
	s_delay_alu instid0(VALU_DEP_2) | instskip(NEXT) | instid1(VALU_DEP_2)
	v_dual_mul_f32 v68, v75, v17 :: v_dual_add_f32 v8, v70, v8
	v_dual_mul_f32 v17, v75, v19 :: v_dual_add_f32 v60, v60, v80
	s_delay_alu instid0(VALU_DEP_2) | instskip(NEXT) | instid1(VALU_DEP_4)
	v_dual_mul_f32 v70, v74, v19 :: v_dual_fma_f32 v68, v74, v16, -v68
	v_fmac_f32_e32 v9, v75, v16
	s_delay_alu instid0(VALU_DEP_3)
	v_fma_f32 v16, v74, v18, -v17
	ds_load_b128 v[0:3], v65 offset:4304
	s_wait_dscnt 0x2
	v_dual_mul_f32 v17, v11, v13 :: v_dual_add_f32 v62, v62, v68
	v_dual_fmac_f32 v70, v75, v18 :: v_dual_add_f32 v9, v66, v9
	v_dual_mul_f32 v75, v11, v15 :: v_dual_add_f32 v66, v78, v16
	s_delay_alu instid0(VALU_DEP_3) | instskip(SKIP_4) | instid1(VALU_DEP_3)
	v_dual_mul_f32 v68, v10, v13 :: v_dual_fma_f32 v74, v10, v12, -v17
	ds_load_2addr_b64 v[16:19], v73 offset0:64 offset1:80
	v_dual_add_f32 v64, v64, v70 :: v_dual_fmac_f32 v68, v11, v12
	v_dual_add_f32 v70, v79, v74 :: v_dual_mul_f32 v74, v10, v15
	v_dual_fma_f32 v10, v10, v14, -v75 :: v_dual_mul_f32 v75, v77, v13
	v_dual_mul_f32 v13, v76, v13 :: v_dual_add_f32 v53, v53, v68
	s_delay_alu instid0(VALU_DEP_3) | instskip(NEXT) | instid1(VALU_DEP_3)
	v_fmac_f32_e32 v74, v11, v14
	v_add_f32_e32 v8, v8, v10
	s_delay_alu instid0(VALU_DEP_4) | instskip(NEXT) | instid1(VALU_DEP_4)
	v_dual_fma_f32 v10, v76, v12, -v75 :: v_dual_mul_f32 v11, v77, v15
	v_dual_fmac_f32 v13, v77, v12 :: v_dual_mul_f32 v68, v76, v15
	s_delay_alu instid0(VALU_DEP_4) | instskip(NEXT) | instid1(VALU_DEP_3)
	v_add_f32_e32 v60, v60, v74
	v_add_f32_e32 v10, v62, v10
	s_delay_alu instid0(VALU_DEP_3)
	v_dual_fma_f32 v11, v76, v14, -v11 :: v_dual_add_f32 v9, v9, v13
	s_wait_dscnt 0x0
	v_mul_f32_e32 v62, v5, v17
	v_dual_fmac_f32 v68, v77, v14 :: v_dual_mul_f32 v74, v4, v17
	ds_load_2addr_b64 v[12:15], v73 offset0:96 offset1:112
	v_dual_add_f32 v11, v66, v11 :: v_dual_fma_f32 v62, v4, v16, -v62
	v_dual_mul_f32 v66, v5, v19 :: v_dual_fmac_f32 v74, v5, v16
	v_mul_f32_e32 v75, v4, v19
	s_delay_alu instid0(VALU_DEP_3) | instskip(NEXT) | instid1(VALU_DEP_3)
	v_dual_add_f32 v64, v64, v68 :: v_dual_add_f32 v62, v70, v62
	v_fma_f32 v4, v4, v18, -v66
	s_delay_alu instid0(VALU_DEP_3) | instskip(SKIP_1) | instid1(VALU_DEP_3)
	v_dual_mul_f32 v66, v0, v19 :: v_dual_fmac_f32 v75, v5, v18
	v_dual_mul_f32 v5, v1, v17 :: v_dual_mul_f32 v17, v0, v17
	v_dual_add_f32 v4, v8, v4 :: v_dual_mul_f32 v8, v1, v19
	s_delay_alu instid0(VALU_DEP_3) | instskip(NEXT) | instid1(VALU_DEP_3)
	v_add_f32_e32 v60, v60, v75
	v_fma_f32 v5, v0, v16, -v5
	s_delay_alu instid0(VALU_DEP_4) | instskip(SKIP_2) | instid1(VALU_DEP_3)
	v_dual_fmac_f32 v17, v1, v16 :: v_dual_fmac_f32 v66, v1, v18
	s_wait_dscnt 0x0
	v_dual_fma_f32 v0, v0, v18, -v8 :: v_dual_mul_f32 v8, v7, v13
	v_add_f32_e32 v5, v10, v5
	s_delay_alu instid0(VALU_DEP_3) | instskip(NEXT) | instid1(VALU_DEP_3)
	v_add_f32_e32 v68, v9, v17
	v_dual_add_f32 v53, v53, v74 :: v_dual_add_f32 v0, v11, v0
	s_delay_alu instid0(VALU_DEP_4)
	v_dual_fma_f32 v1, v6, v12, -v8 :: v_dual_mul_f32 v70, v6, v13
	ds_load_b128 v[8:11], v65 offset:224
	ds_load_2addr_b64 v[16:19], v73 offset0:128 offset1:144
	v_dual_mul_f32 v74, v7, v15 :: v_dual_add_f32 v64, v64, v66
	v_dual_mul_f32 v66, v6, v15 :: v_dual_fmac_f32 v70, v7, v12
	v_add_f32_e32 v62, v62, v1
	s_delay_alu instid0(VALU_DEP_3) | instskip(NEXT) | instid1(VALU_DEP_3)
	v_dual_fma_f32 v6, v6, v14, -v74 :: v_dual_mul_f32 v1, v3, v13
	v_fmac_f32_e32 v66, v7, v14
	s_delay_alu instid0(VALU_DEP_4) | instskip(NEXT) | instid1(VALU_DEP_3)
	v_dual_add_f32 v53, v53, v70 :: v_dual_mul_f32 v13, v2, v13
	v_dual_add_f32 v70, v4, v6 :: v_dual_fma_f32 v1, v2, v12, -v1
	s_delay_alu instid0(VALU_DEP_3)
	v_dual_add_f32 v60, v60, v66 :: v_dual_mul_f32 v4, v3, v15
	ds_load_b128 v[74:77], v65 offset:4320
	v_dual_fmac_f32 v13, v3, v12 :: v_dual_add_f32 v66, v5, v1
	v_dual_mul_f32 v12, v2, v15 :: v_dual_fma_f32 v1, v2, v14, -v4
	s_wait_dscnt 0x1
	v_mul_f32_e32 v2, v9, v17
	s_delay_alu instid0(VALU_DEP_3)
	v_add_f32_e32 v68, v68, v13
	ds_load_b128 v[4:7], v65 offset:240
	v_dual_fmac_f32 v12, v3, v14 :: v_dual_mul_f32 v79, v8, v17
	v_fma_f32 v13, v8, v16, -v2
	v_add_f32_e32 v78, v0, v1
	ds_load_2addr_b64 v[0:3], v73 offset0:160 offset1:176
	v_dual_mul_f32 v14, v9, v19 :: v_dual_fmac_f32 v79, v9, v16
	v_mul_f32_e32 v80, v8, v19
	v_dual_add_f32 v64, v64, v12 :: v_dual_add_f32 v62, v62, v13
	s_delay_alu instid0(VALU_DEP_3) | instskip(SKIP_1) | instid1(VALU_DEP_3)
	v_dual_fma_f32 v8, v8, v18, -v14 :: v_dual_add_f32 v53, v53, v79
	s_wait_dscnt 0x2
	v_dual_mul_f32 v81, v75, v17 :: v_dual_fmac_f32 v80, v9, v18
	v_mul_f32_e32 v9, v74, v17
	s_delay_alu instid0(VALU_DEP_3) | instskip(NEXT) | instid1(VALU_DEP_3)
	v_dual_add_f32 v8, v70, v8 :: v_dual_mul_f32 v70, v75, v19
	v_dual_fma_f32 v17, v74, v16, -v81 :: v_dual_mul_f32 v79, v74, v19
	s_delay_alu instid0(VALU_DEP_4) | instskip(NEXT) | instid1(VALU_DEP_3)
	v_add_f32_e32 v60, v60, v80
	v_dual_fmac_f32 v9, v75, v16 :: v_dual_fma_f32 v16, v74, v18, -v70
	s_delay_alu instid0(VALU_DEP_3) | instskip(SKIP_2) | instid1(VALU_DEP_3)
	v_dual_add_f32 v66, v66, v17 :: v_dual_fmac_f32 v79, v75, v18
	s_wait_dscnt 0x0
	v_mul_f32_e32 v17, v11, v1
	v_add_f32_e32 v9, v68, v9
	v_mul_f32_e32 v68, v10, v1
	v_dual_add_f32 v70, v78, v16 :: v_dual_mul_f32 v75, v11, v3
	s_delay_alu instid0(VALU_DEP_4)
	v_fma_f32 v74, v10, v0, -v17
	ds_load_2addr_b64 v[16:19], v73 offset0:192 offset1:208
	v_dual_fmac_f32 v68, v11, v0 :: v_dual_add_f32 v64, v64, v79
	ds_load_b128 v[12:15], v65 offset:4336
	v_add_f32_e32 v62, v62, v74
	v_dual_mul_f32 v74, v10, v3 :: v_dual_fma_f32 v10, v10, v2, -v75
	v_add_f32_e32 v53, v53, v68
	v_dual_mul_f32 v68, v77, v1 :: v_dual_mul_f32 v1, v76, v1
	s_delay_alu instid0(VALU_DEP_3) | instskip(NEXT) | instid1(VALU_DEP_4)
	v_fmac_f32_e32 v74, v11, v2
	v_dual_add_f32 v8, v8, v10 :: v_dual_mul_f32 v10, v77, v3
	s_delay_alu instid0(VALU_DEP_3) | instskip(SKIP_1) | instid1(VALU_DEP_4)
	v_dual_fma_f32 v11, v76, v0, -v68 :: v_dual_fmac_f32 v1, v77, v0
	v_mul_f32_e32 v68, v76, v3
	v_add_f32_e32 v60, v60, v74
	s_delay_alu instid0(VALU_DEP_3) | instskip(NEXT) | instid1(VALU_DEP_4)
	v_dual_fma_f32 v0, v76, v2, -v10 :: v_dual_add_f32 v10, v66, v11
	v_add_f32_e32 v9, v9, v1
	s_wait_dscnt 0x1
	v_dual_mul_f32 v11, v5, v17 :: v_dual_mul_f32 v74, v4, v19
	s_delay_alu instid0(VALU_DEP_3) | instskip(NEXT) | instid1(VALU_DEP_2)
	v_dual_add_f32 v66, v70, v0 :: v_dual_mul_f32 v70, v4, v17
	v_dual_fmac_f32 v68, v77, v2 :: v_dual_fma_f32 v11, v4, v16, -v11
	ds_load_2addr_b64 v[0:3], v73 offset0:224 offset1:240
	v_fmac_f32_e32 v74, v5, v18
	v_fmac_f32_e32 v70, v5, v16
	v_dual_add_f32 v64, v64, v68 :: v_dual_mul_f32 v68, v5, v19
	s_wait_dscnt 0x1
	v_dual_add_f32 v11, v62, v11 :: v_dual_mul_f32 v62, v13, v17
	s_delay_alu instid0(VALU_DEP_3) | instskip(NEXT) | instid1(VALU_DEP_3)
	v_dual_add_f32 v53, v53, v70 :: v_dual_mul_f32 v5, v12, v17
	v_fma_f32 v4, v4, v18, -v68
	v_add_f32_e32 v60, v60, v74
	s_delay_alu instid0(VALU_DEP_4) | instskip(SKIP_3) | instid1(VALU_DEP_3)
	v_fma_f32 v17, v12, v16, -v62
	s_wait_dscnt 0x0
	v_fmac_f32_e32 v5, v13, v16
	v_dual_add_f32 v4, v8, v4 :: v_dual_mul_f32 v8, v13, v19
	v_dual_add_f32 v10, v10, v17 :: v_dual_mul_f32 v16, v12, v19
	s_barrier_signal -1
	s_barrier_wait -1
	s_delay_alu instid0(VALU_DEP_2) | instskip(SKIP_2) | instid1(VALU_DEP_3)
	v_dual_fma_f32 v8, v12, v18, -v8 :: v_dual_mul_f32 v12, v7, v1
	v_mul_f32_e32 v17, v6, v1
	v_add_f32_e32 v5, v9, v5
	v_dual_fmac_f32 v16, v13, v18 :: v_dual_add_f32 v8, v66, v8
	s_delay_alu instid0(VALU_DEP_4) | instskip(NEXT) | instid1(VALU_DEP_4)
	v_dual_fma_f32 v9, v6, v0, -v12 :: v_dual_mul_f32 v12, v7, v3
	v_dual_fmac_f32 v17, v7, v0 :: v_dual_mul_f32 v13, v6, v3
	s_delay_alu instid0(VALU_DEP_2) | instskip(NEXT) | instid1(VALU_DEP_2)
	v_dual_add_f32 v16, v64, v16 :: v_dual_add_f32 v68, v11, v9
	v_dual_fma_f32 v6, v6, v2, -v12 :: v_dual_add_f32 v70, v53, v17
	s_delay_alu instid0(VALU_DEP_3) | instskip(SKIP_2) | instid1(VALU_DEP_2)
	v_fmac_f32_e32 v13, v7, v2
	v_dual_mul_f32 v7, v15, v1 :: v_dual_mul_f32 v1, v14, v1
	v_dual_mul_f32 v9, v15, v3 :: v_dual_mul_f32 v3, v14, v3
	v_dual_add_f32 v64, v4, v6 :: v_dual_fma_f32 v4, v14, v0, -v7
	s_delay_alu instid0(VALU_DEP_3) | instskip(NEXT) | instid1(VALU_DEP_3)
	v_fmac_f32_e32 v1, v15, v0
	v_dual_fma_f32 v0, v14, v2, -v9 :: v_dual_add_f32 v66, v60, v13
	s_delay_alu instid0(VALU_DEP_3) | instskip(NEXT) | instid1(VALU_DEP_2)
	v_dual_fmac_f32 v3, v15, v2 :: v_dual_add_f32 v60, v10, v4
	v_dual_add_f32 v62, v5, v1 :: v_dual_add_f32 v18, v8, v0
	s_delay_alu instid0(VALU_DEP_2)
	v_add_f32_e32 v16, v16, v3
	s_cbranch_scc1 .LBB76_56
.LBB76_11:                              ;   Parent Loop BB76_4 Depth=1
                                        ;     Parent Loop BB76_8 Depth=2
                                        ; =>    This Inner Loop Header: Depth=3
	v_add_nc_u64_e32 v[2:3], s[46:47], v[26:27]
	v_cmp_eq_u64_e64 s7, s[46:47], v[32:33]
	v_add_nc_u64_e32 v[0:1], s[38:39], v[48:49]
	s_delay_alu instid0(VALU_DEP_3) | instskip(SKIP_3) | instid1(SALU_CYCLE_1)
	v_cmp_le_i64_e64 s6, s[42:43], v[2:3]
	v_cmp_lt_i64_e64 s5, v[2:3], v[20:21]
	s_and_b32 s56, s52, s7
	s_or_b32 s7, s6, s5
	s_or_b32 s7, s7, s56
	s_delay_alu instid0(SALU_CYCLE_1) | instskip(NEXT) | instid1(SALU_CYCLE_1)
	s_nor_b32 s7, s0, s7
	s_and_saveexec_b32 s8, s7
	s_delay_alu instid0(SALU_CYCLE_1)
	s_xor_b32 s7, exec_lo, s8
	s_cbranch_execz .LBB76_13
; %bb.12:                               ;   in Loop: Header=BB76_11 Depth=3
	global_load_b64 v[4:5], v[0:1], off
	s_wait_loadcnt 0x0
	ds_store_b64 v67, v[4:5]
.LBB76_13:                              ;   in Loop: Header=BB76_11 Depth=3
	s_wait_xcnt 0x0
	s_or_saveexec_b32 s7, s7
	s_xor_b32 s55, s56, -1
	s_xor_b32 exec_lo, exec_lo, s7
	s_cbranch_execz .LBB76_19
; %bb.14:                               ;   in Loop: Header=BB76_11 Depth=3
	s_and_saveexec_b32 s8, s55
	s_delay_alu instid0(SALU_CYCLE_1)
	s_xor_b32 s8, exec_lo, s8
; %bb.15:                               ;   in Loop: Header=BB76_11 Depth=3
	ds_store_b64 v67, v[22:23]
; %bb.16:                               ;   in Loop: Header=BB76_11 Depth=3
	s_and_not1_saveexec_b32 s8, s8
; %bb.17:                               ;   in Loop: Header=BB76_11 Depth=3
	ds_store_b64 v67, v[24:25]
; %bb.18:                               ;   in Loop: Header=BB76_11 Depth=3
	s_or_b32 exec_lo, exec_lo, s8
.LBB76_19:                              ;   in Loop: Header=BB76_11 Depth=3
	s_delay_alu instid0(SALU_CYCLE_1) | instskip(SKIP_2) | instid1(VALU_DEP_2)
	s_or_b32 exec_lo, exec_lo, s7
	v_add_nc_u64_e32 v[4:5], 16, v[32:33]
	v_cmp_gt_i64_e64 s8, v[30:31], v[2:3]
	v_cmp_eq_u64_e64 s7, s[46:47], v[4:5]
	v_add_nc_u64_e32 v[4:5], s[38:39], v[46:47]
	s_or_b32 s6, s6, s8
	s_and_b32 s7, s52, s7
	s_delay_alu instid0(SALU_CYCLE_1) | instskip(NEXT) | instid1(SALU_CYCLE_1)
	s_or_b32 s6, s6, s7
	s_nor_b32 s6, s3, s6
	s_delay_alu instid0(SALU_CYCLE_1) | instskip(NEXT) | instid1(SALU_CYCLE_1)
	s_and_saveexec_b32 s8, s6
	s_xor_b32 s6, exec_lo, s8
	s_cbranch_execz .LBB76_21
; %bb.20:                               ;   in Loop: Header=BB76_11 Depth=3
	global_load_b64 v[6:7], v[4:5], off
	s_wait_loadcnt 0x0
	ds_store_b64 v67, v[6:7] offset:128
.LBB76_21:                              ;   in Loop: Header=BB76_11 Depth=3
	s_wait_xcnt 0x0
	s_and_not1_saveexec_b32 s6, s6
	s_cbranch_execz .LBB76_27
; %bb.22:                               ;   in Loop: Header=BB76_11 Depth=3
	s_xor_b32 s7, s7, -1
	s_delay_alu instid0(SALU_CYCLE_1) | instskip(NEXT) | instid1(SALU_CYCLE_1)
	s_and_saveexec_b32 s8, s7
	s_xor_b32 s7, exec_lo, s8
; %bb.23:                               ;   in Loop: Header=BB76_11 Depth=3
	ds_store_b64 v67, v[22:23] offset:128
; %bb.24:                               ;   in Loop: Header=BB76_11 Depth=3
	s_and_not1_saveexec_b32 s7, s7
; %bb.25:                               ;   in Loop: Header=BB76_11 Depth=3
	ds_store_b64 v67, v[24:25] offset:128
; %bb.26:                               ;   in Loop: Header=BB76_11 Depth=3
	s_or_b32 exec_lo, exec_lo, s7
.LBB76_27:                              ;   in Loop: Header=BB76_11 Depth=3
	s_delay_alu instid0(SALU_CYCLE_1) | instskip(SKIP_2) | instid1(VALU_DEP_2)
	s_or_b32 exec_lo, exec_lo, s6
	v_add_nc_u64_e32 v[2:3], 16, v[2:3]
	v_cmp_eq_u64_e64 s7, s[46:47], v[34:35]
	v_cmp_le_i64_e64 s6, s[42:43], v[2:3]
	v_cmp_lt_i64_e64 s8, v[2:3], v[20:21]
	s_and_b32 s57, s52, s7
	s_or_b32 s7, s6, s8
	s_delay_alu instid0(SALU_CYCLE_1) | instskip(NEXT) | instid1(SALU_CYCLE_1)
	s_or_b32 s7, s7, s57
	s_nor_b32 s7, s0, s7
	s_delay_alu instid0(SALU_CYCLE_1) | instskip(NEXT) | instid1(SALU_CYCLE_1)
	s_and_saveexec_b32 s8, s7
	s_xor_b32 s7, exec_lo, s8
	s_cbranch_execz .LBB76_29
; %bb.28:                               ;   in Loop: Header=BB76_11 Depth=3
	global_load_b64 v[0:1], v[0:1], off offset:128
	s_wait_loadcnt 0x0
	ds_store_b64 v67, v[0:1] offset:4096
.LBB76_29:                              ;   in Loop: Header=BB76_11 Depth=3
	s_wait_xcnt 0x0
	s_and_not1_saveexec_b32 s7, s7
	s_cbranch_execz .LBB76_35
; %bb.30:                               ;   in Loop: Header=BB76_11 Depth=3
	s_xor_b32 s8, s57, -1
	s_delay_alu instid0(SALU_CYCLE_1) | instskip(NEXT) | instid1(SALU_CYCLE_1)
	s_and_saveexec_b32 s57, s8
	s_xor_b32 s8, exec_lo, s57
; %bb.31:                               ;   in Loop: Header=BB76_11 Depth=3
	ds_store_b64 v67, v[22:23] offset:4096
; %bb.32:                               ;   in Loop: Header=BB76_11 Depth=3
	s_and_not1_saveexec_b32 s8, s8
; %bb.33:                               ;   in Loop: Header=BB76_11 Depth=3
	ds_store_b64 v67, v[24:25] offset:4096
; %bb.34:                               ;   in Loop: Header=BB76_11 Depth=3
	s_or_b32 exec_lo, exec_lo, s8
.LBB76_35:                              ;   in Loop: Header=BB76_11 Depth=3
	s_delay_alu instid0(SALU_CYCLE_1) | instskip(SKIP_1) | instid1(SALU_CYCLE_1)
	s_or_b32 exec_lo, exec_lo, s7
	s_or_b32 s5, s6, s5
	s_or_b32 s5, s5, s56
	s_delay_alu instid0(SALU_CYCLE_1) | instskip(NEXT) | instid1(SALU_CYCLE_1)
	s_nor_b32 s5, s3, s5
	s_and_saveexec_b32 s6, s5
	s_delay_alu instid0(SALU_CYCLE_1)
	s_xor_b32 s5, exec_lo, s6
	s_cbranch_execz .LBB76_37
; %bb.36:                               ;   in Loop: Header=BB76_11 Depth=3
	global_load_b64 v[0:1], v[4:5], off offset:128
	s_wait_loadcnt 0x0
	ds_store_b64 v67, v[0:1] offset:4224
.LBB76_37:                              ;   in Loop: Header=BB76_11 Depth=3
	s_wait_xcnt 0x0
	s_and_not1_saveexec_b32 s5, s5
	s_cbranch_execz .LBB76_43
; %bb.38:                               ;   in Loop: Header=BB76_11 Depth=3
	s_and_saveexec_b32 s6, s55
	s_delay_alu instid0(SALU_CYCLE_1)
	s_xor_b32 s6, exec_lo, s6
; %bb.39:                               ;   in Loop: Header=BB76_11 Depth=3
	ds_store_b64 v67, v[22:23] offset:4224
; %bb.40:                               ;   in Loop: Header=BB76_11 Depth=3
	s_and_not1_saveexec_b32 s6, s6
; %bb.41:                               ;   in Loop: Header=BB76_11 Depth=3
	ds_store_b64 v67, v[24:25] offset:4224
; %bb.42:                               ;   in Loop: Header=BB76_11 Depth=3
	s_or_b32 exec_lo, exec_lo, s6
.LBB76_43:                              ;   in Loop: Header=BB76_11 Depth=3
	s_delay_alu instid0(SALU_CYCLE_1) | instskip(SKIP_3) | instid1(VALU_DEP_3)
	s_or_b32 exec_lo, exec_lo, s5
	v_add_nc_u64_e32 v[2:3], s[46:47], v[20:21]
	v_add_nc_u64_e32 v[0:1], s[38:39], v[56:57]
	v_dual_mov_b32 v4, 0 :: v_dual_mov_b32 v5, 0
	v_cmp_gt_i64_e64 s5, s[42:43], v[2:3]
	s_and_b32 s7, vcc_lo, s5
	s_delay_alu instid0(SALU_CYCLE_1)
	s_and_saveexec_b32 s6, s7
	s_cbranch_execz .LBB76_45
; %bb.44:                               ;   in Loop: Header=BB76_11 Depth=3
	global_load_b64 v[4:5], v[0:1], off
.LBB76_45:                              ;   in Loop: Header=BB76_11 Depth=3
	s_wait_xcnt 0x0
	s_or_b32 exec_lo, exec_lo, s6
	v_cmp_gt_i64_e64 s6, s[20:21], v[2:3]
	s_wait_loadcnt 0x0
	ds_store_b64 v69, v[4:5]
	s_and_b32 s7, vcc_lo, s6
	s_delay_alu instid0(SALU_CYCLE_1) | instskip(NEXT) | instid1(SALU_CYCLE_1)
	s_xor_b32 s7, s7, -1
	s_and_saveexec_b32 s8, s7
	s_delay_alu instid0(SALU_CYCLE_1)
	s_xor_b32 s7, exec_lo, s8
; %bb.46:                               ;   in Loop: Header=BB76_11 Depth=3
	ds_store_b64 v69, v[22:23] offset:128
                                        ; implicit-def: $vgpr0_vgpr1
; %bb.47:                               ;   in Loop: Header=BB76_11 Depth=3
	s_and_not1_saveexec_b32 s7, s7
	s_cbranch_execz .LBB76_49
; %bb.48:                               ;   in Loop: Header=BB76_11 Depth=3
	global_load_b64 v[0:1], v[0:1], off offset:128
	s_wait_loadcnt 0x0
	ds_store_b64 v69, v[0:1] offset:128
.LBB76_49:                              ;   in Loop: Header=BB76_11 Depth=3
	s_wait_xcnt 0x0
	s_or_b32 exec_lo, exec_lo, s7
	v_add_nc_u64_e32 v[0:1], s[38:39], v[58:59]
	v_dual_mov_b32 v2, 0 :: v_dual_mov_b32 v3, 0
	s_and_b32 s7, s4, s5
	s_delay_alu instid0(SALU_CYCLE_1)
	s_and_saveexec_b32 s5, s7
	s_cbranch_execz .LBB76_51
; %bb.50:                               ;   in Loop: Header=BB76_11 Depth=3
	global_load_b64 v[2:3], v[0:1], off
.LBB76_51:                              ;   in Loop: Header=BB76_11 Depth=3
	s_wait_xcnt 0x0
	s_or_b32 exec_lo, exec_lo, s5
	s_and_b32 s5, s4, s6
	s_wait_loadcnt 0x0
	ds_store_b64 v69, v[2:3] offset:4096
	s_xor_b32 s5, s5, -1
	s_delay_alu instid0(SALU_CYCLE_1) | instskip(NEXT) | instid1(SALU_CYCLE_1)
	s_and_saveexec_b32 s6, s5
	s_xor_b32 s5, exec_lo, s6
; %bb.52:                               ;   in Loop: Header=BB76_11 Depth=3
	ds_store_b64 v69, v[22:23] offset:4224
                                        ; implicit-def: $vgpr0_vgpr1
; %bb.53:                               ;   in Loop: Header=BB76_11 Depth=3
	s_and_not1_saveexec_b32 s5, s5
	s_cbranch_execz .LBB76_10
; %bb.54:                               ;   in Loop: Header=BB76_11 Depth=3
	global_load_b64 v[0:1], v[0:1], off offset:128
	s_wait_loadcnt 0x0
	ds_store_b64 v69, v[0:1] offset:4224
	s_branch .LBB76_10
.LBB76_55:                              ;   in Loop: Header=BB76_8 Depth=2
	v_dual_mov_b32 v68, 0 :: v_dual_mov_b32 v70, 0
	v_dual_mov_b32 v64, 0 :: v_dual_mov_b32 v66, 0
	;; [unrolled: 1-line block ×4, first 2 shown]
.LBB76_56:                              ;   in Loop: Header=BB76_8 Depth=2
	v_mul_u64_e32 v[0:1], s[28:29], v[54:55]
	v_cmp_gt_i32_e32 vcc_lo, s10, v54
	s_and_b32 s5, s1, vcc_lo
	s_delay_alu instid0(VALU_DEP_2)
	v_lshl_add_u64 v[0:1], v[0:1], 3, s[26:27]
	s_and_saveexec_b32 s4, s5
	s_cbranch_execz .LBB76_58
; %bb.57:                               ;   in Loop: Header=BB76_8 Depth=2
	s_delay_alu instid0(VALU_DEP_1) | instskip(SKIP_4) | instid1(VALU_DEP_2)
	v_lshl_add_u64 v[2:3], v[20:21], 3, v[0:1]
	v_pk_mul_f32 v[6:7], v[70:71], v[50:51] op_sel_hi:[0,1]
	global_load_b64 v[4:5], v[2:3], off
	v_pk_fma_f32 v[8:9], v[68:69], v[42:43], v[6:7] op_sel_hi:[0,1,1]
	v_pk_fma_f32 v[6:7], v[68:69], v[42:43], v[6:7] neg_lo:[0,0,1] neg_hi:[0,0,1]
	v_mov_b32_e32 v7, v9
	s_wait_loadcnt 0x0
	s_delay_alu instid0(VALU_DEP_1)
	v_pk_add_f32 v[4:5], v[4:5], v[6:7]
	global_store_b64 v[2:3], v[4:5], off
.LBB76_58:                              ;   in Loop: Header=BB76_8 Depth=2
	s_wait_xcnt 0x0
	s_or_b32 exec_lo, exec_lo, s4
	s_and_b32 s5, s2, vcc_lo
	s_delay_alu instid0(SALU_CYCLE_1)
	s_and_saveexec_b32 s4, s5
	s_cbranch_execz .LBB76_60
; %bb.59:                               ;   in Loop: Header=BB76_8 Depth=2
	v_lshl_add_u64 v[0:1], v[28:29], 3, v[0:1]
	v_pk_mul_f32 v[4:5], v[66:67], v[50:51] op_sel_hi:[0,1]
	global_load_b64 v[2:3], v[0:1], off
	v_pk_fma_f32 v[6:7], v[64:65], v[42:43], v[4:5] op_sel_hi:[0,1,1]
	v_pk_fma_f32 v[4:5], v[64:65], v[42:43], v[4:5] neg_lo:[0,0,1] neg_hi:[0,0,1]
	s_delay_alu instid0(VALU_DEP_2) | instskip(SKIP_1) | instid1(VALU_DEP_1)
	v_mov_b32_e32 v5, v7
	s_wait_loadcnt 0x0
	v_pk_add_f32 v[2:3], v[2:3], v[4:5]
	global_store_b64 v[0:1], v[2:3], off
.LBB76_60:                              ;   in Loop: Header=BB76_8 Depth=2
	s_wait_xcnt 0x0
	s_or_b32 exec_lo, exec_lo, s4
	v_add_nc_u32_e32 v0, 16, v54
	s_delay_alu instid0(VALU_DEP_1) | instskip(SKIP_1) | instid1(VALU_DEP_2)
	v_ashrrev_i32_e32 v1, 31, v0
	v_cmp_gt_i32_e32 vcc_lo, s10, v0
	v_mul_u64_e32 v[2:3], s[28:29], v[0:1]
	s_and_b32 s5, s1, vcc_lo
	s_delay_alu instid0(VALU_DEP_1)
	v_lshl_add_u64 v[0:1], v[2:3], 3, s[26:27]
	s_and_saveexec_b32 s4, s5
	s_cbranch_execz .LBB76_62
; %bb.61:                               ;   in Loop: Header=BB76_8 Depth=2
	s_delay_alu instid0(VALU_DEP_1) | instskip(SKIP_4) | instid1(VALU_DEP_2)
	v_lshl_add_u64 v[2:3], v[20:21], 3, v[0:1]
	v_pk_mul_f32 v[6:7], v[62:63], v[50:51] op_sel_hi:[0,1]
	global_load_b64 v[4:5], v[2:3], off
	v_pk_fma_f32 v[8:9], v[60:61], v[42:43], v[6:7] op_sel_hi:[0,1,1]
	v_pk_fma_f32 v[6:7], v[60:61], v[42:43], v[6:7] neg_lo:[0,0,1] neg_hi:[0,0,1]
	v_mov_b32_e32 v7, v9
	s_wait_loadcnt 0x0
	s_delay_alu instid0(VALU_DEP_1)
	v_pk_add_f32 v[4:5], v[4:5], v[6:7]
	global_store_b64 v[2:3], v[4:5], off
.LBB76_62:                              ;   in Loop: Header=BB76_8 Depth=2
	s_wait_xcnt 0x0
	s_or_b32 exec_lo, exec_lo, s4
	s_and_b32 s5, s2, vcc_lo
	s_delay_alu instid0(SALU_CYCLE_1)
	s_and_saveexec_b32 s4, s5
	s_cbranch_execz .LBB76_7
; %bb.63:                               ;   in Loop: Header=BB76_8 Depth=2
	v_lshl_add_u64 v[0:1], v[28:29], 3, v[0:1]
	v_pk_mul_f32 v[4:5], v[16:17], v[50:51] op_sel_hi:[0,1]
	global_load_b64 v[2:3], v[0:1], off
	v_pk_fma_f32 v[6:7], v[18:19], v[42:43], v[4:5] op_sel_hi:[0,1,1]
	v_pk_fma_f32 v[4:5], v[18:19], v[42:43], v[4:5] neg_lo:[0,0,1] neg_hi:[0,0,1]
	s_delay_alu instid0(VALU_DEP_2) | instskip(SKIP_1) | instid1(VALU_DEP_1)
	v_mov_b32_e32 v5, v7
	s_wait_loadcnt 0x0
	v_pk_add_f32 v[2:3], v[2:3], v[4:5]
	global_store_b64 v[0:1], v[2:3], off
	s_branch .LBB76_7
.LBB76_64:
	s_sendmsg sendmsg(MSG_DEALLOC_VGPRS)
	s_endpgm
	.section	.rodata,"a",@progbits
	.p2align	6, 0x0
	.amdhsa_kernel _ZL30rocblas_trmm_outofplace_kernelI19rocblas_complex_numIfELi32ELi2ELb1ELb0ELb1ELb0EPKS1_S2_S1_Ev17rocblas_diagonal_iiT6_lPT7_lllS7_lllPT8_llli
		.amdhsa_group_segment_fixed_size 16384
		.amdhsa_private_segment_fixed_size 0
		.amdhsa_kernarg_size 392
		.amdhsa_user_sgpr_count 2
		.amdhsa_user_sgpr_dispatch_ptr 0
		.amdhsa_user_sgpr_queue_ptr 0
		.amdhsa_user_sgpr_kernarg_segment_ptr 1
		.amdhsa_user_sgpr_dispatch_id 0
		.amdhsa_user_sgpr_kernarg_preload_length 0
		.amdhsa_user_sgpr_kernarg_preload_offset 0
		.amdhsa_user_sgpr_private_segment_size 0
		.amdhsa_wavefront_size32 1
		.amdhsa_uses_dynamic_stack 0
		.amdhsa_enable_private_segment 0
		.amdhsa_system_sgpr_workgroup_id_x 1
		.amdhsa_system_sgpr_workgroup_id_y 1
		.amdhsa_system_sgpr_workgroup_id_z 1
		.amdhsa_system_sgpr_workgroup_info 0
		.amdhsa_system_vgpr_workitem_id 1
		.amdhsa_next_free_vgpr 94
		.amdhsa_next_free_sgpr 58
		.amdhsa_named_barrier_count 0
		.amdhsa_reserve_vcc 1
		.amdhsa_float_round_mode_32 0
		.amdhsa_float_round_mode_16_64 0
		.amdhsa_float_denorm_mode_32 3
		.amdhsa_float_denorm_mode_16_64 3
		.amdhsa_fp16_overflow 0
		.amdhsa_memory_ordered 1
		.amdhsa_forward_progress 1
		.amdhsa_inst_pref_size 60
		.amdhsa_round_robin_scheduling 0
		.amdhsa_exception_fp_ieee_invalid_op 0
		.amdhsa_exception_fp_denorm_src 0
		.amdhsa_exception_fp_ieee_div_zero 0
		.amdhsa_exception_fp_ieee_overflow 0
		.amdhsa_exception_fp_ieee_underflow 0
		.amdhsa_exception_fp_ieee_inexact 0
		.amdhsa_exception_int_div_zero 0
	.end_amdhsa_kernel
	.section	.text._ZL30rocblas_trmm_outofplace_kernelI19rocblas_complex_numIfELi32ELi2ELb1ELb0ELb1ELb0EPKS1_S2_S1_Ev17rocblas_diagonal_iiT6_lPT7_lllS7_lllPT8_llli,"axG",@progbits,_ZL30rocblas_trmm_outofplace_kernelI19rocblas_complex_numIfELi32ELi2ELb1ELb0ELb1ELb0EPKS1_S2_S1_Ev17rocblas_diagonal_iiT6_lPT7_lllS7_lllPT8_llli,comdat
.Lfunc_end76:
	.size	_ZL30rocblas_trmm_outofplace_kernelI19rocblas_complex_numIfELi32ELi2ELb1ELb0ELb1ELb0EPKS1_S2_S1_Ev17rocblas_diagonal_iiT6_lPT7_lllS7_lllPT8_llli, .Lfunc_end76-_ZL30rocblas_trmm_outofplace_kernelI19rocblas_complex_numIfELi32ELi2ELb1ELb0ELb1ELb0EPKS1_S2_S1_Ev17rocblas_diagonal_iiT6_lPT7_lllS7_lllPT8_llli
                                        ; -- End function
	.set _ZL30rocblas_trmm_outofplace_kernelI19rocblas_complex_numIfELi32ELi2ELb1ELb0ELb1ELb0EPKS1_S2_S1_Ev17rocblas_diagonal_iiT6_lPT7_lllS7_lllPT8_llli.num_vgpr, 94
	.set _ZL30rocblas_trmm_outofplace_kernelI19rocblas_complex_numIfELi32ELi2ELb1ELb0ELb1ELb0EPKS1_S2_S1_Ev17rocblas_diagonal_iiT6_lPT7_lllS7_lllPT8_llli.num_agpr, 0
	.set _ZL30rocblas_trmm_outofplace_kernelI19rocblas_complex_numIfELi32ELi2ELb1ELb0ELb1ELb0EPKS1_S2_S1_Ev17rocblas_diagonal_iiT6_lPT7_lllS7_lllPT8_llli.numbered_sgpr, 58
	.set _ZL30rocblas_trmm_outofplace_kernelI19rocblas_complex_numIfELi32ELi2ELb1ELb0ELb1ELb0EPKS1_S2_S1_Ev17rocblas_diagonal_iiT6_lPT7_lllS7_lllPT8_llli.num_named_barrier, 0
	.set _ZL30rocblas_trmm_outofplace_kernelI19rocblas_complex_numIfELi32ELi2ELb1ELb0ELb1ELb0EPKS1_S2_S1_Ev17rocblas_diagonal_iiT6_lPT7_lllS7_lllPT8_llli.private_seg_size, 0
	.set _ZL30rocblas_trmm_outofplace_kernelI19rocblas_complex_numIfELi32ELi2ELb1ELb0ELb1ELb0EPKS1_S2_S1_Ev17rocblas_diagonal_iiT6_lPT7_lllS7_lllPT8_llli.uses_vcc, 1
	.set _ZL30rocblas_trmm_outofplace_kernelI19rocblas_complex_numIfELi32ELi2ELb1ELb0ELb1ELb0EPKS1_S2_S1_Ev17rocblas_diagonal_iiT6_lPT7_lllS7_lllPT8_llli.uses_flat_scratch, 0
	.set _ZL30rocblas_trmm_outofplace_kernelI19rocblas_complex_numIfELi32ELi2ELb1ELb0ELb1ELb0EPKS1_S2_S1_Ev17rocblas_diagonal_iiT6_lPT7_lllS7_lllPT8_llli.has_dyn_sized_stack, 0
	.set _ZL30rocblas_trmm_outofplace_kernelI19rocblas_complex_numIfELi32ELi2ELb1ELb0ELb1ELb0EPKS1_S2_S1_Ev17rocblas_diagonal_iiT6_lPT7_lllS7_lllPT8_llli.has_recursion, 0
	.set _ZL30rocblas_trmm_outofplace_kernelI19rocblas_complex_numIfELi32ELi2ELb1ELb0ELb1ELb0EPKS1_S2_S1_Ev17rocblas_diagonal_iiT6_lPT7_lllS7_lllPT8_llli.has_indirect_call, 0
	.section	.AMDGPU.csdata,"",@progbits
; Kernel info:
; codeLenInByte = 7632
; TotalNumSgprs: 60
; NumVgprs: 94
; ScratchSize: 0
; MemoryBound: 1
; FloatMode: 240
; IeeeMode: 1
; LDSByteSize: 16384 bytes/workgroup (compile time only)
; SGPRBlocks: 0
; VGPRBlocks: 5
; NumSGPRsForWavesPerEU: 60
; NumVGPRsForWavesPerEU: 94
; NamedBarCnt: 0
; Occupancy: 10
; WaveLimiterHint : 0
; COMPUTE_PGM_RSRC2:SCRATCH_EN: 0
; COMPUTE_PGM_RSRC2:USER_SGPR: 2
; COMPUTE_PGM_RSRC2:TRAP_HANDLER: 0
; COMPUTE_PGM_RSRC2:TGID_X_EN: 1
; COMPUTE_PGM_RSRC2:TGID_Y_EN: 1
; COMPUTE_PGM_RSRC2:TGID_Z_EN: 1
; COMPUTE_PGM_RSRC2:TIDIG_COMP_CNT: 1
	.section	.text._ZL30rocblas_trmm_outofplace_kernelI19rocblas_complex_numIfELi32ELi2ELb1ELb0ELb1ELb0ES1_KS1_S1_Ev17rocblas_diagonal_iiT6_lPT7_lllS6_lllPT8_llli,"axG",@progbits,_ZL30rocblas_trmm_outofplace_kernelI19rocblas_complex_numIfELi32ELi2ELb1ELb0ELb1ELb0ES1_KS1_S1_Ev17rocblas_diagonal_iiT6_lPT7_lllS6_lllPT8_llli,comdat
	.globl	_ZL30rocblas_trmm_outofplace_kernelI19rocblas_complex_numIfELi32ELi2ELb1ELb0ELb1ELb0ES1_KS1_S1_Ev17rocblas_diagonal_iiT6_lPT7_lllS6_lllPT8_llli ; -- Begin function _ZL30rocblas_trmm_outofplace_kernelI19rocblas_complex_numIfELi32ELi2ELb1ELb0ELb1ELb0ES1_KS1_S1_Ev17rocblas_diagonal_iiT6_lPT7_lllS6_lllPT8_llli
	.p2align	8
	.type	_ZL30rocblas_trmm_outofplace_kernelI19rocblas_complex_numIfELi32ELi2ELb1ELb0ELb1ELb0ES1_KS1_S1_Ev17rocblas_diagonal_iiT6_lPT7_lllS6_lllPT8_llli,@function
_ZL30rocblas_trmm_outofplace_kernelI19rocblas_complex_numIfELi32ELi2ELb1ELb0ELb1ELb0ES1_KS1_S1_Ev17rocblas_diagonal_iiT6_lPT7_lllS6_lllPT8_llli: ; @_ZL30rocblas_trmm_outofplace_kernelI19rocblas_complex_numIfELi32ELi2ELb1ELb0ELb1ELb0ES1_KS1_S1_Ev17rocblas_diagonal_iiT6_lPT7_lllS6_lllPT8_llli
; %bb.0:
	s_load_b32 s31, s[0:1], 0x80
	s_bfe_u32 s2, ttmp6, 0x40014
	s_lshr_b32 s3, ttmp7, 16
	s_add_co_i32 s2, s2, 1
	s_bfe_u32 s5, ttmp6, 0x40008
	s_mul_i32 s4, s3, s2
	s_getreg_b32 s2, hwreg(HW_REG_IB_STS2, 6, 4)
	s_add_co_i32 s5, s5, s4
	s_cmp_eq_u32 s2, 0
	s_cselect_b32 s34, s3, s5
	s_wait_kmcnt 0x0
	s_cmp_ge_u32 s34, s31
	s_cbranch_scc1 .LBB77_63
; %bb.1:
	s_load_b64 s[36:37], s[0:1], 0xc
	s_wait_kmcnt 0x0
	s_or_b32 s3, s36, s37
	s_delay_alu instid0(SALU_CYCLE_1) | instskip(NEXT) | instid1(SALU_CYCLE_1)
	s_bitset0_b32 s3, 31
	s_cmp_eq_u32 s3, 0
	s_cbranch_scc1 .LBB77_63
; %bb.2:
	s_load_b96 s[28:30], s[0:1], 0x0
	s_bfe_u32 s4, ttmp6, 0x4000c
	s_bfe_u32 s6, ttmp6, 0x40010
	s_and_b32 s5, ttmp7, 0xffff
	s_add_co_i32 s4, s4, 1
	s_add_co_i32 s6, s6, 1
	s_and_b32 s3, ttmp6, 15
	s_bfe_u32 s7, ttmp6, 0x40004
	s_mul_i32 s4, ttmp9, s4
	s_mul_i32 s6, s5, s6
	s_add_co_i32 s3, s3, s4
	s_add_co_i32 s7, s7, s6
	v_and_b32_e32 v8, 0x3ff, v0
	v_bfe_u32 v59, v0, 10, 10
	s_load_b256 s[20:27], s[0:1], 0x60
	v_mov_b64_e32 v[22:23], 0
	v_mov_b64_e32 v[24:25], 0x3f800000
	s_add_nc_u64 s[38:39], s[0:1], 0x88
	s_mov_b32 s35, 0
	s_mov_b32 s40, s37
	s_wait_kmcnt 0x0
	s_add_co_i32 s8, s30, -1
	s_mov_b32 s42, s29
	s_ashr_i32 s9, s8, 31
	s_mov_b32 s41, s36
	s_lshr_b32 s9, s9, 27
	s_mov_b32 s44, s30
	s_add_co_i32 s8, s8, s9
	v_lshlrev_b32_e32 v9, 8, v59
	s_ashr_i32 s33, s8, 5
	s_cmp_eq_u32 s2, 0
	s_cselect_b32 s48, s5, s7
	s_cselect_b32 s2, ttmp9, s3
	s_cmp_le_i32 s48, s33
	s_load_b512 s[4:19], s[0:1], 0x20
	s_cselect_b32 s49, -1, 0
	s_lshl_b32 s43, s2, 5
	s_delay_alu instid0(SALU_CYCLE_1) | instskip(SKIP_3) | instid1(VALU_DEP_3)
	v_dual_lshlrev_b32 v61, 3, v8 :: v_dual_add_nc_u32 v26, s43, v59
	v_add_nc_u32_e32 v20, s43, v8
	s_sub_co_i32 s50, s29, s43
	v_lshl_add_u32 v69, s48, 5, v59
	v_add_nc_u32_e32 v65, v61, v9
	s_cmp_gt_i32 s50, 0
	v_ashrrev_i32_e32 v21, 31, v20
	s_cselect_b32 s51, -1, 0
	s_cmp_eq_u32 s28, 0x84
	v_add_nc_u32_e32 v63, 0x2000, v9
	s_cselect_b32 s52, -1, 0
	v_lshlrev_b64_e32 v[0:1], 3, v[20:21]
	v_ashrrev_i32_e32 v27, 31, v26
	v_add_nc_u64_e32 v[30:31], 16, v[20:21]
	v_dual_add_nc_u32 v67, v63, v61 :: v_dual_add_nc_u32 v28, 16, v20
	s_wait_kmcnt 0x0
	v_mul_u64_e32 v[4:5], s[8:9], v[20:21]
	s_lshl_b64 s[2:3], s[6:7], 3
	v_add_nc_u64_e32 v[2:3], 0x80, v[0:1]
	v_sub_nc_u64_e32 v[32:33], v[20:21], v[26:27]
	s_lshl_b64 s[6:7], s[22:23], 3
	s_ashr_i32 s43, s29, 31
	v_cmp_le_i32_e64 s0, s29, v20
	v_cmp_gt_i32_e64 s1, s29, v20
	v_ashrrev_i32_e32 v29, 31, v28
	v_mad_nc_u64_u32 v[6:7], s8, v2, s[2:3]
	v_add_nc_u64_e32 v[34:35], 16, v[32:33]
	v_add_nc_u64_e32 v[36:37], -16, v[32:33]
	v_add_nc_u32_e32 v70, 0x800, v61
	v_add_nc_u32_e32 v71, 0x1000, v61
	;; [unrolled: 1-line block ×3, first 2 shown]
	s_ashr_i32 s45, s30, 31
	s_lshl_b64 s[10:11], s[10:11], 3
	v_mad_u32 v2, s9, v2, v7
	s_delay_alu instid0(VALU_DEP_1)
	v_mad_u32 v7, s8, v3, v2
	v_lshlrev_b64_e32 v[2:3], 3, v[26:27]
	v_lshl_add_u64 v[4:5], v[4:5], 3, s[2:3]
	s_lshl_b64 s[8:9], s[14:15], 3
	s_add_nc_u64 s[14:15], s[20:21], s[6:7]
	s_add_nc_u64 s[6:7], s[12:13], s[8:9]
	v_cmp_le_i64_e64 s3, s[42:43], v[30:31]
	v_add_nc_u64_e32 v[38:39], s[6:7], v[0:1]
	v_add_nc_u64_e32 v[4:5], v[4:5], v[2:3]
	v_cmp_gt_i32_e64 s2, s29, v28
	s_add_nc_u64 s[20:21], s[42:43], -16
	v_add_nc_u64_e32 v[2:3], v[6:7], v[2:3]
	s_lshl_b64 s[12:13], s[18:19], 3
	s_lshl_b64 s[18:19], s[16:17], 3
	v_add_nc_u64_e32 v[40:41], s[4:5], v[4:5]
	s_delay_alu instid0(VALU_DEP_2)
	v_add_nc_u64_e32 v[42:43], s[4:5], v[2:3]
	s_branch .LBB77_4
.LBB77_3:                               ;   in Loop: Header=BB77_4 Depth=1
	s_add_co_i32 s34, s34, 0x10000
	s_delay_alu instid0(SALU_CYCLE_1)
	s_cmp_ge_u32 s34, s31
	s_cbranch_scc1 .LBB77_63
.LBB77_4:                               ; =>This Loop Header: Depth=1
                                        ;     Child Loop BB77_7 Depth 2
                                        ;       Child Loop BB77_10 Depth 3
	s_and_not1_b32 vcc_lo, exec_lo, s49
	s_cbranch_vccnz .LBB77_3
; %bb.5:                                ;   in Loop: Header=BB77_4 Depth=1
	s_load_b32 s9, s[38:39], 0x4
	v_mad_nc_u64_u32 v[44:45], s12, s34, v[38:39]
	s_delay_alu instid0(VALU_DEP_2)
	v_mad_nc_u64_u32 v[46:47], s10, s34, v[42:43]
	v_mad_nc_u64_u32 v[48:49], s10, s34, v[40:41]
	s_mul_i32 s6, s11, s34
	s_mul_u64 s[4:5], s[26:27], s[34:35]
	v_mov_b32_e32 v50, v69
	s_lshl_b64 s[4:5], s[4:5], 3
	s_mov_b32 s54, s48
	s_add_nc_u64 s[22:23], s[14:15], s[4:5]
	s_delay_alu instid0(VALU_DEP_4) | instskip(NEXT) | instid1(VALU_DEP_3)
	v_mad_u32 v45, s13, s34, v45
	v_dual_add_nc_u32 v47, s6, v47 :: v_dual_add_nc_u32 v49, s6, v49
	s_wait_kmcnt 0x0
	s_lshl_b32 s53, s9, 5
	s_branch .LBB77_7
.LBB77_6:                               ;   in Loop: Header=BB77_7 Depth=2
	s_wait_xcnt 0x0
	s_or_b32 exec_lo, exec_lo, s4
	v_add_nc_u32_e32 v50, s53, v50
	s_add_co_i32 s54, s9, s54
	s_delay_alu instid0(SALU_CYCLE_1)
	s_cmp_gt_i32 s54, s33
	s_cbranch_scc1 .LBB77_3
.LBB77_7:                               ;   Parent Loop BB77_4 Depth=1
                                        ; =>  This Loop Header: Depth=2
                                        ;       Child Loop BB77_10 Depth 3
	v_lshl_add_u32 v52, s54, 5, v59
	s_and_not1_b32 vcc_lo, exec_lo, s51
	s_delay_alu instid0(VALU_DEP_1)
	v_ashrrev_i32_e32 v53, 31, v52
	s_cbranch_vccnz .LBB77_54
; %bb.8:                                ;   in Loop: Header=BB77_7 Depth=2
	v_dual_mov_b32 v16, 0 :: v_dual_ashrrev_i32 v51, 31, v50
	v_mad_nc_u64_u32 v[54:55], s18, v50, v[44:45]
	s_delay_alu instid0(VALU_DEP_3) | instskip(SKIP_1) | instid1(VALU_DEP_4)
	v_sub_nc_u64_e32 v[2:3], s[44:45], v[52:53]
	v_dual_mov_b32 v18, 0 :: v_dual_mov_b32 v60, 0
	v_lshl_add_u64 v[0:1], v[50:51], 3, 0x80
	v_dual_mov_b32 v58, 0 :: v_dual_mov_b32 v64, 0
	v_dual_mov_b32 v62, 0 :: v_dual_mov_b32 v68, 0
	s_delay_alu instid0(VALU_DEP_3)
	v_mad_nc_u64_u32 v[56:57], s16, v0, v[44:45]
	v_cmp_lt_i64_e64 s4, 16, v[2:3]
	v_mad_u32 v4, s19, v50, v55
	v_mov_b32_e32 v66, 0
	s_mov_b64 s[28:29], 0
	s_mov_b64 s[46:47], 0
	v_cmp_lt_i64_e32 vcc_lo, 0, v[2:3]
	v_mad_u32 v0, s17, v0, v57
	s_delay_alu instid0(VALU_DEP_4) | instskip(NEXT) | instid1(VALU_DEP_2)
	v_mad_u32 v55, s18, v51, v4
	v_mad_u32 v57, s16, v1, v0
	s_branch .LBB77_10
.LBB77_9:                               ;   in Loop: Header=BB77_10 Depth=3
	s_wait_xcnt 0x0
	s_or_b32 exec_lo, exec_lo, s5
	s_wait_dscnt 0x0
	s_barrier_signal -1
	s_barrier_wait -1
	ds_load_b128 v[74:77], v63
	ds_load_2addr_b64 v[78:81], v61 offset1:16
	ds_load_b128 v[82:85], v63 offset:4096
	ds_load_b128 v[8:11], v63 offset:16
	ds_load_b128 v[4:7], v63 offset:32
	ds_load_b128 v[0:3], v63 offset:48
	ds_load_2addr_b64 v[86:89], v61 offset0:32 offset1:48
	ds_load_b128 v[12:15], v63 offset:4112
	s_add_nc_u64 s[46:47], s[46:47], 32
	s_add_nc_u64 s[28:29], s[28:29], 0x100
	s_cmp_ge_i32 s46, s50
	s_wait_dscnt 0x6
	v_dual_mul_f32 v17, v75, v79 :: v_dual_mul_f32 v19, v74, v79
	v_dual_mul_f32 v51, v75, v81 :: v_dual_mul_f32 v73, v74, v81
	s_wait_dscnt 0x5
	v_dual_mul_f32 v90, v83, v79 :: v_dual_mul_f32 v79, v82, v79
	v_dual_mul_f32 v91, v83, v81 :: v_dual_mul_f32 v92, v82, v81
	v_dual_fma_f32 v17, v74, v78, -v17 :: v_dual_fmac_f32 v19, v75, v78
	v_dual_fma_f32 v51, v74, v80, -v51 :: v_dual_fmac_f32 v73, v75, v80
	s_delay_alu instid0(VALU_DEP_4) | instskip(NEXT) | instid1(VALU_DEP_3)
	v_dual_fma_f32 v74, v82, v78, -v90 :: v_dual_fmac_f32 v79, v83, v78
	v_dual_fma_f32 v75, v82, v80, -v91 :: v_dual_add_f32 v19, v68, v19
	s_delay_alu instid0(VALU_DEP_4) | instskip(NEXT) | instid1(VALU_DEP_4)
	v_add_f32_e32 v17, v66, v17
	v_dual_add_f32 v51, v62, v51 :: v_dual_add_f32 v62, v64, v73
	s_wait_dscnt 0x1
	v_dual_add_f32 v58, v58, v74 :: v_dual_mul_f32 v64, v77, v87
	v_dual_add_f32 v60, v60, v79 :: v_dual_fmac_f32 v92, v83, v80
	v_add_f32_e32 v18, v18, v75
	ds_load_2addr_b64 v[78:81], v61 offset0:64 offset1:80
	v_dual_mul_f32 v66, v76, v87 :: v_dual_fma_f32 v64, v76, v86, -v64
	v_dual_mul_f32 v68, v77, v89 :: v_dual_add_f32 v73, v16, v92
	s_delay_alu instid0(VALU_DEP_2) | instskip(NEXT) | instid1(VALU_DEP_3)
	v_dual_mul_f32 v16, v76, v89 :: v_dual_fmac_f32 v66, v77, v86
	v_add_f32_e32 v64, v17, v64
	s_delay_alu instid0(VALU_DEP_3) | instskip(NEXT) | instid1(VALU_DEP_3)
	v_dual_fma_f32 v17, v76, v88, -v68 :: v_dual_mul_f32 v68, v85, v87
	v_dual_fmac_f32 v16, v77, v88 :: v_dual_add_f32 v66, v19, v66
	s_delay_alu instid0(VALU_DEP_2) | instskip(NEXT) | instid1(VALU_DEP_3)
	v_dual_mul_f32 v19, v84, v87 :: v_dual_add_f32 v51, v51, v17
	v_dual_fma_f32 v17, v84, v86, -v68 :: v_dual_mul_f32 v68, v85, v89
	s_delay_alu instid0(VALU_DEP_2) | instskip(SKIP_1) | instid1(VALU_DEP_3)
	v_dual_add_f32 v62, v62, v16 :: v_dual_fmac_f32 v19, v85, v86
	v_mul_f32_e32 v74, v84, v89
	v_dual_add_f32 v58, v58, v17 :: v_dual_fma_f32 v16, v84, v88, -v68
	s_wait_dscnt 0x0
	v_dual_mul_f32 v17, v9, v79 :: v_dual_mul_f32 v68, v8, v79
	s_delay_alu instid0(VALU_DEP_3) | instskip(NEXT) | instid1(VALU_DEP_2)
	v_dual_add_f32 v60, v60, v19 :: v_dual_fmac_f32 v74, v85, v88
	v_dual_add_f32 v75, v18, v16 :: v_dual_fma_f32 v76, v8, v78, -v17
	s_delay_alu instid0(VALU_DEP_3) | instskip(SKIP_4) | instid1(VALU_DEP_2)
	v_dual_mul_f32 v77, v9, v81 :: v_dual_fmac_f32 v68, v9, v78
	ds_load_2addr_b64 v[16:19], v61 offset0:96 offset1:112
	v_dual_add_f32 v73, v73, v74 :: v_dual_add_f32 v64, v64, v76
	v_dual_mul_f32 v74, v8, v81 :: v_dual_fma_f32 v8, v8, v80, -v77
	v_dual_add_f32 v66, v66, v68 :: v_dual_mul_f32 v68, v13, v79
	v_dual_mul_f32 v76, v12, v79 :: v_dual_fmac_f32 v74, v9, v80
	s_delay_alu instid0(VALU_DEP_3) | instskip(NEXT) | instid1(VALU_DEP_3)
	v_dual_add_f32 v8, v51, v8 :: v_dual_mul_f32 v9, v13, v81
	v_dual_fma_f32 v51, v12, v78, -v68 :: v_dual_mul_f32 v68, v12, v81
	s_delay_alu instid0(VALU_DEP_2) | instskip(NEXT) | instid1(VALU_DEP_4)
	v_dual_fmac_f32 v76, v13, v78 :: v_dual_fma_f32 v9, v12, v80, -v9
	v_add_f32_e32 v62, v62, v74
	s_delay_alu instid0(VALU_DEP_3) | instskip(SKIP_1) | instid1(VALU_DEP_3)
	v_dual_add_f32 v12, v58, v51 :: v_dual_fmac_f32 v68, v13, v80
	s_wait_dscnt 0x0
	v_dual_add_f32 v51, v60, v76 :: v_dual_mul_f32 v13, v11, v17
	v_mul_f32_e32 v58, v10, v17
	v_add_f32_e32 v9, v75, v9
	ds_load_2addr_b64 v[74:77], v61 offset0:128 offset1:144
	v_dual_mul_f32 v60, v11, v19 :: v_dual_add_f32 v68, v73, v68
	v_dual_fma_f32 v13, v10, v16, -v13 :: v_dual_mul_f32 v73, v10, v19
	s_delay_alu instid0(VALU_DEP_2)
	v_dual_fmac_f32 v58, v11, v16 :: v_dual_fma_f32 v10, v10, v18, -v60
	ds_load_b128 v[78:81], v63 offset:4128
	v_add_f32_e32 v60, v64, v13
	v_mul_f32_e32 v13, v15, v17
	v_fmac_f32_e32 v73, v11, v18
	v_add_f32_e32 v11, v66, v58
	v_dual_add_f32 v58, v8, v10 :: v_dual_mul_f32 v8, v14, v17
	s_delay_alu instid0(VALU_DEP_4) | instskip(NEXT) | instid1(VALU_DEP_4)
	v_fma_f32 v10, v14, v16, -v13
	v_dual_add_f32 v17, v62, v73 :: v_dual_mul_f32 v13, v15, v19
	s_delay_alu instid0(VALU_DEP_2) | instskip(NEXT) | instid1(VALU_DEP_2)
	v_dual_fmac_f32 v8, v15, v16 :: v_dual_add_f32 v16, v12, v10
	v_dual_mul_f32 v10, v14, v19 :: v_dual_fma_f32 v12, v14, v18, -v13
	s_wait_dscnt 0x1
	s_delay_alu instid0(VALU_DEP_2) | instskip(NEXT) | instid1(VALU_DEP_2)
	v_dual_mul_f32 v13, v5, v75 :: v_dual_add_f32 v19, v51, v8
	v_dual_mul_f32 v8, v4, v75 :: v_dual_fmac_f32 v10, v15, v18
	s_delay_alu instid0(VALU_DEP_2) | instskip(SKIP_4) | instid1(VALU_DEP_3)
	v_dual_add_f32 v18, v9, v12 :: v_dual_fma_f32 v9, v4, v74, -v13
	ds_load_2addr_b64 v[12:15], v61 offset0:160 offset1:176
	v_dual_fmac_f32 v8, v5, v74 :: v_dual_mul_f32 v51, v5, v77
	v_mul_f32_e32 v64, v4, v77
	v_add_f32_e32 v62, v68, v10
	v_dual_add_f32 v60, v60, v9 :: v_dual_add_f32 v66, v11, v8
	s_delay_alu instid0(VALU_DEP_4)
	v_fma_f32 v4, v4, v76, -v51
	ds_load_b128 v[8:11], v63 offset:4144
	s_wait_dscnt 0x2
	v_dual_mul_f32 v51, v79, v75 :: v_dual_fmac_f32 v64, v5, v76
	v_mul_f32_e32 v5, v78, v75
	v_dual_add_f32 v4, v58, v4 :: v_dual_mul_f32 v58, v79, v77
	s_delay_alu instid0(VALU_DEP_3) | instskip(NEXT) | instid1(VALU_DEP_3)
	v_dual_fma_f32 v51, v78, v74, -v51 :: v_dual_add_f32 v17, v17, v64
	v_dual_fmac_f32 v5, v79, v74 :: v_dual_mul_f32 v64, v78, v77
	s_delay_alu instid0(VALU_DEP_2) | instskip(SKIP_2) | instid1(VALU_DEP_3)
	v_dual_fma_f32 v58, v78, v76, -v58 :: v_dual_add_f32 v16, v16, v51
	s_wait_dscnt 0x1
	v_mul_f32_e32 v51, v7, v13
	v_fmac_f32_e32 v64, v79, v76
	ds_load_2addr_b64 v[74:77], v61 offset0:192 offset1:208
	v_dual_add_f32 v58, v18, v58 :: v_dual_add_f32 v5, v19, v5
	v_dual_fma_f32 v19, v6, v12, -v51 :: v_dual_mul_f32 v18, v6, v13
	v_dual_mul_f32 v51, v7, v15 :: v_dual_add_f32 v62, v62, v64
	s_delay_alu instid0(VALU_DEP_2) | instskip(NEXT) | instid1(VALU_DEP_2)
	v_dual_add_f32 v60, v60, v19 :: v_dual_fmac_f32 v18, v7, v12
	v_dual_mul_f32 v19, v6, v15 :: v_dual_fma_f32 v6, v6, v14, -v51
	v_dual_mul_f32 v51, v81, v13 :: v_dual_mul_f32 v13, v80, v13
	s_delay_alu instid0(VALU_DEP_3) | instskip(NEXT) | instid1(VALU_DEP_3)
	v_add_f32_e32 v64, v66, v18
	v_fmac_f32_e32 v19, v7, v14
	s_delay_alu instid0(VALU_DEP_4) | instskip(NEXT) | instid1(VALU_DEP_4)
	v_dual_add_f32 v4, v4, v6 :: v_dual_mul_f32 v7, v81, v15
	v_dual_fma_f32 v6, v80, v12, -v51 :: v_dual_fmac_f32 v13, v81, v12
	s_delay_alu instid0(VALU_DEP_3) | instskip(NEXT) | instid1(VALU_DEP_3)
	v_add_f32_e32 v12, v17, v19
	v_dual_mul_f32 v15, v80, v15 :: v_dual_fma_f32 v7, v80, v14, -v7
	s_delay_alu instid0(VALU_DEP_3)
	v_dual_add_f32 v6, v16, v6 :: v_dual_add_f32 v5, v5, v13
	s_wait_dscnt 0x0
	v_mul_f32_e32 v13, v1, v75
	ds_load_2addr_b64 v[16:19], v61 offset0:224 offset1:240
	v_dual_fmac_f32 v15, v81, v14 :: v_dual_mul_f32 v14, v0, v75
	v_dual_add_f32 v7, v58, v7 :: v_dual_fma_f32 v13, v0, v74, -v13
	v_dual_mul_f32 v51, v1, v77 :: v_dual_mul_f32 v58, v0, v77
	s_delay_alu instid0(VALU_DEP_3) | instskip(NEXT) | instid1(VALU_DEP_3)
	v_dual_add_f32 v62, v62, v15 :: v_dual_fmac_f32 v14, v1, v74
	v_add_f32_e32 v60, v60, v13
	s_delay_alu instid0(VALU_DEP_3) | instskip(NEXT) | instid1(VALU_DEP_3)
	v_dual_fma_f32 v0, v0, v76, -v51 :: v_dual_fmac_f32 v58, v1, v76
	v_dual_mul_f32 v1, v9, v75 :: v_dual_add_f32 v51, v64, v14
	v_mul_f32_e32 v13, v8, v75
	s_delay_alu instid0(VALU_DEP_3) | instskip(NEXT) | instid1(VALU_DEP_3)
	v_add_f32_e32 v58, v12, v58
	v_fma_f32 v1, v8, v74, -v1
	s_delay_alu instid0(VALU_DEP_3) | instskip(SKIP_2) | instid1(VALU_DEP_1)
	v_dual_add_f32 v0, v4, v0 :: v_dual_fmac_f32 v13, v9, v74
	v_dual_mul_f32 v4, v9, v77 :: v_dual_mul_f32 v64, v8, v77
	s_wait_dscnt 0x0
	v_dual_fma_f32 v4, v8, v76, -v4 :: v_dual_mul_f32 v8, v3, v17
	s_delay_alu instid0(VALU_DEP_2) | instskip(NEXT) | instid1(VALU_DEP_2)
	v_dual_add_f32 v1, v6, v1 :: v_dual_fmac_f32 v64, v9, v76
	v_dual_add_f32 v66, v5, v13 :: v_dual_add_f32 v9, v7, v4
	s_delay_alu instid0(VALU_DEP_3) | instskip(NEXT) | instid1(VALU_DEP_3)
	v_dual_fma_f32 v4, v2, v16, -v8 :: v_dual_mul_f32 v5, v2, v17
	v_dual_mul_f32 v6, v3, v19 :: v_dual_add_f32 v62, v62, v64
	ds_load_b128 v[12:15], v63 offset:64
	ds_load_2addr_b64 v[74:77], v70 offset1:16
	v_dual_mul_f32 v7, v2, v19 :: v_dual_fmac_f32 v5, v3, v16
	v_dual_add_f32 v60, v60, v4 :: v_dual_fma_f32 v2, v2, v18, -v6
	v_mul_f32_e32 v4, v11, v17
	s_delay_alu instid0(VALU_DEP_3) | instskip(NEXT) | instid1(VALU_DEP_4)
	v_fmac_f32_e32 v7, v3, v18
	v_add_f32_e32 v51, v51, v5
	s_delay_alu instid0(VALU_DEP_4) | instskip(NEXT) | instid1(VALU_DEP_4)
	v_dual_mul_f32 v3, v10, v17 :: v_dual_add_f32 v17, v0, v2
	v_dual_fma_f32 v0, v10, v16, -v4 :: v_dual_mul_f32 v2, v11, v19
	ds_load_b128 v[78:81], v63 offset:4160
	v_dual_add_f32 v58, v58, v7 :: v_dual_fmac_f32 v3, v11, v16
	v_dual_add_f32 v16, v1, v0 :: v_dual_fma_f32 v0, v10, v18, -v2
	v_mul_f32_e32 v1, v10, v19
	ds_load_b128 v[4:7], v63 offset:80
	v_add_f32_e32 v19, v66, v3
	s_wait_dscnt 0x2
	v_dual_mul_f32 v2, v13, v75 :: v_dual_mul_f32 v3, v12, v75
	v_dual_fmac_f32 v1, v11, v18 :: v_dual_add_f32 v18, v9, v0
	ds_load_2addr_b64 v[8:11], v70 offset0:32 offset1:48
	v_dual_fma_f32 v0, v12, v74, -v2 :: v_dual_fmac_f32 v3, v13, v74
	v_dual_mul_f32 v2, v13, v77 :: v_dual_mul_f32 v64, v12, v77
	s_delay_alu instid0(VALU_DEP_2) | instskip(NEXT) | instid1(VALU_DEP_2)
	v_dual_add_f32 v62, v62, v1 :: v_dual_add_f32 v60, v60, v0
	v_dual_add_f32 v51, v51, v3 :: v_dual_fma_f32 v12, v12, v76, -v2
	s_wait_dscnt 0x2
	s_delay_alu instid0(VALU_DEP_3)
	v_dual_mul_f32 v66, v79, v75 :: v_dual_fmac_f32 v64, v13, v76
	v_mul_f32_e32 v13, v78, v75
	ds_load_b128 v[0:3], v63 offset:4176
	v_dual_add_f32 v12, v17, v12 :: v_dual_mul_f32 v17, v79, v77
	v_dual_fma_f32 v66, v78, v74, -v66 :: v_dual_fmac_f32 v13, v79, v74
	v_add_f32_e32 v58, v58, v64
	s_delay_alu instid0(VALU_DEP_3) | instskip(SKIP_1) | instid1(VALU_DEP_3)
	v_dual_mul_f32 v64, v78, v77 :: v_dual_fma_f32 v17, v78, v76, -v17
	s_wait_dscnt 0x1
	v_dual_add_f32 v66, v16, v66 :: v_dual_mul_f32 v16, v15, v9
	v_mul_f32_e32 v73, v14, v9
	v_add_f32_e32 v13, v19, v13
	v_dual_fmac_f32 v64, v79, v76 :: v_dual_add_f32 v68, v18, v17
	s_delay_alu instid0(VALU_DEP_4) | instskip(SKIP_3) | instid1(VALU_DEP_2)
	v_fma_f32 v74, v14, v8, -v16
	ds_load_2addr_b64 v[16:19], v70 offset0:64 offset1:80
	v_dual_mul_f32 v75, v15, v11 :: v_dual_add_f32 v62, v62, v64
	v_dual_fmac_f32 v73, v15, v8 :: v_dual_add_f32 v60, v60, v74
	v_dual_mul_f32 v64, v14, v11 :: v_dual_fma_f32 v14, v14, v10, -v75
	v_dual_mul_f32 v74, v81, v9 :: v_dual_mul_f32 v9, v80, v9
	s_delay_alu instid0(VALU_DEP_3) | instskip(NEXT) | instid1(VALU_DEP_3)
	v_add_f32_e32 v51, v51, v73
	v_fmac_f32_e32 v64, v15, v10
	s_delay_alu instid0(VALU_DEP_4) | instskip(NEXT) | instid1(VALU_DEP_4)
	v_add_f32_e32 v73, v12, v14
	v_dual_fma_f32 v12, v80, v8, -v74 :: v_dual_fmac_f32 v9, v81, v8
	s_delay_alu instid0(VALU_DEP_3) | instskip(NEXT) | instid1(VALU_DEP_2)
	v_dual_mul_f32 v8, v81, v11 :: v_dual_add_f32 v58, v58, v64
	v_dual_mul_f32 v11, v80, v11 :: v_dual_add_f32 v64, v66, v12
	s_delay_alu instid0(VALU_DEP_3)
	v_add_f32_e32 v9, v13, v9
	ds_load_2addr_b64 v[12:15], v70 offset0:96 offset1:112
	s_wait_dscnt 0x1
	v_dual_fma_f32 v8, v80, v10, -v8 :: v_dual_mul_f32 v66, v5, v17
	v_dual_fmac_f32 v11, v81, v10 :: v_dual_mul_f32 v10, v4, v17
	v_mul_f32_e32 v74, v4, v19
	s_delay_alu instid0(VALU_DEP_3) | instskip(NEXT) | instid1(VALU_DEP_4)
	v_dual_add_f32 v8, v68, v8 :: v_dual_mul_f32 v68, v5, v19
	v_fma_f32 v66, v4, v16, -v66
	s_delay_alu instid0(VALU_DEP_4) | instskip(NEXT) | instid1(VALU_DEP_3)
	v_dual_fmac_f32 v10, v5, v16 :: v_dual_add_f32 v62, v62, v11
	v_dual_fmac_f32 v74, v5, v18 :: v_dual_fma_f32 v4, v4, v18, -v68
	s_delay_alu instid0(VALU_DEP_3) | instskip(NEXT) | instid1(VALU_DEP_3)
	v_dual_add_f32 v60, v60, v66 :: v_dual_mul_f32 v5, v1, v17
	v_dual_add_f32 v51, v51, v10 :: v_dual_mul_f32 v10, v0, v17
	v_dual_mul_f32 v11, v1, v19 :: v_dual_mul_f32 v66, v0, v19
	s_delay_alu instid0(VALU_DEP_3) | instskip(SKIP_1) | instid1(VALU_DEP_3)
	v_fma_f32 v5, v0, v16, -v5
	v_dual_add_f32 v4, v73, v4 :: v_dual_add_f32 v58, v58, v74
	v_dual_fmac_f32 v10, v1, v16 :: v_dual_fma_f32 v0, v0, v18, -v11
	s_wait_dscnt 0x0
	v_mul_f32_e32 v11, v7, v13
	v_dual_add_f32 v5, v64, v5 :: v_dual_fmac_f32 v66, v1, v18
	s_delay_alu instid0(VALU_DEP_3) | instskip(NEXT) | instid1(VALU_DEP_3)
	v_dual_add_f32 v64, v9, v10 :: v_dual_add_f32 v0, v8, v0
	v_dual_fma_f32 v1, v6, v12, -v11 :: v_dual_mul_f32 v68, v6, v13
	ds_load_b128 v[8:11], v63 offset:96
	ds_load_2addr_b64 v[16:19], v70 offset0:128 offset1:144
	v_dual_mul_f32 v73, v7, v15 :: v_dual_add_f32 v62, v62, v66
	v_dual_mul_f32 v66, v6, v15 :: v_dual_fmac_f32 v68, v7, v12
	s_delay_alu instid0(VALU_DEP_2) | instskip(SKIP_1) | instid1(VALU_DEP_3)
	v_dual_add_f32 v1, v60, v1 :: v_dual_fma_f32 v6, v6, v14, -v73
	v_dual_mul_f32 v60, v3, v13 :: v_dual_mul_f32 v13, v2, v13
	v_add_f32_e32 v51, v51, v68
	s_delay_alu instid0(VALU_DEP_4) | instskip(NEXT) | instid1(VALU_DEP_3)
	v_fmac_f32_e32 v66, v7, v14
	v_dual_add_f32 v68, v4, v6 :: v_dual_fma_f32 v4, v2, v12, -v60
	v_mul_f32_e32 v6, v3, v15
	ds_load_b128 v[74:77], v63 offset:4192
	v_dual_add_f32 v58, v58, v66 :: v_dual_fmac_f32 v13, v3, v12
	v_dual_add_f32 v60, v5, v4 :: v_dual_fma_f32 v12, v2, v14, -v6
	s_wait_dscnt 0x1
	v_dual_mul_f32 v2, v2, v15 :: v_dual_mul_f32 v15, v9, v17
	v_mul_f32_e32 v66, v8, v17
	v_add_f32_e32 v64, v64, v13
	s_delay_alu instid0(VALU_DEP_3) | instskip(NEXT) | instid1(VALU_DEP_3)
	v_dual_add_f32 v73, v0, v12 :: v_dual_fmac_f32 v2, v3, v14
	v_dual_fma_f32 v0, v8, v16, -v15 :: v_dual_fmac_f32 v66, v9, v16
	ds_load_2addr_b64 v[12:15], v70 offset0:160 offset1:176
	v_mul_f32_e32 v3, v9, v19
	ds_load_b128 v[4:7], v63 offset:112
	v_dual_mul_f32 v79, v8, v19 :: v_dual_add_f32 v51, v51, v66
	v_dual_add_f32 v62, v62, v2 :: v_dual_add_f32 v78, v1, v0
	s_wait_dscnt 0x2
	v_dual_fma_f32 v8, v8, v18, -v3 :: v_dual_mul_f32 v66, v75, v17
	s_delay_alu instid0(VALU_DEP_3) | instskip(NEXT) | instid1(VALU_DEP_2)
	v_dual_fmac_f32 v79, v9, v18 :: v_dual_mul_f32 v9, v74, v17
	v_dual_mul_f32 v17, v75, v19 :: v_dual_add_f32 v8, v68, v8
	s_delay_alu instid0(VALU_DEP_3) | instskip(NEXT) | instid1(VALU_DEP_3)
	v_dual_fma_f32 v66, v74, v16, -v66 :: v_dual_mul_f32 v68, v74, v19
	v_fmac_f32_e32 v9, v75, v16
	s_delay_alu instid0(VALU_DEP_3) | instskip(NEXT) | instid1(VALU_DEP_3)
	v_fma_f32 v16, v74, v18, -v17
	v_dual_add_f32 v58, v58, v79 :: v_dual_add_f32 v60, v60, v66
	s_delay_alu instid0(VALU_DEP_3) | instskip(SKIP_1) | instid1(VALU_DEP_3)
	v_dual_fmac_f32 v68, v75, v18 :: v_dual_add_f32 v9, v64, v9
	s_wait_dscnt 0x1
	v_dual_mul_f32 v17, v11, v13 :: v_dual_add_f32 v64, v73, v16
	v_dual_mul_f32 v66, v10, v13 :: v_dual_mul_f32 v74, v11, v15
	s_delay_alu instid0(VALU_DEP_3) | instskip(NEXT) | instid1(VALU_DEP_3)
	v_add_f32_e32 v62, v62, v68
	v_fma_f32 v73, v10, v12, -v17
	ds_load_2addr_b64 v[16:19], v70 offset0:192 offset1:208
	v_fmac_f32_e32 v66, v11, v12
	ds_load_b128 v[0:3], v63 offset:4208
	v_add_f32_e32 v68, v78, v73
	v_dual_mul_f32 v73, v10, v15 :: v_dual_fma_f32 v10, v10, v14, -v74
	v_dual_mul_f32 v74, v77, v13 :: v_dual_mul_f32 v13, v76, v13
	v_add_f32_e32 v51, v51, v66
	s_delay_alu instid0(VALU_DEP_3) | instskip(NEXT) | instid1(VALU_DEP_3)
	v_dual_fmac_f32 v73, v11, v14 :: v_dual_mul_f32 v11, v77, v15
	v_dual_add_f32 v8, v8, v10 :: v_dual_fmac_f32 v13, v77, v12
	s_delay_alu instid0(VALU_DEP_2) | instskip(NEXT) | instid1(VALU_DEP_3)
	v_dual_fma_f32 v10, v76, v12, -v74 :: v_dual_add_f32 v58, v58, v73
	v_dual_mul_f32 v66, v76, v15 :: v_dual_fma_f32 v11, v76, v14, -v11
	s_delay_alu instid0(VALU_DEP_2) | instskip(SKIP_2) | instid1(VALU_DEP_3)
	v_dual_add_f32 v9, v9, v13 :: v_dual_add_f32 v10, v60, v10
	s_wait_dscnt 0x1
	v_mul_f32_e32 v60, v5, v17
	v_dual_fmac_f32 v66, v77, v14 :: v_dual_mul_f32 v73, v4, v17
	ds_load_2addr_b64 v[12:15], v70 offset0:224 offset1:240
	v_add_f32_e32 v11, v64, v11
	v_dual_fma_f32 v60, v4, v16, -v60 :: v_dual_mul_f32 v64, v5, v19
	v_dual_mul_f32 v74, v4, v19 :: v_dual_add_f32 v62, v62, v66
	v_fmac_f32_e32 v73, v5, v16
	s_delay_alu instid0(VALU_DEP_3) | instskip(NEXT) | instid1(VALU_DEP_3)
	v_add_f32_e32 v60, v68, v60
	v_dual_fma_f32 v4, v4, v18, -v64 :: v_dual_fmac_f32 v74, v5, v18
	s_wait_dscnt 0x1
	v_dual_mul_f32 v5, v1, v17 :: v_dual_mul_f32 v17, v0, v17
	v_mul_f32_e32 v64, v0, v19
	s_delay_alu instid0(VALU_DEP_3) | instskip(NEXT) | instid1(VALU_DEP_3)
	v_dual_add_f32 v4, v8, v4 :: v_dual_mul_f32 v8, v1, v19
	v_dual_add_f32 v58, v58, v74 :: v_dual_fma_f32 v5, v0, v16, -v5
	s_delay_alu instid0(VALU_DEP_3) | instskip(SKIP_1) | instid1(VALU_DEP_3)
	v_dual_fmac_f32 v17, v1, v16 :: v_dual_fmac_f32 v64, v1, v18
	s_wait_dscnt 0x0
	v_dual_fma_f32 v0, v0, v18, -v8 :: v_dual_mul_f32 v8, v7, v13
	s_delay_alu instid0(VALU_DEP_3) | instskip(NEXT) | instid1(VALU_DEP_3)
	v_add_f32_e32 v5, v10, v5
	v_add_f32_e32 v66, v9, v17
	;; [unrolled: 1-line block ×3, first 2 shown]
	s_delay_alu instid0(VALU_DEP_4)
	v_add_f32_e32 v0, v11, v0
	v_dual_fma_f32 v1, v6, v12, -v8 :: v_dual_mul_f32 v68, v6, v13
	ds_load_b128 v[8:11], v63 offset:128
	ds_load_2addr_b64 v[16:19], v71 offset1:16
	v_dual_mul_f32 v73, v7, v15 :: v_dual_add_f32 v62, v62, v64
	v_dual_mul_f32 v64, v6, v15 :: v_dual_fmac_f32 v68, v7, v12
	s_delay_alu instid0(VALU_DEP_2) | instskip(SKIP_1) | instid1(VALU_DEP_3)
	v_dual_add_f32 v1, v60, v1 :: v_dual_fma_f32 v6, v6, v14, -v73
	v_dual_mul_f32 v60, v3, v13 :: v_dual_mul_f32 v13, v2, v13
	v_add_f32_e32 v51, v51, v68
	ds_load_b128 v[74:77], v63 offset:4224
	v_dual_add_f32 v68, v4, v6 :: v_dual_fma_f32 v4, v2, v12, -v60
	v_mul_f32_e32 v6, v3, v15
	v_fmac_f32_e32 v64, v7, v14
	v_fmac_f32_e32 v13, v3, v12
	s_delay_alu instid0(VALU_DEP_3) | instskip(NEXT) | instid1(VALU_DEP_3)
	v_dual_add_f32 v60, v5, v4 :: v_dual_fma_f32 v12, v2, v14, -v6
	v_add_f32_e32 v58, v58, v64
	s_wait_dscnt 0x1
	v_dual_mul_f32 v2, v2, v15 :: v_dual_mul_f32 v15, v9, v17
	v_add_f32_e32 v64, v66, v13
	v_mul_f32_e32 v66, v8, v17
	s_delay_alu instid0(VALU_DEP_3) | instskip(NEXT) | instid1(VALU_DEP_4)
	v_dual_add_f32 v73, v0, v12 :: v_dual_fmac_f32 v2, v3, v14
	v_fma_f32 v0, v8, v16, -v15
	ds_load_2addr_b64 v[12:15], v71 offset0:32 offset1:48
	v_mul_f32_e32 v3, v9, v19
	ds_load_b128 v[4:7], v63 offset:144
	v_dual_fmac_f32 v66, v9, v16 :: v_dual_mul_f32 v79, v8, v19
	v_dual_add_f32 v62, v62, v2 :: v_dual_add_f32 v78, v1, v0
	v_fma_f32 v8, v8, v18, -v3
	s_delay_alu instid0(VALU_DEP_3) | instskip(SKIP_2) | instid1(VALU_DEP_3)
	v_add_f32_e32 v51, v51, v66
	s_wait_dscnt 0x2
	v_dual_mul_f32 v66, v75, v17 :: v_dual_fmac_f32 v79, v9, v18
	v_dual_mul_f32 v9, v74, v17 :: v_dual_add_f32 v8, v68, v8
	s_delay_alu instid0(VALU_DEP_2) | instskip(NEXT) | instid1(VALU_DEP_2)
	v_dual_mul_f32 v17, v75, v19 :: v_dual_fma_f32 v66, v74, v16, -v66
	v_dual_mul_f32 v68, v74, v19 :: v_dual_fmac_f32 v9, v75, v16
	s_delay_alu instid0(VALU_DEP_4) | instskip(NEXT) | instid1(VALU_DEP_3)
	v_add_f32_e32 v58, v58, v79
	v_fma_f32 v16, v74, v18, -v17
	s_wait_dscnt 0x1
	v_dual_add_f32 v60, v60, v66 :: v_dual_mul_f32 v17, v11, v13
	v_dual_add_f32 v9, v64, v9 :: v_dual_fmac_f32 v68, v75, v18
	s_delay_alu instid0(VALU_DEP_3) | instskip(NEXT) | instid1(VALU_DEP_3)
	v_dual_add_f32 v64, v73, v16 :: v_dual_mul_f32 v66, v10, v13
	v_fma_f32 v73, v10, v12, -v17
	ds_load_2addr_b64 v[16:19], v71 offset0:64 offset1:80
	v_dual_mul_f32 v74, v11, v15 :: v_dual_add_f32 v62, v62, v68
	v_dual_fmac_f32 v66, v11, v12 :: v_dual_add_f32 v68, v78, v73
	s_delay_alu instid0(VALU_DEP_2)
	v_dual_mul_f32 v73, v10, v15 :: v_dual_fma_f32 v10, v10, v14, -v74
	v_dual_mul_f32 v74, v77, v13 :: v_dual_mul_f32 v13, v76, v13
	ds_load_b128 v[0:3], v63 offset:4240
	v_dual_fmac_f32 v73, v11, v14 :: v_dual_mul_f32 v11, v77, v15
	v_add_f32_e32 v51, v51, v66
	v_dual_add_f32 v8, v8, v10 :: v_dual_fmac_f32 v13, v77, v12
	s_delay_alu instid0(VALU_DEP_3) | instskip(NEXT) | instid1(VALU_DEP_4)
	v_dual_fma_f32 v10, v76, v12, -v74 :: v_dual_add_f32 v58, v58, v73
	v_dual_mul_f32 v66, v76, v15 :: v_dual_fma_f32 v11, v76, v14, -v11
	s_delay_alu instid0(VALU_DEP_2) | instskip(SKIP_2) | instid1(VALU_DEP_3)
	v_dual_add_f32 v9, v9, v13 :: v_dual_add_f32 v10, v60, v10
	s_wait_dscnt 0x1
	v_mul_f32_e32 v60, v5, v17
	v_dual_fmac_f32 v66, v77, v14 :: v_dual_mul_f32 v73, v4, v17
	ds_load_2addr_b64 v[12:15], v71 offset0:96 offset1:112
	v_add_f32_e32 v11, v64, v11
	v_dual_fma_f32 v60, v4, v16, -v60 :: v_dual_mul_f32 v64, v5, v19
	v_dual_mul_f32 v74, v4, v19 :: v_dual_add_f32 v62, v62, v66
	v_fmac_f32_e32 v73, v5, v16
	s_delay_alu instid0(VALU_DEP_3) | instskip(NEXT) | instid1(VALU_DEP_3)
	v_add_f32_e32 v60, v68, v60
	v_dual_fma_f32 v4, v4, v18, -v64 :: v_dual_fmac_f32 v74, v5, v18
	s_wait_dscnt 0x1
	v_dual_mul_f32 v5, v1, v17 :: v_dual_mul_f32 v17, v0, v17
	v_mul_f32_e32 v64, v0, v19
	s_delay_alu instid0(VALU_DEP_3) | instskip(NEXT) | instid1(VALU_DEP_3)
	v_dual_add_f32 v4, v8, v4 :: v_dual_mul_f32 v8, v1, v19
	v_dual_add_f32 v58, v58, v74 :: v_dual_fma_f32 v5, v0, v16, -v5
	s_delay_alu instid0(VALU_DEP_3) | instskip(SKIP_1) | instid1(VALU_DEP_3)
	v_dual_fmac_f32 v17, v1, v16 :: v_dual_fmac_f32 v64, v1, v18
	s_wait_dscnt 0x0
	v_dual_fma_f32 v0, v0, v18, -v8 :: v_dual_mul_f32 v8, v7, v13
	s_delay_alu instid0(VALU_DEP_3) | instskip(NEXT) | instid1(VALU_DEP_3)
	v_add_f32_e32 v5, v10, v5
	v_add_f32_e32 v66, v9, v17
	;; [unrolled: 1-line block ×3, first 2 shown]
	s_delay_alu instid0(VALU_DEP_4)
	v_add_f32_e32 v0, v11, v0
	v_dual_fma_f32 v1, v6, v12, -v8 :: v_dual_mul_f32 v68, v6, v13
	ds_load_b128 v[8:11], v63 offset:160
	ds_load_2addr_b64 v[16:19], v71 offset0:128 offset1:144
	v_dual_mul_f32 v73, v7, v15 :: v_dual_add_f32 v62, v62, v64
	v_dual_mul_f32 v64, v6, v15 :: v_dual_fmac_f32 v68, v7, v12
	s_delay_alu instid0(VALU_DEP_2) | instskip(SKIP_1) | instid1(VALU_DEP_3)
	v_dual_add_f32 v1, v60, v1 :: v_dual_fma_f32 v6, v6, v14, -v73
	v_dual_mul_f32 v60, v3, v13 :: v_dual_mul_f32 v13, v2, v13
	v_add_f32_e32 v51, v51, v68
	ds_load_b128 v[74:77], v63 offset:4256
	v_dual_add_f32 v68, v4, v6 :: v_dual_fma_f32 v4, v2, v12, -v60
	v_mul_f32_e32 v6, v3, v15
	v_fmac_f32_e32 v64, v7, v14
	v_fmac_f32_e32 v13, v3, v12
	s_delay_alu instid0(VALU_DEP_3) | instskip(NEXT) | instid1(VALU_DEP_3)
	v_dual_add_f32 v60, v5, v4 :: v_dual_fma_f32 v12, v2, v14, -v6
	v_add_f32_e32 v58, v58, v64
	s_wait_dscnt 0x1
	v_dual_mul_f32 v2, v2, v15 :: v_dual_mul_f32 v15, v9, v17
	v_add_f32_e32 v64, v66, v13
	v_mul_f32_e32 v66, v8, v17
	s_delay_alu instid0(VALU_DEP_3) | instskip(NEXT) | instid1(VALU_DEP_4)
	v_dual_add_f32 v73, v0, v12 :: v_dual_fmac_f32 v2, v3, v14
	v_fma_f32 v0, v8, v16, -v15
	ds_load_2addr_b64 v[12:15], v71 offset0:160 offset1:176
	v_mul_f32_e32 v3, v9, v19
	ds_load_b128 v[4:7], v63 offset:176
	v_dual_fmac_f32 v66, v9, v16 :: v_dual_mul_f32 v79, v8, v19
	v_dual_add_f32 v62, v62, v2 :: v_dual_add_f32 v78, v1, v0
	v_fma_f32 v8, v8, v18, -v3
	s_delay_alu instid0(VALU_DEP_3) | instskip(SKIP_2) | instid1(VALU_DEP_3)
	v_add_f32_e32 v51, v51, v66
	s_wait_dscnt 0x2
	v_dual_mul_f32 v66, v75, v17 :: v_dual_fmac_f32 v79, v9, v18
	v_dual_mul_f32 v9, v74, v17 :: v_dual_add_f32 v8, v68, v8
	s_delay_alu instid0(VALU_DEP_2) | instskip(NEXT) | instid1(VALU_DEP_2)
	v_dual_mul_f32 v17, v75, v19 :: v_dual_fma_f32 v66, v74, v16, -v66
	v_dual_mul_f32 v68, v74, v19 :: v_dual_fmac_f32 v9, v75, v16
	s_delay_alu instid0(VALU_DEP_4) | instskip(NEXT) | instid1(VALU_DEP_3)
	v_add_f32_e32 v58, v58, v79
	v_fma_f32 v16, v74, v18, -v17
	s_wait_dscnt 0x1
	v_dual_add_f32 v60, v60, v66 :: v_dual_mul_f32 v17, v11, v13
	v_dual_add_f32 v9, v64, v9 :: v_dual_fmac_f32 v68, v75, v18
	s_delay_alu instid0(VALU_DEP_3) | instskip(NEXT) | instid1(VALU_DEP_3)
	v_dual_add_f32 v64, v73, v16 :: v_dual_mul_f32 v66, v10, v13
	v_fma_f32 v73, v10, v12, -v17
	ds_load_2addr_b64 v[16:19], v71 offset0:192 offset1:208
	v_dual_mul_f32 v74, v11, v15 :: v_dual_add_f32 v62, v62, v68
	v_dual_fmac_f32 v66, v11, v12 :: v_dual_add_f32 v68, v78, v73
	s_delay_alu instid0(VALU_DEP_2)
	v_dual_mul_f32 v73, v10, v15 :: v_dual_fma_f32 v10, v10, v14, -v74
	v_dual_mul_f32 v74, v77, v13 :: v_dual_mul_f32 v13, v76, v13
	ds_load_b128 v[0:3], v63 offset:4272
	v_dual_fmac_f32 v73, v11, v14 :: v_dual_mul_f32 v11, v77, v15
	v_add_f32_e32 v51, v51, v66
	v_dual_add_f32 v8, v8, v10 :: v_dual_fmac_f32 v13, v77, v12
	s_delay_alu instid0(VALU_DEP_3) | instskip(NEXT) | instid1(VALU_DEP_4)
	v_dual_fma_f32 v10, v76, v12, -v74 :: v_dual_add_f32 v58, v58, v73
	v_dual_mul_f32 v66, v76, v15 :: v_dual_fma_f32 v11, v76, v14, -v11
	s_delay_alu instid0(VALU_DEP_2) | instskip(SKIP_2) | instid1(VALU_DEP_3)
	v_dual_add_f32 v9, v9, v13 :: v_dual_add_f32 v10, v60, v10
	s_wait_dscnt 0x1
	v_mul_f32_e32 v60, v5, v17
	v_dual_fmac_f32 v66, v77, v14 :: v_dual_mul_f32 v73, v4, v17
	ds_load_2addr_b64 v[12:15], v71 offset0:224 offset1:240
	v_add_f32_e32 v11, v64, v11
	v_dual_fma_f32 v60, v4, v16, -v60 :: v_dual_mul_f32 v64, v5, v19
	v_dual_mul_f32 v74, v4, v19 :: v_dual_add_f32 v62, v62, v66
	v_fmac_f32_e32 v73, v5, v16
	s_delay_alu instid0(VALU_DEP_3) | instskip(NEXT) | instid1(VALU_DEP_3)
	v_add_f32_e32 v60, v68, v60
	v_dual_fma_f32 v4, v4, v18, -v64 :: v_dual_fmac_f32 v74, v5, v18
	s_wait_dscnt 0x1
	v_dual_mul_f32 v5, v1, v17 :: v_dual_mul_f32 v17, v0, v17
	v_mul_f32_e32 v64, v0, v19
	s_delay_alu instid0(VALU_DEP_3) | instskip(NEXT) | instid1(VALU_DEP_3)
	v_dual_add_f32 v4, v8, v4 :: v_dual_mul_f32 v8, v1, v19
	v_dual_add_f32 v58, v58, v74 :: v_dual_fma_f32 v5, v0, v16, -v5
	s_delay_alu instid0(VALU_DEP_3) | instskip(SKIP_1) | instid1(VALU_DEP_3)
	v_dual_fmac_f32 v17, v1, v16 :: v_dual_fmac_f32 v64, v1, v18
	s_wait_dscnt 0x0
	v_dual_fma_f32 v0, v0, v18, -v8 :: v_dual_mul_f32 v8, v7, v13
	s_delay_alu instid0(VALU_DEP_3) | instskip(NEXT) | instid1(VALU_DEP_3)
	v_add_f32_e32 v5, v10, v5
	v_add_f32_e32 v66, v9, v17
	;; [unrolled: 1-line block ×3, first 2 shown]
	s_delay_alu instid0(VALU_DEP_4)
	v_add_f32_e32 v0, v11, v0
	v_dual_fma_f32 v1, v6, v12, -v8 :: v_dual_mul_f32 v68, v6, v13
	ds_load_b128 v[8:11], v63 offset:192
	ds_load_2addr_b64 v[16:19], v72 offset1:16
	v_dual_mul_f32 v73, v7, v15 :: v_dual_add_f32 v62, v62, v64
	v_dual_mul_f32 v64, v6, v15 :: v_dual_fmac_f32 v68, v7, v12
	s_delay_alu instid0(VALU_DEP_2) | instskip(SKIP_1) | instid1(VALU_DEP_3)
	v_dual_add_f32 v1, v60, v1 :: v_dual_fma_f32 v6, v6, v14, -v73
	v_dual_mul_f32 v60, v3, v13 :: v_dual_mul_f32 v13, v2, v13
	v_add_f32_e32 v51, v51, v68
	ds_load_b128 v[74:77], v63 offset:4288
	v_dual_add_f32 v68, v4, v6 :: v_dual_fma_f32 v4, v2, v12, -v60
	v_mul_f32_e32 v6, v3, v15
	v_fmac_f32_e32 v64, v7, v14
	v_fmac_f32_e32 v13, v3, v12
	s_delay_alu instid0(VALU_DEP_3) | instskip(NEXT) | instid1(VALU_DEP_3)
	v_dual_add_f32 v60, v5, v4 :: v_dual_fma_f32 v12, v2, v14, -v6
	v_add_f32_e32 v58, v58, v64
	s_wait_dscnt 0x1
	v_dual_mul_f32 v2, v2, v15 :: v_dual_mul_f32 v15, v9, v17
	v_add_f32_e32 v64, v66, v13
	v_mul_f32_e32 v66, v8, v17
	s_delay_alu instid0(VALU_DEP_3) | instskip(NEXT) | instid1(VALU_DEP_4)
	v_dual_add_f32 v73, v0, v12 :: v_dual_fmac_f32 v2, v3, v14
	v_fma_f32 v0, v8, v16, -v15
	ds_load_2addr_b64 v[12:15], v72 offset0:32 offset1:48
	v_mul_f32_e32 v3, v9, v19
	ds_load_b128 v[4:7], v63 offset:208
	v_dual_fmac_f32 v66, v9, v16 :: v_dual_mul_f32 v79, v8, v19
	v_dual_add_f32 v62, v62, v2 :: v_dual_add_f32 v78, v1, v0
	v_fma_f32 v8, v8, v18, -v3
	s_delay_alu instid0(VALU_DEP_3) | instskip(SKIP_2) | instid1(VALU_DEP_3)
	v_add_f32_e32 v51, v51, v66
	s_wait_dscnt 0x2
	v_dual_mul_f32 v66, v75, v17 :: v_dual_fmac_f32 v79, v9, v18
	v_dual_mul_f32 v9, v74, v17 :: v_dual_add_f32 v8, v68, v8
	s_delay_alu instid0(VALU_DEP_2) | instskip(NEXT) | instid1(VALU_DEP_2)
	v_dual_mul_f32 v17, v75, v19 :: v_dual_fma_f32 v66, v74, v16, -v66
	v_dual_mul_f32 v68, v74, v19 :: v_dual_fmac_f32 v9, v75, v16
	s_delay_alu instid0(VALU_DEP_4) | instskip(NEXT) | instid1(VALU_DEP_3)
	v_add_f32_e32 v58, v58, v79
	v_fma_f32 v16, v74, v18, -v17
	s_wait_dscnt 0x1
	v_dual_add_f32 v60, v60, v66 :: v_dual_mul_f32 v17, v11, v13
	v_dual_add_f32 v9, v64, v9 :: v_dual_fmac_f32 v68, v75, v18
	s_delay_alu instid0(VALU_DEP_3) | instskip(NEXT) | instid1(VALU_DEP_3)
	v_dual_add_f32 v64, v73, v16 :: v_dual_mul_f32 v66, v10, v13
	v_fma_f32 v73, v10, v12, -v17
	ds_load_2addr_b64 v[16:19], v72 offset0:64 offset1:80
	v_dual_mul_f32 v74, v11, v15 :: v_dual_add_f32 v62, v62, v68
	v_dual_fmac_f32 v66, v11, v12 :: v_dual_add_f32 v68, v78, v73
	s_delay_alu instid0(VALU_DEP_2)
	v_dual_mul_f32 v73, v10, v15 :: v_dual_fma_f32 v10, v10, v14, -v74
	v_dual_mul_f32 v74, v77, v13 :: v_dual_mul_f32 v13, v76, v13
	ds_load_b128 v[0:3], v63 offset:4304
	v_dual_fmac_f32 v73, v11, v14 :: v_dual_mul_f32 v11, v77, v15
	v_add_f32_e32 v51, v51, v66
	v_dual_add_f32 v8, v8, v10 :: v_dual_fmac_f32 v13, v77, v12
	s_delay_alu instid0(VALU_DEP_3) | instskip(NEXT) | instid1(VALU_DEP_4)
	v_dual_fma_f32 v10, v76, v12, -v74 :: v_dual_add_f32 v58, v58, v73
	v_dual_mul_f32 v66, v76, v15 :: v_dual_fma_f32 v11, v76, v14, -v11
	s_delay_alu instid0(VALU_DEP_2) | instskip(SKIP_2) | instid1(VALU_DEP_3)
	v_dual_add_f32 v9, v9, v13 :: v_dual_add_f32 v10, v60, v10
	s_wait_dscnt 0x1
	v_mul_f32_e32 v60, v5, v17
	v_dual_fmac_f32 v66, v77, v14 :: v_dual_mul_f32 v73, v4, v17
	ds_load_2addr_b64 v[12:15], v72 offset0:96 offset1:112
	v_add_f32_e32 v11, v64, v11
	v_dual_fma_f32 v60, v4, v16, -v60 :: v_dual_mul_f32 v64, v5, v19
	v_dual_mul_f32 v74, v4, v19 :: v_dual_add_f32 v62, v62, v66
	v_fmac_f32_e32 v73, v5, v16
	s_delay_alu instid0(VALU_DEP_3) | instskip(NEXT) | instid1(VALU_DEP_3)
	v_add_f32_e32 v60, v68, v60
	v_dual_fma_f32 v4, v4, v18, -v64 :: v_dual_fmac_f32 v74, v5, v18
	s_wait_dscnt 0x1
	v_dual_mul_f32 v5, v1, v17 :: v_dual_mul_f32 v17, v0, v17
	v_mul_f32_e32 v64, v0, v19
	s_delay_alu instid0(VALU_DEP_3) | instskip(NEXT) | instid1(VALU_DEP_3)
	v_dual_add_f32 v4, v8, v4 :: v_dual_mul_f32 v8, v1, v19
	v_dual_add_f32 v58, v58, v74 :: v_dual_fma_f32 v5, v0, v16, -v5
	s_delay_alu instid0(VALU_DEP_3) | instskip(SKIP_1) | instid1(VALU_DEP_3)
	v_dual_fmac_f32 v17, v1, v16 :: v_dual_fmac_f32 v64, v1, v18
	s_wait_dscnt 0x0
	v_dual_fma_f32 v0, v0, v18, -v8 :: v_dual_mul_f32 v8, v7, v13
	s_delay_alu instid0(VALU_DEP_3) | instskip(NEXT) | instid1(VALU_DEP_3)
	v_add_f32_e32 v5, v10, v5
	v_add_f32_e32 v66, v9, v17
	;; [unrolled: 1-line block ×3, first 2 shown]
	s_delay_alu instid0(VALU_DEP_4)
	v_add_f32_e32 v0, v11, v0
	v_dual_fma_f32 v1, v6, v12, -v8 :: v_dual_mul_f32 v68, v6, v13
	ds_load_b128 v[8:11], v63 offset:224
	ds_load_2addr_b64 v[16:19], v72 offset0:128 offset1:144
	v_dual_mul_f32 v73, v7, v15 :: v_dual_add_f32 v62, v62, v64
	v_dual_mul_f32 v64, v6, v15 :: v_dual_fmac_f32 v68, v7, v12
	s_delay_alu instid0(VALU_DEP_2) | instskip(SKIP_1) | instid1(VALU_DEP_3)
	v_dual_add_f32 v60, v60, v1 :: v_dual_fma_f32 v6, v6, v14, -v73
	v_mul_f32_e32 v1, v3, v13
	v_dual_fmac_f32 v64, v7, v14 :: v_dual_mul_f32 v13, v2, v13
	s_delay_alu instid0(VALU_DEP_3) | instskip(NEXT) | instid1(VALU_DEP_3)
	v_dual_add_f32 v51, v51, v68 :: v_dual_add_f32 v68, v4, v6
	v_dual_fma_f32 v1, v2, v12, -v1 :: v_dual_mul_f32 v4, v3, v15
	ds_load_b128 v[74:77], v63 offset:4320
	v_add_f32_e32 v58, v58, v64
	v_dual_fmac_f32 v13, v3, v12 :: v_dual_mul_f32 v12, v2, v15
	v_dual_add_f32 v64, v5, v1 :: v_dual_fma_f32 v1, v2, v14, -v4
	s_wait_dscnt 0x1
	v_dual_mul_f32 v78, v8, v17 :: v_dual_mul_f32 v2, v9, v17
	s_delay_alu instid0(VALU_DEP_3) | instskip(NEXT) | instid1(VALU_DEP_3)
	v_dual_add_f32 v66, v66, v13 :: v_dual_fmac_f32 v12, v3, v14
	v_dual_add_f32 v73, v0, v1 :: v_dual_mul_f32 v14, v9, v19
	s_delay_alu instid0(VALU_DEP_3)
	v_dual_fma_f32 v13, v8, v16, -v2 :: v_dual_mul_f32 v79, v8, v19
	ds_load_2addr_b64 v[0:3], v72 offset0:160 offset1:176
	ds_load_b128 v[4:7], v63 offset:240
	v_fmac_f32_e32 v78, v9, v16
	v_dual_fma_f32 v8, v8, v18, -v14 :: v_dual_fmac_f32 v79, v9, v18
	v_dual_add_f32 v62, v62, v12 :: v_dual_add_f32 v60, v60, v13
	s_wait_dscnt 0x2
	v_mul_f32_e32 v80, v75, v17
	v_dual_add_f32 v51, v51, v78 :: v_dual_mul_f32 v9, v74, v17
	v_dual_add_f32 v8, v68, v8 :: v_dual_mul_f32 v68, v75, v19
	s_delay_alu instid0(VALU_DEP_3) | instskip(NEXT) | instid1(VALU_DEP_3)
	v_dual_fma_f32 v17, v74, v16, -v80 :: v_dual_mul_f32 v78, v74, v19
	v_dual_fmac_f32 v9, v75, v16 :: v_dual_add_f32 v58, v58, v79
	s_delay_alu instid0(VALU_DEP_2) | instskip(NEXT) | instid1(VALU_DEP_2)
	v_dual_fma_f32 v16, v74, v18, -v68 :: v_dual_add_f32 v64, v64, v17
	v_dual_fmac_f32 v78, v75, v18 :: v_dual_add_f32 v9, v66, v9
	s_wait_dscnt 0x1
	v_dual_mul_f32 v17, v11, v1 :: v_dual_mul_f32 v66, v10, v1
	s_delay_alu instid0(VALU_DEP_3)
	v_dual_add_f32 v68, v73, v16 :: v_dual_mul_f32 v74, v11, v3
	ds_load_b128 v[12:15], v63 offset:4336
	v_dual_fma_f32 v73, v10, v0, -v17 :: v_dual_fmac_f32 v66, v11, v0
	ds_load_2addr_b64 v[16:19], v72 offset0:192 offset1:208
	v_dual_add_f32 v62, v62, v78 :: v_dual_add_f32 v60, v60, v73
	v_dual_mul_f32 v73, v10, v3 :: v_dual_fma_f32 v10, v10, v2, -v74
	v_dual_add_f32 v51, v51, v66 :: v_dual_mul_f32 v66, v77, v1
	s_delay_alu instid0(VALU_DEP_2) | instskip(NEXT) | instid1(VALU_DEP_3)
	v_dual_mul_f32 v1, v76, v1 :: v_dual_fmac_f32 v73, v11, v2
	v_dual_add_f32 v8, v8, v10 :: v_dual_mul_f32 v10, v77, v3
	s_delay_alu instid0(VALU_DEP_2) | instskip(NEXT) | instid1(VALU_DEP_3)
	v_dual_fma_f32 v11, v76, v0, -v66 :: v_dual_fmac_f32 v1, v77, v0
	v_dual_add_f32 v58, v58, v73 :: v_dual_mul_f32 v66, v76, v3
	s_delay_alu instid0(VALU_DEP_3) | instskip(NEXT) | instid1(VALU_DEP_3)
	v_fma_f32 v0, v76, v2, -v10
	v_dual_add_f32 v10, v64, v11 :: v_dual_add_f32 v9, v9, v1
	s_wait_dscnt 0x0
	v_mul_f32_e32 v11, v5, v17
	s_delay_alu instid0(VALU_DEP_3) | instskip(SKIP_3) | instid1(VALU_DEP_2)
	v_dual_fmac_f32 v66, v77, v2 :: v_dual_add_f32 v64, v68, v0
	ds_load_2addr_b64 v[0:3], v72 offset0:224 offset1:240
	v_dual_mul_f32 v68, v4, v17 :: v_dual_fma_f32 v11, v4, v16, -v11
	v_dual_add_f32 v62, v62, v66 :: v_dual_mul_f32 v66, v5, v19
	v_dual_mul_f32 v73, v4, v19 :: v_dual_fmac_f32 v68, v5, v16
	s_delay_alu instid0(VALU_DEP_3) | instskip(NEXT) | instid1(VALU_DEP_2)
	v_dual_add_f32 v11, v60, v11 :: v_dual_mul_f32 v60, v13, v17
	v_dual_fma_f32 v4, v4, v18, -v66 :: v_dual_fmac_f32 v73, v5, v18
	s_delay_alu instid0(VALU_DEP_3) | instskip(NEXT) | instid1(VALU_DEP_3)
	v_dual_mul_f32 v5, v12, v17 :: v_dual_add_f32 v51, v51, v68
	v_fma_f32 v17, v12, v16, -v60
	s_delay_alu instid0(VALU_DEP_3) | instskip(NEXT) | instid1(VALU_DEP_3)
	v_dual_add_f32 v4, v8, v4 :: v_dual_add_f32 v58, v58, v73
	v_dual_mul_f32 v8, v13, v19 :: v_dual_fmac_f32 v5, v13, v16
	s_delay_alu instid0(VALU_DEP_3) | instskip(SKIP_1) | instid1(VALU_DEP_2)
	v_dual_add_f32 v10, v10, v17 :: v_dual_mul_f32 v16, v12, v19
	s_wait_dscnt 0x0
	v_dual_mul_f32 v17, v6, v1 :: v_dual_fma_f32 v8, v12, v18, -v8
	v_mul_f32_e32 v12, v7, v1
	v_add_f32_e32 v5, v9, v5
	s_delay_alu instid0(VALU_DEP_3) | instskip(NEXT) | instid1(VALU_DEP_4)
	v_dual_fmac_f32 v16, v13, v18 :: v_dual_fmac_f32 v17, v7, v0
	v_add_f32_e32 v8, v64, v8
	s_delay_alu instid0(VALU_DEP_4) | instskip(SKIP_1) | instid1(VALU_DEP_4)
	v_dual_fma_f32 v9, v6, v0, -v12 :: v_dual_mul_f32 v12, v7, v3
	v_mul_f32_e32 v13, v6, v3
	v_dual_add_f32 v16, v62, v16 :: v_dual_add_f32 v68, v51, v17
	s_delay_alu instid0(VALU_DEP_3) | instskip(NEXT) | instid1(VALU_DEP_3)
	v_dual_add_f32 v66, v11, v9 :: v_dual_fma_f32 v6, v6, v2, -v12
	v_fmac_f32_e32 v13, v7, v2
	v_dual_mul_f32 v7, v15, v1 :: v_dual_mul_f32 v1, v14, v1
	v_dual_mul_f32 v9, v15, v3 :: v_dual_mul_f32 v3, v14, v3
	s_delay_alu instid0(VALU_DEP_2) | instskip(NEXT) | instid1(VALU_DEP_3)
	v_dual_add_f32 v62, v4, v6 :: v_dual_fma_f32 v4, v14, v0, -v7
	v_fmac_f32_e32 v1, v15, v0
	s_delay_alu instid0(VALU_DEP_3) | instskip(SKIP_1) | instid1(VALU_DEP_2)
	v_dual_fmac_f32 v3, v15, v2 :: v_dual_fma_f32 v0, v14, v2, -v9
	s_barrier_signal -1
	v_add_f32_e32 v60, v5, v1
	v_add_f32_e32 v64, v58, v13
	s_delay_alu instid0(VALU_DEP_3)
	v_dual_add_f32 v58, v10, v4 :: v_dual_add_f32 v16, v16, v3
	v_add_f32_e32 v18, v8, v0
	s_barrier_wait -1
	s_cbranch_scc1 .LBB77_55
.LBB77_10:                              ;   Parent Loop BB77_4 Depth=1
                                        ;     Parent Loop BB77_7 Depth=2
                                        ; =>    This Inner Loop Header: Depth=3
	v_add_nc_u64_e32 v[2:3], s[46:47], v[26:27]
	v_cmp_eq_u64_e64 s7, s[46:47], v[32:33]
	v_add_nc_u64_e32 v[0:1], s[28:29], v[48:49]
	s_delay_alu instid0(VALU_DEP_3) | instskip(SKIP_3) | instid1(SALU_CYCLE_1)
	v_cmp_le_i64_e64 s6, s[42:43], v[2:3]
	v_cmp_lt_i64_e64 s5, v[2:3], v[20:21]
	s_and_b32 s56, s52, s7
	s_or_b32 s7, s6, s5
	s_or_b32 s7, s7, s56
	s_delay_alu instid0(SALU_CYCLE_1) | instskip(NEXT) | instid1(SALU_CYCLE_1)
	s_nor_b32 s7, s0, s7
	s_and_saveexec_b32 s8, s7
	s_delay_alu instid0(SALU_CYCLE_1)
	s_xor_b32 s7, exec_lo, s8
	s_cbranch_execz .LBB77_12
; %bb.11:                               ;   in Loop: Header=BB77_10 Depth=3
	global_load_b64 v[4:5], v[0:1], off
	s_wait_loadcnt 0x0
	ds_store_b64 v65, v[4:5]
.LBB77_12:                              ;   in Loop: Header=BB77_10 Depth=3
	s_wait_xcnt 0x0
	s_or_saveexec_b32 s7, s7
	s_xor_b32 s55, s56, -1
	s_xor_b32 exec_lo, exec_lo, s7
	s_cbranch_execz .LBB77_18
; %bb.13:                               ;   in Loop: Header=BB77_10 Depth=3
	s_and_saveexec_b32 s8, s55
	s_delay_alu instid0(SALU_CYCLE_1)
	s_xor_b32 s8, exec_lo, s8
; %bb.14:                               ;   in Loop: Header=BB77_10 Depth=3
	ds_store_b64 v65, v[22:23]
; %bb.15:                               ;   in Loop: Header=BB77_10 Depth=3
	s_and_not1_saveexec_b32 s8, s8
; %bb.16:                               ;   in Loop: Header=BB77_10 Depth=3
	ds_store_b64 v65, v[24:25]
; %bb.17:                               ;   in Loop: Header=BB77_10 Depth=3
	s_or_b32 exec_lo, exec_lo, s8
.LBB77_18:                              ;   in Loop: Header=BB77_10 Depth=3
	s_delay_alu instid0(SALU_CYCLE_1)
	s_or_b32 exec_lo, exec_lo, s7
	v_cmp_eq_u64_e64 s7, s[46:47], v[34:35]
	v_cmp_gt_i64_e64 s8, v[30:31], v[2:3]
	v_add_nc_u64_e32 v[4:5], s[28:29], v[46:47]
	s_and_b32 s7, s52, s7
	s_or_b32 s6, s6, s8
	s_delay_alu instid0(SALU_CYCLE_1) | instskip(NEXT) | instid1(SALU_CYCLE_1)
	s_or_b32 s6, s6, s7
	s_nor_b32 s6, s3, s6
	s_delay_alu instid0(SALU_CYCLE_1) | instskip(NEXT) | instid1(SALU_CYCLE_1)
	s_and_saveexec_b32 s8, s6
	s_xor_b32 s6, exec_lo, s8
	s_cbranch_execz .LBB77_20
; %bb.19:                               ;   in Loop: Header=BB77_10 Depth=3
	global_load_b64 v[6:7], v[4:5], off
	s_wait_loadcnt 0x0
	ds_store_b64 v65, v[6:7] offset:128
.LBB77_20:                              ;   in Loop: Header=BB77_10 Depth=3
	s_wait_xcnt 0x0
	s_and_not1_saveexec_b32 s6, s6
	s_cbranch_execz .LBB77_26
; %bb.21:                               ;   in Loop: Header=BB77_10 Depth=3
	s_xor_b32 s7, s7, -1
	s_delay_alu instid0(SALU_CYCLE_1) | instskip(NEXT) | instid1(SALU_CYCLE_1)
	s_and_saveexec_b32 s8, s7
	s_xor_b32 s7, exec_lo, s8
; %bb.22:                               ;   in Loop: Header=BB77_10 Depth=3
	ds_store_b64 v65, v[22:23] offset:128
; %bb.23:                               ;   in Loop: Header=BB77_10 Depth=3
	s_and_not1_saveexec_b32 s7, s7
; %bb.24:                               ;   in Loop: Header=BB77_10 Depth=3
	ds_store_b64 v65, v[24:25] offset:128
; %bb.25:                               ;   in Loop: Header=BB77_10 Depth=3
	s_or_b32 exec_lo, exec_lo, s7
.LBB77_26:                              ;   in Loop: Header=BB77_10 Depth=3
	s_delay_alu instid0(SALU_CYCLE_1) | instskip(SKIP_2) | instid1(VALU_DEP_2)
	s_or_b32 exec_lo, exec_lo, s6
	v_add_nc_u64_e32 v[2:3], 16, v[2:3]
	v_cmp_eq_u64_e64 s7, s[46:47], v[36:37]
	v_cmp_le_i64_e64 s6, s[42:43], v[2:3]
	v_cmp_lt_i64_e64 s8, v[2:3], v[20:21]
	s_and_b32 s57, s52, s7
	s_or_b32 s7, s6, s8
	s_delay_alu instid0(SALU_CYCLE_1) | instskip(NEXT) | instid1(SALU_CYCLE_1)
	s_or_b32 s7, s7, s57
	s_nor_b32 s7, s0, s7
	s_delay_alu instid0(SALU_CYCLE_1) | instskip(NEXT) | instid1(SALU_CYCLE_1)
	s_and_saveexec_b32 s8, s7
	s_xor_b32 s7, exec_lo, s8
	s_cbranch_execz .LBB77_28
; %bb.27:                               ;   in Loop: Header=BB77_10 Depth=3
	global_load_b64 v[0:1], v[0:1], off offset:128
	s_wait_loadcnt 0x0
	ds_store_b64 v65, v[0:1] offset:4096
.LBB77_28:                              ;   in Loop: Header=BB77_10 Depth=3
	s_wait_xcnt 0x0
	s_and_not1_saveexec_b32 s7, s7
	s_cbranch_execz .LBB77_34
; %bb.29:                               ;   in Loop: Header=BB77_10 Depth=3
	s_xor_b32 s8, s57, -1
	s_delay_alu instid0(SALU_CYCLE_1) | instskip(NEXT) | instid1(SALU_CYCLE_1)
	s_and_saveexec_b32 s57, s8
	s_xor_b32 s8, exec_lo, s57
; %bb.30:                               ;   in Loop: Header=BB77_10 Depth=3
	ds_store_b64 v65, v[22:23] offset:4096
; %bb.31:                               ;   in Loop: Header=BB77_10 Depth=3
	s_and_not1_saveexec_b32 s8, s8
; %bb.32:                               ;   in Loop: Header=BB77_10 Depth=3
	ds_store_b64 v65, v[24:25] offset:4096
; %bb.33:                               ;   in Loop: Header=BB77_10 Depth=3
	s_or_b32 exec_lo, exec_lo, s8
.LBB77_34:                              ;   in Loop: Header=BB77_10 Depth=3
	s_delay_alu instid0(SALU_CYCLE_1) | instskip(SKIP_1) | instid1(SALU_CYCLE_1)
	s_or_b32 exec_lo, exec_lo, s7
	s_or_b32 s5, s6, s5
	s_or_b32 s5, s5, s56
	s_delay_alu instid0(SALU_CYCLE_1) | instskip(NEXT) | instid1(SALU_CYCLE_1)
	s_nor_b32 s5, s3, s5
	s_and_saveexec_b32 s6, s5
	s_delay_alu instid0(SALU_CYCLE_1)
	s_xor_b32 s5, exec_lo, s6
	s_cbranch_execz .LBB77_36
; %bb.35:                               ;   in Loop: Header=BB77_10 Depth=3
	global_load_b64 v[0:1], v[4:5], off offset:128
	s_wait_loadcnt 0x0
	ds_store_b64 v65, v[0:1] offset:4224
.LBB77_36:                              ;   in Loop: Header=BB77_10 Depth=3
	s_wait_xcnt 0x0
	s_and_not1_saveexec_b32 s5, s5
	s_cbranch_execz .LBB77_42
; %bb.37:                               ;   in Loop: Header=BB77_10 Depth=3
	s_and_saveexec_b32 s6, s55
	s_delay_alu instid0(SALU_CYCLE_1)
	s_xor_b32 s6, exec_lo, s6
; %bb.38:                               ;   in Loop: Header=BB77_10 Depth=3
	ds_store_b64 v65, v[22:23] offset:4224
; %bb.39:                               ;   in Loop: Header=BB77_10 Depth=3
	s_and_not1_saveexec_b32 s6, s6
; %bb.40:                               ;   in Loop: Header=BB77_10 Depth=3
	ds_store_b64 v65, v[24:25] offset:4224
; %bb.41:                               ;   in Loop: Header=BB77_10 Depth=3
	s_or_b32 exec_lo, exec_lo, s6
.LBB77_42:                              ;   in Loop: Header=BB77_10 Depth=3
	s_delay_alu instid0(SALU_CYCLE_1) | instskip(SKIP_3) | instid1(VALU_DEP_3)
	s_or_b32 exec_lo, exec_lo, s5
	v_add_nc_u64_e32 v[2:3], s[46:47], v[20:21]
	v_add_nc_u64_e32 v[0:1], s[28:29], v[54:55]
	v_dual_mov_b32 v4, 0 :: v_dual_mov_b32 v5, 0
	v_cmp_gt_i64_e64 s5, s[42:43], v[2:3]
	s_and_b32 s7, vcc_lo, s5
	s_delay_alu instid0(SALU_CYCLE_1)
	s_and_saveexec_b32 s6, s7
	s_cbranch_execz .LBB77_44
; %bb.43:                               ;   in Loop: Header=BB77_10 Depth=3
	global_load_b64 v[4:5], v[0:1], off
.LBB77_44:                              ;   in Loop: Header=BB77_10 Depth=3
	s_wait_xcnt 0x0
	s_or_b32 exec_lo, exec_lo, s6
	v_cmp_gt_i64_e64 s6, s[20:21], v[2:3]
	s_wait_loadcnt 0x0
	ds_store_b64 v67, v[4:5]
	s_and_b32 s7, vcc_lo, s6
	s_delay_alu instid0(SALU_CYCLE_1) | instskip(NEXT) | instid1(SALU_CYCLE_1)
	s_xor_b32 s7, s7, -1
	s_and_saveexec_b32 s8, s7
	s_delay_alu instid0(SALU_CYCLE_1)
	s_xor_b32 s7, exec_lo, s8
; %bb.45:                               ;   in Loop: Header=BB77_10 Depth=3
	ds_store_b64 v67, v[22:23] offset:128
                                        ; implicit-def: $vgpr0_vgpr1
; %bb.46:                               ;   in Loop: Header=BB77_10 Depth=3
	s_and_not1_saveexec_b32 s7, s7
	s_cbranch_execz .LBB77_48
; %bb.47:                               ;   in Loop: Header=BB77_10 Depth=3
	global_load_b64 v[0:1], v[0:1], off offset:128
	s_wait_loadcnt 0x0
	ds_store_b64 v67, v[0:1] offset:128
.LBB77_48:                              ;   in Loop: Header=BB77_10 Depth=3
	s_wait_xcnt 0x0
	s_or_b32 exec_lo, exec_lo, s7
	v_add_nc_u64_e32 v[0:1], s[28:29], v[56:57]
	v_dual_mov_b32 v2, 0 :: v_dual_mov_b32 v3, 0
	s_and_b32 s7, s4, s5
	s_delay_alu instid0(SALU_CYCLE_1)
	s_and_saveexec_b32 s5, s7
	s_cbranch_execz .LBB77_50
; %bb.49:                               ;   in Loop: Header=BB77_10 Depth=3
	global_load_b64 v[2:3], v[0:1], off
.LBB77_50:                              ;   in Loop: Header=BB77_10 Depth=3
	s_wait_xcnt 0x0
	s_or_b32 exec_lo, exec_lo, s5
	s_and_b32 s5, s4, s6
	s_wait_loadcnt 0x0
	ds_store_b64 v67, v[2:3] offset:4096
	s_xor_b32 s5, s5, -1
	s_delay_alu instid0(SALU_CYCLE_1) | instskip(NEXT) | instid1(SALU_CYCLE_1)
	s_and_saveexec_b32 s6, s5
	s_xor_b32 s5, exec_lo, s6
; %bb.51:                               ;   in Loop: Header=BB77_10 Depth=3
	ds_store_b64 v67, v[22:23] offset:4224
                                        ; implicit-def: $vgpr0_vgpr1
; %bb.52:                               ;   in Loop: Header=BB77_10 Depth=3
	s_and_not1_saveexec_b32 s5, s5
	s_cbranch_execz .LBB77_9
; %bb.53:                               ;   in Loop: Header=BB77_10 Depth=3
	global_load_b64 v[0:1], v[0:1], off offset:128
	s_wait_loadcnt 0x0
	ds_store_b64 v67, v[0:1] offset:4224
	s_branch .LBB77_9
.LBB77_54:                              ;   in Loop: Header=BB77_7 Depth=2
	v_dual_mov_b32 v66, 0 :: v_dual_mov_b32 v68, 0
	v_dual_mov_b32 v62, 0 :: v_dual_mov_b32 v64, 0
	;; [unrolled: 1-line block ×4, first 2 shown]
.LBB77_55:                              ;   in Loop: Header=BB77_7 Depth=2
	v_mul_u64_e32 v[0:1], s[24:25], v[52:53]
	v_cmp_gt_i32_e32 vcc_lo, s30, v52
	s_and_b32 s5, s1, vcc_lo
	s_delay_alu instid0(VALU_DEP_2)
	v_lshl_add_u64 v[0:1], v[0:1], 3, s[22:23]
	s_and_saveexec_b32 s4, s5
	s_cbranch_execz .LBB77_57
; %bb.56:                               ;   in Loop: Header=BB77_7 Depth=2
	s_delay_alu instid0(VALU_DEP_1) | instskip(SKIP_4) | instid1(VALU_DEP_1)
	v_lshl_add_u64 v[2:3], v[20:21], 3, v[0:1]
	v_mov_b64_e32 v[6:7], s[40:41]
	v_mov_b64_e32 v[8:9], s[36:37]
	global_load_b64 v[4:5], v[2:3], off
	v_pk_mul_f32 v[6:7], v[68:69], v[6:7] op_sel_hi:[0,1]
	v_pk_fma_f32 v[10:11], v[66:67], v[8:9], v[6:7] op_sel_hi:[0,1,1]
	v_pk_fma_f32 v[6:7], v[66:67], v[8:9], v[6:7] neg_lo:[0,0,1] neg_hi:[0,0,1]
	s_delay_alu instid0(VALU_DEP_2) | instskip(SKIP_1) | instid1(VALU_DEP_1)
	v_mov_b32_e32 v7, v11
	s_wait_loadcnt 0x0
	v_pk_add_f32 v[4:5], v[4:5], v[6:7]
	global_store_b64 v[2:3], v[4:5], off
.LBB77_57:                              ;   in Loop: Header=BB77_7 Depth=2
	s_wait_xcnt 0x0
	s_or_b32 exec_lo, exec_lo, s4
	s_and_b32 s5, s2, vcc_lo
	s_delay_alu instid0(SALU_CYCLE_1)
	s_and_saveexec_b32 s4, s5
	s_cbranch_execz .LBB77_59
; %bb.58:                               ;   in Loop: Header=BB77_7 Depth=2
	v_lshl_add_u64 v[0:1], v[28:29], 3, v[0:1]
	v_mov_b64_e32 v[4:5], s[40:41]
	v_mov_b64_e32 v[6:7], s[36:37]
	global_load_b64 v[2:3], v[0:1], off
	v_pk_mul_f32 v[4:5], v[64:65], v[4:5] op_sel_hi:[0,1]
	s_delay_alu instid0(VALU_DEP_1) | instskip(SKIP_1) | instid1(VALU_DEP_2)
	v_pk_fma_f32 v[8:9], v[62:63], v[6:7], v[4:5] op_sel_hi:[0,1,1]
	v_pk_fma_f32 v[4:5], v[62:63], v[6:7], v[4:5] neg_lo:[0,0,1] neg_hi:[0,0,1]
	v_mov_b32_e32 v5, v9
	s_wait_loadcnt 0x0
	s_delay_alu instid0(VALU_DEP_1)
	v_pk_add_f32 v[2:3], v[2:3], v[4:5]
	global_store_b64 v[0:1], v[2:3], off
.LBB77_59:                              ;   in Loop: Header=BB77_7 Depth=2
	s_wait_xcnt 0x0
	s_or_b32 exec_lo, exec_lo, s4
	v_add_nc_u32_e32 v0, 16, v52
	s_delay_alu instid0(VALU_DEP_1) | instskip(SKIP_1) | instid1(VALU_DEP_2)
	v_ashrrev_i32_e32 v1, 31, v0
	v_cmp_gt_i32_e32 vcc_lo, s30, v0
	v_mul_u64_e32 v[2:3], s[24:25], v[0:1]
	s_and_b32 s5, s1, vcc_lo
	s_delay_alu instid0(VALU_DEP_1)
	v_lshl_add_u64 v[0:1], v[2:3], 3, s[22:23]
	s_and_saveexec_b32 s4, s5
	s_cbranch_execz .LBB77_61
; %bb.60:                               ;   in Loop: Header=BB77_7 Depth=2
	s_delay_alu instid0(VALU_DEP_1) | instskip(SKIP_4) | instid1(VALU_DEP_1)
	v_lshl_add_u64 v[2:3], v[20:21], 3, v[0:1]
	v_mov_b64_e32 v[6:7], s[40:41]
	v_mov_b64_e32 v[8:9], s[36:37]
	global_load_b64 v[4:5], v[2:3], off
	v_pk_mul_f32 v[6:7], v[60:61], v[6:7] op_sel_hi:[0,1]
	v_pk_fma_f32 v[10:11], v[58:59], v[8:9], v[6:7] op_sel_hi:[0,1,1]
	v_pk_fma_f32 v[6:7], v[58:59], v[8:9], v[6:7] neg_lo:[0,0,1] neg_hi:[0,0,1]
	s_delay_alu instid0(VALU_DEP_2) | instskip(SKIP_1) | instid1(VALU_DEP_1)
	v_mov_b32_e32 v7, v11
	s_wait_loadcnt 0x0
	v_pk_add_f32 v[4:5], v[4:5], v[6:7]
	global_store_b64 v[2:3], v[4:5], off
.LBB77_61:                              ;   in Loop: Header=BB77_7 Depth=2
	s_wait_xcnt 0x0
	s_or_b32 exec_lo, exec_lo, s4
	s_and_b32 s5, s2, vcc_lo
	s_delay_alu instid0(SALU_CYCLE_1)
	s_and_saveexec_b32 s4, s5
	s_cbranch_execz .LBB77_6
; %bb.62:                               ;   in Loop: Header=BB77_7 Depth=2
	v_lshl_add_u64 v[0:1], v[28:29], 3, v[0:1]
	v_mov_b64_e32 v[4:5], s[40:41]
	v_mov_b64_e32 v[6:7], s[36:37]
	global_load_b64 v[2:3], v[0:1], off
	v_pk_mul_f32 v[4:5], v[16:17], v[4:5] op_sel_hi:[0,1]
	s_delay_alu instid0(VALU_DEP_1) | instskip(SKIP_1) | instid1(VALU_DEP_2)
	v_pk_fma_f32 v[8:9], v[18:19], v[6:7], v[4:5] op_sel_hi:[0,1,1]
	v_pk_fma_f32 v[4:5], v[18:19], v[6:7], v[4:5] neg_lo:[0,0,1] neg_hi:[0,0,1]
	v_mov_b32_e32 v5, v9
	s_wait_loadcnt 0x0
	s_delay_alu instid0(VALU_DEP_1)
	v_pk_add_f32 v[2:3], v[2:3], v[4:5]
	global_store_b64 v[0:1], v[2:3], off
	s_branch .LBB77_6
.LBB77_63:
	s_sendmsg sendmsg(MSG_DEALLOC_VGPRS)
	s_endpgm
	.section	.rodata,"a",@progbits
	.p2align	6, 0x0
	.amdhsa_kernel _ZL30rocblas_trmm_outofplace_kernelI19rocblas_complex_numIfELi32ELi2ELb1ELb0ELb1ELb0ES1_KS1_S1_Ev17rocblas_diagonal_iiT6_lPT7_lllS6_lllPT8_llli
		.amdhsa_group_segment_fixed_size 16384
		.amdhsa_private_segment_fixed_size 0
		.amdhsa_kernarg_size 392
		.amdhsa_user_sgpr_count 2
		.amdhsa_user_sgpr_dispatch_ptr 0
		.amdhsa_user_sgpr_queue_ptr 0
		.amdhsa_user_sgpr_kernarg_segment_ptr 1
		.amdhsa_user_sgpr_dispatch_id 0
		.amdhsa_user_sgpr_kernarg_preload_length 0
		.amdhsa_user_sgpr_kernarg_preload_offset 0
		.amdhsa_user_sgpr_private_segment_size 0
		.amdhsa_wavefront_size32 1
		.amdhsa_uses_dynamic_stack 0
		.amdhsa_enable_private_segment 0
		.amdhsa_system_sgpr_workgroup_id_x 1
		.amdhsa_system_sgpr_workgroup_id_y 1
		.amdhsa_system_sgpr_workgroup_id_z 1
		.amdhsa_system_sgpr_workgroup_info 0
		.amdhsa_system_vgpr_workitem_id 1
		.amdhsa_next_free_vgpr 93
		.amdhsa_next_free_sgpr 58
		.amdhsa_named_barrier_count 0
		.amdhsa_reserve_vcc 1
		.amdhsa_float_round_mode_32 0
		.amdhsa_float_round_mode_16_64 0
		.amdhsa_float_denorm_mode_32 3
		.amdhsa_float_denorm_mode_16_64 3
		.amdhsa_fp16_overflow 0
		.amdhsa_memory_ordered 1
		.amdhsa_forward_progress 1
		.amdhsa_inst_pref_size 59
		.amdhsa_round_robin_scheduling 0
		.amdhsa_exception_fp_ieee_invalid_op 0
		.amdhsa_exception_fp_denorm_src 0
		.amdhsa_exception_fp_ieee_div_zero 0
		.amdhsa_exception_fp_ieee_overflow 0
		.amdhsa_exception_fp_ieee_underflow 0
		.amdhsa_exception_fp_ieee_inexact 0
		.amdhsa_exception_int_div_zero 0
	.end_amdhsa_kernel
	.section	.text._ZL30rocblas_trmm_outofplace_kernelI19rocblas_complex_numIfELi32ELi2ELb1ELb0ELb1ELb0ES1_KS1_S1_Ev17rocblas_diagonal_iiT6_lPT7_lllS6_lllPT8_llli,"axG",@progbits,_ZL30rocblas_trmm_outofplace_kernelI19rocblas_complex_numIfELi32ELi2ELb1ELb0ELb1ELb0ES1_KS1_S1_Ev17rocblas_diagonal_iiT6_lPT7_lllS6_lllPT8_llli,comdat
.Lfunc_end77:
	.size	_ZL30rocblas_trmm_outofplace_kernelI19rocblas_complex_numIfELi32ELi2ELb1ELb0ELb1ELb0ES1_KS1_S1_Ev17rocblas_diagonal_iiT6_lPT7_lllS6_lllPT8_llli, .Lfunc_end77-_ZL30rocblas_trmm_outofplace_kernelI19rocblas_complex_numIfELi32ELi2ELb1ELb0ELb1ELb0ES1_KS1_S1_Ev17rocblas_diagonal_iiT6_lPT7_lllS6_lllPT8_llli
                                        ; -- End function
	.set _ZL30rocblas_trmm_outofplace_kernelI19rocblas_complex_numIfELi32ELi2ELb1ELb0ELb1ELb0ES1_KS1_S1_Ev17rocblas_diagonal_iiT6_lPT7_lllS6_lllPT8_llli.num_vgpr, 93
	.set _ZL30rocblas_trmm_outofplace_kernelI19rocblas_complex_numIfELi32ELi2ELb1ELb0ELb1ELb0ES1_KS1_S1_Ev17rocblas_diagonal_iiT6_lPT7_lllS6_lllPT8_llli.num_agpr, 0
	.set _ZL30rocblas_trmm_outofplace_kernelI19rocblas_complex_numIfELi32ELi2ELb1ELb0ELb1ELb0ES1_KS1_S1_Ev17rocblas_diagonal_iiT6_lPT7_lllS6_lllPT8_llli.numbered_sgpr, 58
	.set _ZL30rocblas_trmm_outofplace_kernelI19rocblas_complex_numIfELi32ELi2ELb1ELb0ELb1ELb0ES1_KS1_S1_Ev17rocblas_diagonal_iiT6_lPT7_lllS6_lllPT8_llli.num_named_barrier, 0
	.set _ZL30rocblas_trmm_outofplace_kernelI19rocblas_complex_numIfELi32ELi2ELb1ELb0ELb1ELb0ES1_KS1_S1_Ev17rocblas_diagonal_iiT6_lPT7_lllS6_lllPT8_llli.private_seg_size, 0
	.set _ZL30rocblas_trmm_outofplace_kernelI19rocblas_complex_numIfELi32ELi2ELb1ELb0ELb1ELb0ES1_KS1_S1_Ev17rocblas_diagonal_iiT6_lPT7_lllS6_lllPT8_llli.uses_vcc, 1
	.set _ZL30rocblas_trmm_outofplace_kernelI19rocblas_complex_numIfELi32ELi2ELb1ELb0ELb1ELb0ES1_KS1_S1_Ev17rocblas_diagonal_iiT6_lPT7_lllS6_lllPT8_llli.uses_flat_scratch, 0
	.set _ZL30rocblas_trmm_outofplace_kernelI19rocblas_complex_numIfELi32ELi2ELb1ELb0ELb1ELb0ES1_KS1_S1_Ev17rocblas_diagonal_iiT6_lPT7_lllS6_lllPT8_llli.has_dyn_sized_stack, 0
	.set _ZL30rocblas_trmm_outofplace_kernelI19rocblas_complex_numIfELi32ELi2ELb1ELb0ELb1ELb0ES1_KS1_S1_Ev17rocblas_diagonal_iiT6_lPT7_lllS6_lllPT8_llli.has_recursion, 0
	.set _ZL30rocblas_trmm_outofplace_kernelI19rocblas_complex_numIfELi32ELi2ELb1ELb0ELb1ELb0ES1_KS1_S1_Ev17rocblas_diagonal_iiT6_lPT7_lllS6_lllPT8_llli.has_indirect_call, 0
	.section	.AMDGPU.csdata,"",@progbits
; Kernel info:
; codeLenInByte = 7492
; TotalNumSgprs: 60
; NumVgprs: 93
; ScratchSize: 0
; MemoryBound: 1
; FloatMode: 240
; IeeeMode: 1
; LDSByteSize: 16384 bytes/workgroup (compile time only)
; SGPRBlocks: 0
; VGPRBlocks: 5
; NumSGPRsForWavesPerEU: 60
; NumVGPRsForWavesPerEU: 93
; NamedBarCnt: 0
; Occupancy: 10
; WaveLimiterHint : 0
; COMPUTE_PGM_RSRC2:SCRATCH_EN: 0
; COMPUTE_PGM_RSRC2:USER_SGPR: 2
; COMPUTE_PGM_RSRC2:TRAP_HANDLER: 0
; COMPUTE_PGM_RSRC2:TGID_X_EN: 1
; COMPUTE_PGM_RSRC2:TGID_Y_EN: 1
; COMPUTE_PGM_RSRC2:TGID_Z_EN: 1
; COMPUTE_PGM_RSRC2:TIDIG_COMP_CNT: 1
	.section	.text._ZL30rocblas_trmm_outofplace_kernelI19rocblas_complex_numIfELi32ELi2ELb1ELb1ELb1ELb0EPKS1_S2_S1_Ev17rocblas_diagonal_iiT6_lPT7_lllS7_lllPT8_llli,"axG",@progbits,_ZL30rocblas_trmm_outofplace_kernelI19rocblas_complex_numIfELi32ELi2ELb1ELb1ELb1ELb0EPKS1_S2_S1_Ev17rocblas_diagonal_iiT6_lPT7_lllS7_lllPT8_llli,comdat
	.globl	_ZL30rocblas_trmm_outofplace_kernelI19rocblas_complex_numIfELi32ELi2ELb1ELb1ELb1ELb0EPKS1_S2_S1_Ev17rocblas_diagonal_iiT6_lPT7_lllS7_lllPT8_llli ; -- Begin function _ZL30rocblas_trmm_outofplace_kernelI19rocblas_complex_numIfELi32ELi2ELb1ELb1ELb1ELb0EPKS1_S2_S1_Ev17rocblas_diagonal_iiT6_lPT7_lllS7_lllPT8_llli
	.p2align	8
	.type	_ZL30rocblas_trmm_outofplace_kernelI19rocblas_complex_numIfELi32ELi2ELb1ELb1ELb1ELb0EPKS1_S2_S1_Ev17rocblas_diagonal_iiT6_lPT7_lllS7_lllPT8_llli,@function
_ZL30rocblas_trmm_outofplace_kernelI19rocblas_complex_numIfELi32ELi2ELb1ELb1ELb1ELb0EPKS1_S2_S1_Ev17rocblas_diagonal_iiT6_lPT7_lllS7_lllPT8_llli: ; @_ZL30rocblas_trmm_outofplace_kernelI19rocblas_complex_numIfELi32ELi2ELb1ELb1ELb1ELb0EPKS1_S2_S1_Ev17rocblas_diagonal_iiT6_lPT7_lllS7_lllPT8_llli
; %bb.0:
	s_load_b32 s11, s[0:1], 0x80
	s_bfe_u32 s2, ttmp6, 0x40014
	s_lshr_b32 s3, ttmp7, 16
	s_add_co_i32 s2, s2, 1
	s_bfe_u32 s5, ttmp6, 0x40008
	s_mul_i32 s2, s3, s2
	s_getreg_b32 s4, hwreg(HW_REG_IB_STS2, 6, 4)
	s_add_co_i32 s5, s5, s2
	s_cmp_eq_u32 s4, 0
	s_mov_b32 s35, 0
	s_cselect_b32 s34, s3, s5
	s_wait_kmcnt 0x0
	s_cmp_ge_u32 s34, s11
	s_cbranch_scc1 .LBB78_63
; %bb.1:
	s_clause 0x2
	s_load_b96 s[8:10], s[0:1], 0x0
	s_load_b256 s[36:43], s[0:1], 0x50
	s_load_b512 s[12:27], s[0:1], 0x10
	s_bfe_u32 s3, ttmp6, 0x4000c
	s_and_b32 s2, ttmp6, 15
	s_add_co_i32 s3, s3, 1
	s_bfe_u32 s6, ttmp6, 0x40010
	s_mul_i32 s3, ttmp9, s3
	s_and_b32 s5, ttmp7, 0xffff
	s_add_co_i32 s6, s6, 1
	s_add_co_i32 s30, s2, s3
	s_bfe_u32 s7, ttmp6, 0x40004
	s_mul_i32 s6, s5, s6
	v_and_b32_e32 v20, 0x3ff, v0
	s_add_co_i32 s7, s7, s6
	v_bfe_u32 v24, v0, 10, 10
	v_mov_b64_e32 v[26:27], 0
	v_mov_b64_e32 v[28:29], 0x3f800000
	v_dual_mov_b32 v25, 0 :: v_dual_lshlrev_b32 v30, 3, v20
	s_wait_kmcnt 0x0
	s_add_co_i32 s28, s10, -1
	v_lshlrev_b32_e32 v8, 8, v24
	s_ashr_i32 s29, s28, 31
	v_mov_b32_e32 v21, v25
	s_lshr_b32 s2, s29, 27
	v_dual_mov_b32 v31, v25 :: v_dual_lshlrev_b32 v6, 3, v24
	s_add_co_i32 s28, s28, s2
	s_lshl_b64 s[2:3], s[42:43], 3
	s_ashr_i32 s33, s28, 5
	s_cmp_eq_u32 s4, 0
	v_dual_mov_b32 v7, v25 :: v_dual_add_nc_u32 v65, v30, v8
	s_cselect_b32 s48, s5, s7
	s_cselect_b32 s4, ttmp9, s30
	s_cmp_le_i32 s48, s33
	s_load_b128 s[28:31], s[0:1], 0x70
	s_cselect_b32 s49, -1, 0
	s_lshl_b32 s50, s4, 5
	s_cmp_gt_i32 s4, -1
	v_add_nc_u32_e32 v22, s50, v20
	s_cselect_b32 s51, -1, 0
	s_cmp_eq_u32 s8, 0x84
	s_add_nc_u64 s[40:41], s[40:41], s[2:3]
	s_cselect_b32 s52, -1, 0
	v_ashrrev_i32_e32 v23, 31, v22
	s_lshl_b64 s[4:5], s[18:19], 3
	s_lshl_b64 s[2:3], s[26:27], 3
	v_add_nc_u32_e32 v63, 0x2000, v8
	v_add_nc_u32_e32 v32, 16, v22
	v_lshl_add_u64 v[2:3], v[22:23], 3, 0x80
	v_mul_u64_e32 v[4:5], s[20:21], v[22:23]
	v_add_nc_u64_e32 v[34:35], 16, v[22:23]
	s_mov_b32 s42, s9
	s_ashr_i32 s43, s9, 31
	v_mad_nc_u64_u32 v[0:1], s20, v2, s[4:5]
	s_add_nc_u64 s[2:3], s[24:25], s[2:3]
	v_sub_nc_u64_e32 v[38:39], v[22:23], v[24:25]
	v_add_nc_u64_e32 v[36:37], s[2:3], v[30:31]
	v_cmp_le_i64_e64 s3, s[42:43], v[34:35]
	s_add_nc_u64 s[18:19], s[0:1], 0x88
	v_dual_add_nc_u32 v67, v63, v30 :: v_dual_ashrrev_i32 v33, 31, v32
	s_wait_xcnt 0x0
	v_cmp_le_i32_e64 s0, s9, v22
	v_cmp_gt_i32_e64 s1, s9, v22
	v_cmp_gt_i32_e64 s2, s9, v32
	v_mad_u32 v1, s21, v2, v1
	v_add_nc_u32_e32 v31, 0x800, v30
	v_add_nc_u32_e32 v69, 0x1000, v30
	;; [unrolled: 1-line block ×3, first 2 shown]
	s_mov_b32 s44, s10
	s_ashr_i32 s45, s10, 31
	s_lshl_b64 s[24:25], s[36:37], 3
	s_lshl_b64 s[22:23], s[22:23], 3
	s_delay_alu instid0(VALU_DEP_4) | instskip(SKIP_2) | instid1(VALU_DEP_1)
	v_mad_u32 v1, s20, v3, v1
	s_add_nc_u64 s[20:21], s[42:43], -16
	v_lshl_add_u64 v[2:3], v[4:5], 3, s[4:5]
	v_add_nc_u64_e32 v[2:3], v[2:3], v[6:7]
	s_delay_alu instid0(VALU_DEP_3) | instskip(NEXT) | instid1(VALU_DEP_2)
	v_add_nc_u64_e32 v[0:1], v[0:1], v[6:7]
	v_add_nc_u64_e32 v[40:41], s[16:17], v[2:3]
	s_delay_alu instid0(VALU_DEP_2)
	v_add_nc_u64_e32 v[42:43], s[16:17], v[0:1]
	s_lshl_b64 s[16:17], s[38:39], 3
	s_branch .LBB78_4
.LBB78_2:                               ;   in Loop: Header=BB78_4 Depth=1
	s_add_co_i32 s34, s34, 0x10000
	s_delay_alu instid0(SALU_CYCLE_1)
	s_cmp_ge_u32 s34, s11
	s_cselect_b32 s4, -1, 0
.LBB78_3:                               ;   in Loop: Header=BB78_4 Depth=1
	s_delay_alu instid0(SALU_CYCLE_1)
	s_and_b32 vcc_lo, exec_lo, s4
	s_cbranch_vccnz .LBB78_63
.LBB78_4:                               ; =>This Loop Header: Depth=1
                                        ;     Child Loop BB78_8 Depth 2
                                        ;       Child Loop BB78_11 Depth 3
	s_mul_u64 s[4:5], s[14:15], s[34:35]
	s_delay_alu instid0(SALU_CYCLE_1) | instskip(NEXT) | instid1(SALU_CYCLE_1)
	s_lshl_b64 s[4:5], s[4:5], 3
	s_add_nc_u64 s[4:5], s[12:13], s[4:5]
	global_load_b64 v[44:45], v25, s[4:5]
	s_wait_xcnt 0x0
	s_mov_b32 s4, -1
	s_wait_loadcnt 0x0
	v_or_b32_e32 v0, v44, v45
	s_delay_alu instid0(VALU_DEP_1) | instskip(NEXT) | instid1(VALU_DEP_1)
	v_and_b32_e32 v0, 0x7fffffff, v0
	v_cmp_eq_u32_e32 vcc_lo, 0, v0
	s_cbranch_vccnz .LBB78_3
; %bb.5:                                ;   in Loop: Header=BB78_4 Depth=1
	s_and_not1_b32 vcc_lo, exec_lo, s49
	s_cbranch_vccnz .LBB78_2
; %bb.6:                                ;   in Loop: Header=BB78_4 Depth=1
	s_load_b32 s9, s[18:19], 0x4
	v_mad_nc_u64_u32 v[46:47], s16, s34, v[36:37]
	v_mad_nc_u64_u32 v[48:49], s22, s34, v[42:43]
	;; [unrolled: 1-line block ×3, first 2 shown]
	s_mul_i32 s6, s23, s34
	s_wait_kmcnt 0x0
	s_mul_u64 s[4:5], s[30:31], s[34:35]
	v_lshl_add_u32 v54, s48, 5, v24
	v_dual_mov_b32 v52, v45 :: v_dual_mov_b32 v53, v44
	s_lshl_b64 s[4:5], s[4:5], 3
	s_mov_b32 s54, s48
	s_add_nc_u64 s[26:27], s[40:41], s[4:5]
	v_mad_u32 v47, s17, s34, v47
	s_delay_alu instid0(VALU_DEP_4)
	v_dual_add_nc_u32 v49, s6, v49 :: v_dual_add_nc_u32 v51, s6, v51
	s_lshl_b32 s53, s9, 5
	s_branch .LBB78_8
.LBB78_7:                               ;   in Loop: Header=BB78_8 Depth=2
	s_wait_xcnt 0x0
	s_or_b32 exec_lo, exec_lo, s4
	v_add_nc_u32_e32 v54, s53, v54
	s_add_co_i32 s54, s9, s54
	s_delay_alu instid0(SALU_CYCLE_1)
	s_cmp_gt_i32 s54, s33
	s_cbranch_scc1 .LBB78_2
.LBB78_8:                               ;   Parent Loop BB78_4 Depth=1
                                        ; =>  This Loop Header: Depth=2
                                        ;       Child Loop BB78_11 Depth 3
	v_lshl_add_u32 v56, s54, 5, v24
	v_dual_mov_b32 v68, 0 :: v_dual_mov_b32 v72, 0
	v_dual_mov_b32 v66, 0 :: v_dual_mov_b32 v70, 0
	s_delay_alu instid0(VALU_DEP_3)
	v_dual_mov_b32 v62, 0 :: v_dual_ashrrev_i32 v57, 31, v56
	v_dual_mov_b32 v64, 0 :: v_dual_mov_b32 v18, 0
	v_mov_b32_e32 v16, 0
	s_and_not1_b32 vcc_lo, exec_lo, s51
	s_cbranch_vccnz .LBB78_55
; %bb.9:                                ;   in Loop: Header=BB78_8 Depth=2
	v_dual_mov_b32 v16, 0 :: v_dual_ashrrev_i32 v55, 31, v54
	v_mad_nc_u64_u32 v[58:59], s24, v54, v[46:47]
	v_sub_nc_u64_e32 v[2:3], s[44:45], v[56:57]
	v_dual_mov_b32 v18, 0 :: v_dual_mov_b32 v64, 0
	s_delay_alu instid0(VALU_DEP_4) | instskip(SKIP_2) | instid1(VALU_DEP_3)
	v_lshl_add_u64 v[0:1], v[54:55], 3, 0x80
	v_dual_mov_b32 v62, 0 :: v_dual_mov_b32 v70, 0
	v_dual_mov_b32 v66, 0 :: v_dual_mov_b32 v72, 0
	v_mad_nc_u64_u32 v[60:61], s36, v0, v[46:47]
	v_cmp_lt_i64_e64 s4, 16, v[2:3]
	v_mad_u32 v4, s25, v54, v59
	v_mov_b32_e32 v68, 0
	s_mov_b64 s[38:39], 0
	s_mov_b64 s[46:47], 0
	v_cmp_lt_i64_e32 vcc_lo, 0, v[2:3]
	v_mad_u32 v0, s37, v0, v61
	s_delay_alu instid0(VALU_DEP_4) | instskip(NEXT) | instid1(VALU_DEP_2)
	v_mad_u32 v59, s24, v55, v4
	v_mad_u32 v61, s36, v1, v0
	s_branch .LBB78_11
.LBB78_10:                              ;   in Loop: Header=BB78_11 Depth=3
	s_wait_xcnt 0x0
	s_or_b32 exec_lo, exec_lo, s5
	s_wait_dscnt 0x0
	s_barrier_signal -1
	s_barrier_wait -1
	ds_load_b128 v[74:77], v63
	ds_load_2addr_b64 v[78:81], v30 offset1:16
	ds_load_b128 v[82:85], v63 offset:4096
	ds_load_b128 v[8:11], v63 offset:16
	;; [unrolled: 1-line block ×4, first 2 shown]
	ds_load_2addr_b64 v[86:89], v30 offset0:32 offset1:48
	ds_load_b128 v[12:15], v63 offset:4112
	s_add_nc_u64 s[46:47], s[46:47], 32
	s_add_nc_u64 s[38:39], s[38:39], 0x100
	s_sub_co_i32 s5, s46, 32
	s_delay_alu instid0(SALU_CYCLE_1)
	s_cmp_ge_i32 s5, s50
	s_wait_dscnt 0x6
	v_dual_mul_f32 v17, v75, v79 :: v_dual_mul_f32 v19, v74, v79
	v_dual_mul_f32 v55, v75, v81 :: v_dual_mul_f32 v73, v74, v81
	s_wait_dscnt 0x5
	v_dual_mul_f32 v90, v83, v79 :: v_dual_mul_f32 v79, v82, v79
	v_dual_mul_f32 v91, v83, v81 :: v_dual_mul_f32 v81, v82, v81
	v_dual_fma_f32 v17, v74, v78, -v17 :: v_dual_fmac_f32 v19, v75, v78
	v_dual_fma_f32 v55, v74, v80, -v55 :: v_dual_fmac_f32 v73, v75, v80
	s_delay_alu instid0(VALU_DEP_4) | instskip(NEXT) | instid1(VALU_DEP_3)
	v_dual_fma_f32 v74, v82, v78, -v90 :: v_dual_fmac_f32 v79, v83, v78
	v_dual_fma_f32 v75, v82, v80, -v91 :: v_dual_add_f32 v17, v68, v17
	s_delay_alu instid0(VALU_DEP_4) | instskip(NEXT) | instid1(VALU_DEP_4)
	v_add_f32_e32 v19, v72, v19
	v_dual_add_f32 v55, v66, v55 :: v_dual_fmac_f32 v81, v83, v80
	v_add_f32_e32 v66, v70, v73
	v_dual_add_f32 v62, v62, v74 :: v_dual_add_f32 v64, v64, v79
	s_wait_dscnt 0x1
	v_dual_mul_f32 v68, v77, v87 :: v_dual_mul_f32 v70, v76, v87
	v_add_f32_e32 v18, v18, v75
	ds_load_2addr_b64 v[72:75], v30 offset0:64 offset1:80
	v_dual_mul_f32 v78, v77, v89 :: v_dual_fma_f32 v68, v76, v86, -v68
	v_dual_add_f32 v79, v16, v81 :: v_dual_fmac_f32 v70, v77, v86
	s_delay_alu instid0(VALU_DEP_2) | instskip(NEXT) | instid1(VALU_DEP_3)
	v_dual_mul_f32 v16, v76, v89 :: v_dual_add_f32 v68, v17, v68
	v_dual_fma_f32 v17, v76, v88, -v78 :: v_dual_mul_f32 v76, v85, v87
	s_delay_alu instid0(VALU_DEP_2) | instskip(NEXT) | instid1(VALU_DEP_2)
	v_dual_add_f32 v70, v19, v70 :: v_dual_fmac_f32 v16, v77, v88
	v_dual_mul_f32 v19, v84, v87 :: v_dual_add_f32 v55, v55, v17
	s_delay_alu instid0(VALU_DEP_3) | instskip(NEXT) | instid1(VALU_DEP_2)
	v_dual_fma_f32 v17, v84, v86, -v76 :: v_dual_mul_f32 v76, v85, v89
	v_dual_add_f32 v66, v66, v16 :: v_dual_fmac_f32 v19, v85, v86
	v_mul_f32_e32 v77, v84, v89
	s_delay_alu instid0(VALU_DEP_3) | instskip(SKIP_1) | instid1(VALU_DEP_3)
	v_dual_add_f32 v62, v62, v17 :: v_dual_fma_f32 v16, v84, v88, -v76
	s_wait_dscnt 0x0
	v_dual_mul_f32 v17, v9, v73 :: v_dual_add_f32 v64, v64, v19
	s_delay_alu instid0(VALU_DEP_3) | instskip(NEXT) | instid1(VALU_DEP_3)
	v_dual_fmac_f32 v77, v85, v88 :: v_dual_mul_f32 v76, v8, v73
	v_dual_add_f32 v78, v18, v16 :: v_dual_mul_f32 v81, v9, v75
	s_delay_alu instid0(VALU_DEP_3) | instskip(SKIP_4) | instid1(VALU_DEP_3)
	v_fma_f32 v80, v8, v72, -v17
	ds_load_2addr_b64 v[16:19], v30 offset0:96 offset1:112
	v_dual_fmac_f32 v76, v9, v72 :: v_dual_add_f32 v77, v79, v77
	v_dual_mul_f32 v79, v8, v75 :: v_dual_fma_f32 v8, v8, v74, -v81
	v_add_f32_e32 v68, v68, v80
	v_dual_add_f32 v70, v70, v76 :: v_dual_mul_f32 v76, v13, v73
	s_delay_alu instid0(VALU_DEP_3) | instskip(NEXT) | instid1(VALU_DEP_4)
	v_dual_mul_f32 v73, v12, v73 :: v_dual_fmac_f32 v79, v9, v74
	v_dual_add_f32 v8, v55, v8 :: v_dual_mul_f32 v9, v13, v75
	s_delay_alu instid0(VALU_DEP_2) | instskip(SKIP_1) | instid1(VALU_DEP_3)
	v_dual_fma_f32 v55, v12, v72, -v76 :: v_dual_fmac_f32 v73, v13, v72
	v_mul_f32_e32 v76, v12, v75
	v_dual_add_f32 v66, v66, v79 :: v_dual_fma_f32 v9, v12, v74, -v9
	s_delay_alu instid0(VALU_DEP_3) | instskip(SKIP_1) | instid1(VALU_DEP_3)
	v_dual_add_f32 v12, v62, v55 :: v_dual_add_f32 v55, v64, v73
	s_wait_dscnt 0x0
	v_dual_fmac_f32 v76, v13, v74 :: v_dual_mul_f32 v13, v11, v17
	v_mul_f32_e32 v62, v10, v17
	ds_load_2addr_b64 v[72:75], v30 offset0:128 offset1:144
	v_dual_add_f32 v9, v78, v9 :: v_dual_mul_f32 v64, v11, v19
	v_fma_f32 v13, v10, v16, -v13
	v_dual_add_f32 v80, v77, v76 :: v_dual_mul_f32 v76, v10, v19
	s_delay_alu instid0(VALU_DEP_3) | instskip(NEXT) | instid1(VALU_DEP_3)
	v_dual_fmac_f32 v62, v11, v16 :: v_dual_fma_f32 v10, v10, v18, -v64
	v_add_f32_e32 v64, v68, v13
	v_mul_f32_e32 v13, v15, v17
	s_delay_alu instid0(VALU_DEP_4) | instskip(NEXT) | instid1(VALU_DEP_4)
	v_fmac_f32_e32 v76, v11, v18
	v_add_f32_e32 v11, v70, v62
	v_dual_add_f32 v62, v8, v10 :: v_dual_mul_f32 v8, v14, v17
	s_delay_alu instid0(VALU_DEP_4) | instskip(NEXT) | instid1(VALU_DEP_4)
	v_fma_f32 v10, v14, v16, -v13
	v_dual_add_f32 v17, v66, v76 :: v_dual_mul_f32 v13, v15, v19
	ds_load_b128 v[76:79], v63 offset:4128
	v_dual_fmac_f32 v8, v15, v16 :: v_dual_add_f32 v16, v12, v10
	v_dual_mul_f32 v10, v14, v19 :: v_dual_fma_f32 v12, v14, v18, -v13
	s_wait_dscnt 0x1
	s_delay_alu instid0(VALU_DEP_2) | instskip(NEXT) | instid1(VALU_DEP_2)
	v_dual_mul_f32 v13, v5, v73 :: v_dual_add_f32 v19, v55, v8
	v_dual_mul_f32 v8, v4, v73 :: v_dual_fmac_f32 v10, v15, v18
	s_delay_alu instid0(VALU_DEP_3) | instskip(NEXT) | instid1(VALU_DEP_3)
	v_add_f32_e32 v18, v9, v12
	v_fma_f32 v9, v4, v72, -v13
	ds_load_2addr_b64 v[12:15], v30 offset0:160 offset1:176
	v_dual_fmac_f32 v8, v5, v72 :: v_dual_mul_f32 v55, v5, v75
	v_add_f32_e32 v66, v80, v10
	v_add_f32_e32 v64, v64, v9
	s_delay_alu instid0(VALU_DEP_3) | instskip(SKIP_4) | instid1(VALU_DEP_2)
	v_dual_mul_f32 v68, v4, v75 :: v_dual_add_f32 v70, v11, v8
	ds_load_b128 v[8:11], v63 offset:4144
	s_wait_dscnt 0x2
	v_dual_fma_f32 v4, v4, v74, -v55 :: v_dual_mul_f32 v55, v77, v73
	v_dual_fmac_f32 v68, v5, v74 :: v_dual_mul_f32 v5, v76, v73
	v_dual_add_f32 v4, v62, v4 :: v_dual_mul_f32 v62, v77, v75
	s_delay_alu instid0(VALU_DEP_2) | instskip(NEXT) | instid1(VALU_DEP_3)
	v_dual_fma_f32 v55, v76, v72, -v55 :: v_dual_fmac_f32 v5, v77, v72
	v_dual_add_f32 v17, v17, v68 :: v_dual_mul_f32 v68, v76, v75
	s_delay_alu instid0(VALU_DEP_3) | instskip(NEXT) | instid1(VALU_DEP_3)
	v_fma_f32 v62, v76, v74, -v62
	v_dual_add_f32 v16, v16, v55 :: v_dual_add_f32 v5, v19, v5
	s_wait_dscnt 0x1
	s_delay_alu instid0(VALU_DEP_3) | instskip(NEXT) | instid1(VALU_DEP_3)
	v_dual_mul_f32 v55, v7, v13 :: v_dual_fmac_f32 v68, v77, v74
	v_add_f32_e32 v62, v18, v62
	v_mul_f32_e32 v18, v6, v13
	ds_load_2addr_b64 v[72:75], v30 offset0:192 offset1:208
	v_dual_fma_f32 v19, v6, v12, -v55 :: v_dual_mul_f32 v55, v7, v15
	v_fmac_f32_e32 v18, v7, v12
	s_delay_alu instid0(VALU_DEP_2) | instskip(NEXT) | instid1(VALU_DEP_3)
	v_dual_add_f32 v66, v66, v68 :: v_dual_add_f32 v64, v64, v19
	v_dual_mul_f32 v19, v6, v15 :: v_dual_fma_f32 v6, v6, v14, -v55
	v_dual_mul_f32 v55, v79, v13 :: v_dual_mul_f32 v13, v78, v13
	s_delay_alu instid0(VALU_DEP_4) | instskip(NEXT) | instid1(VALU_DEP_3)
	v_add_f32_e32 v68, v70, v18
	v_fmac_f32_e32 v19, v7, v14
	s_delay_alu instid0(VALU_DEP_3) | instskip(NEXT) | instid1(VALU_DEP_4)
	v_dual_add_f32 v4, v4, v6 :: v_dual_fma_f32 v6, v78, v12, -v55
	v_dual_fmac_f32 v13, v79, v12 :: v_dual_mul_f32 v7, v79, v15
	s_delay_alu instid0(VALU_DEP_2) | instskip(NEXT) | instid1(VALU_DEP_2)
	v_dual_mul_f32 v15, v78, v15 :: v_dual_add_f32 v6, v16, v6
	v_dual_add_f32 v12, v17, v19 :: v_dual_fma_f32 v7, v78, v14, -v7
	ds_load_2addr_b64 v[16:19], v30 offset0:224 offset1:240
	v_dual_add_f32 v5, v5, v13 :: v_dual_fmac_f32 v15, v79, v14
	s_wait_dscnt 0x1
	v_dual_mul_f32 v13, v1, v73 :: v_dual_mul_f32 v14, v0, v73
	v_mul_f32_e32 v55, v1, v75
	s_delay_alu instid0(VALU_DEP_2) | instskip(NEXT) | instid1(VALU_DEP_3)
	v_dual_add_f32 v7, v62, v7 :: v_dual_fma_f32 v13, v0, v72, -v13
	v_dual_fmac_f32 v14, v1, v72 :: v_dual_mul_f32 v62, v0, v75
	s_delay_alu instid0(VALU_DEP_3) | instskip(NEXT) | instid1(VALU_DEP_3)
	v_dual_fma_f32 v0, v0, v74, -v55 :: v_dual_add_f32 v66, v66, v15
	v_add_f32_e32 v64, v64, v13
	s_delay_alu instid0(VALU_DEP_3) | instskip(NEXT) | instid1(VALU_DEP_4)
	v_add_f32_e32 v55, v68, v14
	v_dual_fmac_f32 v62, v1, v74 :: v_dual_mul_f32 v13, v8, v73
	s_delay_alu instid0(VALU_DEP_4) | instskip(NEXT) | instid1(VALU_DEP_2)
	v_dual_mul_f32 v1, v9, v73 :: v_dual_add_f32 v0, v4, v0
	v_dual_mul_f32 v4, v9, v75 :: v_dual_add_f32 v62, v12, v62
	s_delay_alu instid0(VALU_DEP_3) | instskip(NEXT) | instid1(VALU_DEP_3)
	v_fmac_f32_e32 v13, v9, v72
	v_dual_fma_f32 v1, v8, v72, -v1 :: v_dual_mul_f32 v68, v8, v75
	s_wait_dscnt 0x0
	s_delay_alu instid0(VALU_DEP_3) | instskip(NEXT) | instid1(VALU_DEP_3)
	v_dual_fma_f32 v4, v8, v74, -v4 :: v_dual_mul_f32 v8, v3, v17
	v_add_f32_e32 v70, v5, v13
	s_delay_alu instid0(VALU_DEP_3) | instskip(NEXT) | instid1(VALU_DEP_3)
	v_dual_add_f32 v1, v6, v1 :: v_dual_fmac_f32 v68, v9, v74
	v_add_f32_e32 v9, v7, v4
	s_delay_alu instid0(VALU_DEP_4) | instskip(NEXT) | instid1(VALU_DEP_3)
	v_dual_fma_f32 v4, v2, v16, -v8 :: v_dual_mul_f32 v5, v2, v17
	v_dual_mul_f32 v6, v3, v19 :: v_dual_add_f32 v66, v66, v68
	ds_load_b128 v[12:15], v63 offset:64
	ds_load_2addr_b64 v[72:75], v31 offset1:16
	v_dual_mul_f32 v7, v2, v19 :: v_dual_fmac_f32 v5, v3, v16
	v_dual_add_f32 v64, v64, v4 :: v_dual_fma_f32 v2, v2, v18, -v6
	v_mul_f32_e32 v4, v11, v17
	s_delay_alu instid0(VALU_DEP_3) | instskip(NEXT) | instid1(VALU_DEP_4)
	v_fmac_f32_e32 v7, v3, v18
	v_add_f32_e32 v55, v55, v5
	s_delay_alu instid0(VALU_DEP_4) | instskip(NEXT) | instid1(VALU_DEP_4)
	v_dual_mul_f32 v3, v10, v17 :: v_dual_add_f32 v17, v0, v2
	v_dual_fma_f32 v0, v10, v16, -v4 :: v_dual_mul_f32 v2, v11, v19
	ds_load_b128 v[76:79], v63 offset:4160
	v_dual_add_f32 v62, v62, v7 :: v_dual_fmac_f32 v3, v11, v16
	v_dual_add_f32 v16, v1, v0 :: v_dual_fma_f32 v0, v10, v18, -v2
	v_mul_f32_e32 v1, v10, v19
	ds_load_b128 v[4:7], v63 offset:80
	s_wait_dscnt 0x2
	v_dual_add_f32 v19, v70, v3 :: v_dual_mul_f32 v2, v13, v73
	v_dual_mul_f32 v3, v12, v73 :: v_dual_fmac_f32 v1, v11, v18
	v_add_f32_e32 v18, v9, v0
	ds_load_2addr_b64 v[8:11], v31 offset0:32 offset1:48
	v_dual_fma_f32 v0, v12, v72, -v2 :: v_dual_fmac_f32 v3, v13, v72
	v_dual_mul_f32 v2, v13, v75 :: v_dual_add_f32 v66, v66, v1
	s_delay_alu instid0(VALU_DEP_2) | instskip(NEXT) | instid1(VALU_DEP_2)
	v_add_f32_e32 v64, v64, v0
	v_dual_mul_f32 v68, v12, v75 :: v_dual_fma_f32 v12, v12, v74, -v2
	s_wait_dscnt 0x2
	v_dual_add_f32 v55, v55, v3 :: v_dual_mul_f32 v70, v77, v73
	ds_load_b128 v[0:3], v63 offset:4176
	v_dual_fmac_f32 v68, v13, v74 :: v_dual_mul_f32 v13, v76, v73
	v_add_f32_e32 v12, v17, v12
	v_dual_mul_f32 v17, v77, v75 :: v_dual_fma_f32 v70, v76, v72, -v70
	s_delay_alu instid0(VALU_DEP_3) | instskip(NEXT) | instid1(VALU_DEP_4)
	v_add_f32_e32 v62, v62, v68
	v_dual_fmac_f32 v13, v77, v72 :: v_dual_mul_f32 v68, v76, v75
	s_delay_alu instid0(VALU_DEP_3) | instskip(SKIP_2) | instid1(VALU_DEP_3)
	v_fma_f32 v17, v76, v74, -v17
	s_wait_dscnt 0x1
	v_dual_add_f32 v70, v16, v70 :: v_dual_mul_f32 v16, v15, v9
	v_dual_add_f32 v13, v19, v13 :: v_dual_fmac_f32 v68, v77, v74
	s_delay_alu instid0(VALU_DEP_3) | instskip(NEXT) | instid1(VALU_DEP_3)
	v_dual_add_f32 v72, v18, v17 :: v_dual_mul_f32 v75, v15, v11
	v_dual_fma_f32 v74, v14, v8, -v16 :: v_dual_mul_f32 v73, v14, v9
	ds_load_2addr_b64 v[16:19], v31 offset0:64 offset1:80
	v_add_f32_e32 v66, v66, v68
	v_dual_mul_f32 v68, v14, v11 :: v_dual_add_f32 v64, v64, v74
	v_dual_fmac_f32 v73, v15, v8 :: v_dual_fma_f32 v14, v14, v10, -v75
	v_dual_mul_f32 v74, v79, v9 :: v_dual_mul_f32 v9, v78, v9
	s_delay_alu instid0(VALU_DEP_3) | instskip(NEXT) | instid1(VALU_DEP_3)
	v_fmac_f32_e32 v68, v15, v10
	v_dual_add_f32 v55, v55, v73 :: v_dual_add_f32 v73, v12, v14
	s_delay_alu instid0(VALU_DEP_3) | instskip(NEXT) | instid1(VALU_DEP_3)
	v_dual_fma_f32 v12, v78, v8, -v74 :: v_dual_fmac_f32 v9, v79, v8
	v_dual_mul_f32 v8, v79, v11 :: v_dual_add_f32 v62, v62, v68
	v_mul_f32_e32 v11, v78, v11
	s_delay_alu instid0(VALU_DEP_3)
	v_dual_add_f32 v68, v70, v12 :: v_dual_add_f32 v9, v13, v9
	ds_load_2addr_b64 v[12:15], v31 offset0:96 offset1:112
	s_wait_dscnt 0x1
	v_dual_fma_f32 v8, v78, v10, -v8 :: v_dual_mul_f32 v70, v5, v17
	v_dual_fmac_f32 v11, v79, v10 :: v_dual_mul_f32 v10, v4, v17
	v_mul_f32_e32 v74, v4, v19
	s_delay_alu instid0(VALU_DEP_3) | instskip(NEXT) | instid1(VALU_DEP_4)
	v_dual_add_f32 v8, v72, v8 :: v_dual_mul_f32 v72, v5, v19
	v_fma_f32 v70, v4, v16, -v70
	s_delay_alu instid0(VALU_DEP_4) | instskip(NEXT) | instid1(VALU_DEP_3)
	v_dual_fmac_f32 v10, v5, v16 :: v_dual_add_f32 v66, v66, v11
	v_dual_fmac_f32 v74, v5, v18 :: v_dual_fma_f32 v4, v4, v18, -v72
	s_delay_alu instid0(VALU_DEP_3) | instskip(NEXT) | instid1(VALU_DEP_3)
	v_dual_add_f32 v64, v64, v70 :: v_dual_mul_f32 v5, v1, v17
	v_dual_add_f32 v55, v55, v10 :: v_dual_mul_f32 v10, v0, v17
	v_dual_mul_f32 v11, v1, v19 :: v_dual_mul_f32 v70, v0, v19
	s_delay_alu instid0(VALU_DEP_3) | instskip(SKIP_1) | instid1(VALU_DEP_3)
	v_fma_f32 v5, v0, v16, -v5
	v_dual_add_f32 v4, v73, v4 :: v_dual_add_f32 v62, v62, v74
	v_dual_fmac_f32 v10, v1, v16 :: v_dual_fma_f32 v0, v0, v18, -v11
	s_wait_dscnt 0x0
	v_mul_f32_e32 v11, v7, v13
	v_dual_add_f32 v5, v68, v5 :: v_dual_fmac_f32 v70, v1, v18
	s_delay_alu instid0(VALU_DEP_3) | instskip(NEXT) | instid1(VALU_DEP_3)
	v_dual_add_f32 v68, v9, v10 :: v_dual_add_f32 v0, v8, v0
	v_dual_fma_f32 v1, v6, v12, -v11 :: v_dual_mul_f32 v72, v6, v13
	ds_load_b128 v[8:11], v63 offset:96
	ds_load_2addr_b64 v[16:19], v31 offset0:128 offset1:144
	v_dual_mul_f32 v73, v7, v15 :: v_dual_add_f32 v66, v66, v70
	v_dual_mul_f32 v70, v6, v15 :: v_dual_fmac_f32 v72, v7, v12
	s_delay_alu instid0(VALU_DEP_2) | instskip(SKIP_1) | instid1(VALU_DEP_3)
	v_dual_add_f32 v1, v64, v1 :: v_dual_fma_f32 v6, v6, v14, -v73
	v_dual_mul_f32 v64, v3, v13 :: v_dual_mul_f32 v13, v2, v13
	v_add_f32_e32 v55, v55, v72
	s_delay_alu instid0(VALU_DEP_4) | instskip(NEXT) | instid1(VALU_DEP_3)
	v_fmac_f32_e32 v70, v7, v14
	v_dual_add_f32 v76, v4, v6 :: v_dual_fma_f32 v4, v2, v12, -v64
	v_mul_f32_e32 v6, v3, v15
	ds_load_b128 v[72:75], v63 offset:4192
	v_dual_add_f32 v62, v62, v70 :: v_dual_fmac_f32 v13, v3, v12
	v_dual_add_f32 v64, v5, v4 :: v_dual_fma_f32 v12, v2, v14, -v6
	s_wait_dscnt 0x1
	v_dual_mul_f32 v2, v2, v15 :: v_dual_mul_f32 v15, v9, v17
	v_mul_f32_e32 v70, v8, v17
	v_add_f32_e32 v68, v68, v13
	s_delay_alu instid0(VALU_DEP_3) | instskip(NEXT) | instid1(VALU_DEP_3)
	v_dual_add_f32 v77, v0, v12 :: v_dual_fmac_f32 v2, v3, v14
	v_dual_fma_f32 v0, v8, v16, -v15 :: v_dual_fmac_f32 v70, v9, v16
	ds_load_2addr_b64 v[12:15], v31 offset0:160 offset1:176
	v_mul_f32_e32 v3, v9, v19
	ds_load_b128 v[4:7], v63 offset:112
	v_dual_mul_f32 v79, v8, v19 :: v_dual_add_f32 v55, v55, v70
	v_dual_add_f32 v66, v66, v2 :: v_dual_add_f32 v78, v1, v0
	s_wait_dscnt 0x2
	v_dual_fma_f32 v8, v8, v18, -v3 :: v_dual_mul_f32 v70, v73, v17
	s_delay_alu instid0(VALU_DEP_3) | instskip(NEXT) | instid1(VALU_DEP_2)
	v_dual_fmac_f32 v79, v9, v18 :: v_dual_mul_f32 v9, v72, v17
	v_dual_mul_f32 v17, v73, v19 :: v_dual_add_f32 v8, v76, v8
	s_delay_alu instid0(VALU_DEP_2) | instskip(NEXT) | instid1(VALU_DEP_3)
	v_dual_fma_f32 v70, v72, v16, -v70 :: v_dual_add_f32 v62, v62, v79
	v_dual_fmac_f32 v9, v73, v16 :: v_dual_mul_f32 v76, v72, v19
	s_delay_alu instid0(VALU_DEP_3)
	v_fma_f32 v16, v72, v18, -v17
	ds_load_b128 v[0:3], v63 offset:4208
	s_wait_dscnt 0x2
	v_dual_mul_f32 v17, v11, v13 :: v_dual_add_f32 v64, v64, v70
	v_dual_add_f32 v9, v68, v9 :: v_dual_fmac_f32 v76, v73, v18
	v_dual_add_f32 v68, v77, v16 :: v_dual_mul_f32 v70, v10, v13
	s_delay_alu instid0(VALU_DEP_3) | instskip(SKIP_4) | instid1(VALU_DEP_3)
	v_fma_f32 v72, v10, v12, -v17
	ds_load_2addr_b64 v[16:19], v31 offset0:192 offset1:208
	v_dual_mul_f32 v73, v11, v15 :: v_dual_add_f32 v66, v66, v76
	v_dual_fmac_f32 v70, v11, v12 :: v_dual_mul_f32 v76, v10, v15
	v_add_f32_e32 v72, v78, v72
	v_dual_fma_f32 v10, v10, v14, -v73 :: v_dual_mul_f32 v73, v75, v13
	s_delay_alu instid0(VALU_DEP_3) | instskip(NEXT) | instid1(VALU_DEP_4)
	v_dual_mul_f32 v13, v74, v13 :: v_dual_add_f32 v55, v55, v70
	v_fmac_f32_e32 v76, v11, v14
	s_delay_alu instid0(VALU_DEP_3) | instskip(NEXT) | instid1(VALU_DEP_3)
	v_dual_add_f32 v8, v8, v10 :: v_dual_fma_f32 v10, v74, v12, -v73
	v_dual_fmac_f32 v13, v75, v12 :: v_dual_mul_f32 v11, v75, v15
	v_mul_f32_e32 v70, v74, v15
	s_delay_alu instid0(VALU_DEP_3) | instskip(NEXT) | instid1(VALU_DEP_3)
	v_dual_add_f32 v62, v62, v76 :: v_dual_add_f32 v10, v64, v10
	v_dual_add_f32 v9, v9, v13 :: v_dual_fma_f32 v11, v74, v14, -v11
	s_wait_dscnt 0x0
	s_delay_alu instid0(VALU_DEP_3)
	v_dual_mul_f32 v64, v5, v17 :: v_dual_fmac_f32 v70, v75, v14
	v_mul_f32_e32 v73, v4, v17
	ds_load_2addr_b64 v[12:15], v31 offset0:224 offset1:240
	v_add_f32_e32 v11, v68, v11
	v_dual_fma_f32 v64, v4, v16, -v64 :: v_dual_mul_f32 v68, v5, v19
	v_dual_mul_f32 v74, v4, v19 :: v_dual_add_f32 v66, v66, v70
	v_fmac_f32_e32 v73, v5, v16
	s_delay_alu instid0(VALU_DEP_3) | instskip(NEXT) | instid1(VALU_DEP_3)
	v_add_f32_e32 v64, v72, v64
	v_dual_fma_f32 v4, v4, v18, -v68 :: v_dual_fmac_f32 v74, v5, v18
	v_dual_mul_f32 v5, v1, v17 :: v_dual_mul_f32 v17, v0, v17
	v_mul_f32_e32 v68, v0, v19
	s_delay_alu instid0(VALU_DEP_3) | instskip(NEXT) | instid1(VALU_DEP_3)
	v_dual_add_f32 v4, v8, v4 :: v_dual_mul_f32 v8, v1, v19
	v_dual_add_f32 v62, v62, v74 :: v_dual_fma_f32 v5, v0, v16, -v5
	s_delay_alu instid0(VALU_DEP_3) | instskip(SKIP_1) | instid1(VALU_DEP_3)
	v_dual_fmac_f32 v17, v1, v16 :: v_dual_fmac_f32 v68, v1, v18
	s_wait_dscnt 0x0
	v_dual_fma_f32 v0, v0, v18, -v8 :: v_dual_mul_f32 v8, v7, v13
	s_delay_alu instid0(VALU_DEP_3) | instskip(NEXT) | instid1(VALU_DEP_3)
	v_add_f32_e32 v5, v10, v5
	v_add_f32_e32 v70, v9, v17
	;; [unrolled: 1-line block ×3, first 2 shown]
	s_delay_alu instid0(VALU_DEP_4)
	v_add_f32_e32 v0, v11, v0
	v_dual_fma_f32 v1, v6, v12, -v8 :: v_dual_mul_f32 v72, v6, v13
	ds_load_b128 v[8:11], v63 offset:128
	ds_load_2addr_b64 v[16:19], v69 offset1:16
	v_dual_mul_f32 v73, v7, v15 :: v_dual_add_f32 v66, v66, v68
	v_dual_mul_f32 v68, v6, v15 :: v_dual_fmac_f32 v72, v7, v12
	s_delay_alu instid0(VALU_DEP_2) | instskip(SKIP_1) | instid1(VALU_DEP_3)
	v_dual_add_f32 v1, v64, v1 :: v_dual_fma_f32 v6, v6, v14, -v73
	v_dual_mul_f32 v64, v3, v13 :: v_dual_mul_f32 v13, v2, v13
	v_add_f32_e32 v55, v55, v72
	ds_load_b128 v[72:75], v63 offset:4224
	v_dual_add_f32 v76, v4, v6 :: v_dual_fma_f32 v4, v2, v12, -v64
	v_mul_f32_e32 v6, v3, v15
	v_fmac_f32_e32 v68, v7, v14
	v_fmac_f32_e32 v13, v3, v12
	s_delay_alu instid0(VALU_DEP_3) | instskip(NEXT) | instid1(VALU_DEP_3)
	v_dual_add_f32 v64, v5, v4 :: v_dual_fma_f32 v12, v2, v14, -v6
	v_add_f32_e32 v62, v62, v68
	s_wait_dscnt 0x1
	v_dual_mul_f32 v2, v2, v15 :: v_dual_mul_f32 v15, v9, v17
	v_add_f32_e32 v68, v70, v13
	v_mul_f32_e32 v70, v8, v17
	s_delay_alu instid0(VALU_DEP_3) | instskip(NEXT) | instid1(VALU_DEP_4)
	v_dual_add_f32 v77, v0, v12 :: v_dual_fmac_f32 v2, v3, v14
	v_fma_f32 v0, v8, v16, -v15
	ds_load_2addr_b64 v[12:15], v69 offset0:32 offset1:48
	v_mul_f32_e32 v3, v9, v19
	ds_load_b128 v[4:7], v63 offset:144
	v_dual_fmac_f32 v70, v9, v16 :: v_dual_mul_f32 v79, v8, v19
	v_dual_add_f32 v66, v66, v2 :: v_dual_add_f32 v78, v1, v0
	v_fma_f32 v8, v8, v18, -v3
	s_wait_dscnt 0x2
	s_delay_alu instid0(VALU_DEP_3) | instskip(SKIP_1) | instid1(VALU_DEP_3)
	v_dual_add_f32 v55, v55, v70 :: v_dual_mul_f32 v70, v73, v17
	v_dual_fmac_f32 v79, v9, v18 :: v_dual_mul_f32 v9, v72, v17
	v_dual_add_f32 v8, v76, v8 :: v_dual_mul_f32 v17, v73, v19
	s_delay_alu instid0(VALU_DEP_2) | instskip(NEXT) | instid1(VALU_DEP_3)
	v_dual_fma_f32 v70, v72, v16, -v70 :: v_dual_add_f32 v62, v62, v79
	v_dual_fmac_f32 v9, v73, v16 :: v_dual_mul_f32 v76, v72, v19
	s_delay_alu instid0(VALU_DEP_3)
	v_fma_f32 v16, v72, v18, -v17
	ds_load_b128 v[0:3], v63 offset:4240
	s_wait_dscnt 0x2
	v_dual_mul_f32 v17, v11, v13 :: v_dual_add_f32 v64, v64, v70
	v_dual_add_f32 v9, v68, v9 :: v_dual_fmac_f32 v76, v73, v18
	v_dual_add_f32 v68, v77, v16 :: v_dual_mul_f32 v70, v10, v13
	s_delay_alu instid0(VALU_DEP_3) | instskip(SKIP_4) | instid1(VALU_DEP_3)
	v_fma_f32 v72, v10, v12, -v17
	ds_load_2addr_b64 v[16:19], v69 offset0:64 offset1:80
	v_dual_mul_f32 v73, v11, v15 :: v_dual_add_f32 v66, v66, v76
	v_dual_fmac_f32 v70, v11, v12 :: v_dual_mul_f32 v76, v10, v15
	v_add_f32_e32 v72, v78, v72
	v_dual_fma_f32 v10, v10, v14, -v73 :: v_dual_mul_f32 v73, v75, v13
	s_delay_alu instid0(VALU_DEP_3) | instskip(NEXT) | instid1(VALU_DEP_4)
	v_dual_mul_f32 v13, v74, v13 :: v_dual_add_f32 v55, v55, v70
	v_fmac_f32_e32 v76, v11, v14
	s_delay_alu instid0(VALU_DEP_3) | instskip(NEXT) | instid1(VALU_DEP_3)
	v_dual_add_f32 v8, v8, v10 :: v_dual_fma_f32 v10, v74, v12, -v73
	v_dual_fmac_f32 v13, v75, v12 :: v_dual_mul_f32 v11, v75, v15
	v_mul_f32_e32 v70, v74, v15
	s_delay_alu instid0(VALU_DEP_3) | instskip(NEXT) | instid1(VALU_DEP_3)
	v_dual_add_f32 v62, v62, v76 :: v_dual_add_f32 v10, v64, v10
	v_dual_add_f32 v9, v9, v13 :: v_dual_fma_f32 v11, v74, v14, -v11
	s_wait_dscnt 0x0
	s_delay_alu instid0(VALU_DEP_3)
	v_dual_mul_f32 v64, v5, v17 :: v_dual_fmac_f32 v70, v75, v14
	v_mul_f32_e32 v73, v4, v17
	ds_load_2addr_b64 v[12:15], v69 offset0:96 offset1:112
	v_add_f32_e32 v11, v68, v11
	v_dual_fma_f32 v64, v4, v16, -v64 :: v_dual_mul_f32 v68, v5, v19
	v_dual_mul_f32 v74, v4, v19 :: v_dual_add_f32 v66, v66, v70
	v_fmac_f32_e32 v73, v5, v16
	s_delay_alu instid0(VALU_DEP_3) | instskip(NEXT) | instid1(VALU_DEP_3)
	v_add_f32_e32 v64, v72, v64
	v_dual_fma_f32 v4, v4, v18, -v68 :: v_dual_fmac_f32 v74, v5, v18
	v_dual_mul_f32 v5, v1, v17 :: v_dual_mul_f32 v17, v0, v17
	v_mul_f32_e32 v68, v0, v19
	s_delay_alu instid0(VALU_DEP_3) | instskip(NEXT) | instid1(VALU_DEP_3)
	v_dual_add_f32 v4, v8, v4 :: v_dual_mul_f32 v8, v1, v19
	v_dual_add_f32 v62, v62, v74 :: v_dual_fma_f32 v5, v0, v16, -v5
	s_delay_alu instid0(VALU_DEP_3) | instskip(SKIP_1) | instid1(VALU_DEP_3)
	v_dual_fmac_f32 v17, v1, v16 :: v_dual_fmac_f32 v68, v1, v18
	s_wait_dscnt 0x0
	v_dual_fma_f32 v0, v0, v18, -v8 :: v_dual_mul_f32 v8, v7, v13
	s_delay_alu instid0(VALU_DEP_3) | instskip(NEXT) | instid1(VALU_DEP_3)
	v_add_f32_e32 v5, v10, v5
	v_add_f32_e32 v70, v9, v17
	v_add_f32_e32 v55, v55, v73
	s_delay_alu instid0(VALU_DEP_4)
	v_add_f32_e32 v0, v11, v0
	v_dual_fma_f32 v1, v6, v12, -v8 :: v_dual_mul_f32 v72, v6, v13
	ds_load_b128 v[8:11], v63 offset:160
	ds_load_2addr_b64 v[16:19], v69 offset0:128 offset1:144
	v_dual_mul_f32 v73, v7, v15 :: v_dual_add_f32 v66, v66, v68
	v_dual_mul_f32 v68, v6, v15 :: v_dual_fmac_f32 v72, v7, v12
	s_delay_alu instid0(VALU_DEP_2) | instskip(SKIP_1) | instid1(VALU_DEP_3)
	v_dual_add_f32 v1, v64, v1 :: v_dual_fma_f32 v6, v6, v14, -v73
	v_dual_mul_f32 v64, v3, v13 :: v_dual_mul_f32 v13, v2, v13
	v_add_f32_e32 v55, v55, v72
	ds_load_b128 v[72:75], v63 offset:4256
	v_dual_add_f32 v76, v4, v6 :: v_dual_fma_f32 v4, v2, v12, -v64
	v_mul_f32_e32 v6, v3, v15
	v_fmac_f32_e32 v68, v7, v14
	v_fmac_f32_e32 v13, v3, v12
	s_delay_alu instid0(VALU_DEP_3) | instskip(NEXT) | instid1(VALU_DEP_3)
	v_dual_add_f32 v64, v5, v4 :: v_dual_fma_f32 v12, v2, v14, -v6
	v_add_f32_e32 v62, v62, v68
	s_wait_dscnt 0x1
	v_dual_mul_f32 v2, v2, v15 :: v_dual_mul_f32 v15, v9, v17
	v_add_f32_e32 v68, v70, v13
	v_mul_f32_e32 v70, v8, v17
	s_delay_alu instid0(VALU_DEP_3) | instskip(NEXT) | instid1(VALU_DEP_4)
	v_dual_add_f32 v77, v0, v12 :: v_dual_fmac_f32 v2, v3, v14
	v_fma_f32 v0, v8, v16, -v15
	ds_load_2addr_b64 v[12:15], v69 offset0:160 offset1:176
	v_mul_f32_e32 v3, v9, v19
	ds_load_b128 v[4:7], v63 offset:176
	v_dual_fmac_f32 v70, v9, v16 :: v_dual_mul_f32 v79, v8, v19
	v_dual_add_f32 v66, v66, v2 :: v_dual_add_f32 v78, v1, v0
	v_fma_f32 v8, v8, v18, -v3
	s_wait_dscnt 0x2
	s_delay_alu instid0(VALU_DEP_3) | instskip(SKIP_1) | instid1(VALU_DEP_3)
	v_dual_add_f32 v55, v55, v70 :: v_dual_mul_f32 v70, v73, v17
	v_dual_fmac_f32 v79, v9, v18 :: v_dual_mul_f32 v9, v72, v17
	v_dual_add_f32 v8, v76, v8 :: v_dual_mul_f32 v17, v73, v19
	s_delay_alu instid0(VALU_DEP_2) | instskip(NEXT) | instid1(VALU_DEP_3)
	v_dual_fma_f32 v70, v72, v16, -v70 :: v_dual_add_f32 v62, v62, v79
	v_dual_fmac_f32 v9, v73, v16 :: v_dual_mul_f32 v76, v72, v19
	s_delay_alu instid0(VALU_DEP_3)
	v_fma_f32 v16, v72, v18, -v17
	ds_load_b128 v[0:3], v63 offset:4272
	s_wait_dscnt 0x2
	v_dual_mul_f32 v17, v11, v13 :: v_dual_add_f32 v64, v64, v70
	v_dual_add_f32 v9, v68, v9 :: v_dual_fmac_f32 v76, v73, v18
	v_dual_add_f32 v68, v77, v16 :: v_dual_mul_f32 v70, v10, v13
	s_delay_alu instid0(VALU_DEP_3) | instskip(SKIP_4) | instid1(VALU_DEP_3)
	v_fma_f32 v72, v10, v12, -v17
	ds_load_2addr_b64 v[16:19], v69 offset0:192 offset1:208
	v_dual_mul_f32 v73, v11, v15 :: v_dual_add_f32 v66, v66, v76
	v_dual_fmac_f32 v70, v11, v12 :: v_dual_mul_f32 v76, v10, v15
	v_add_f32_e32 v72, v78, v72
	v_dual_fma_f32 v10, v10, v14, -v73 :: v_dual_mul_f32 v73, v75, v13
	s_delay_alu instid0(VALU_DEP_3) | instskip(NEXT) | instid1(VALU_DEP_4)
	v_dual_mul_f32 v13, v74, v13 :: v_dual_add_f32 v55, v55, v70
	v_fmac_f32_e32 v76, v11, v14
	s_delay_alu instid0(VALU_DEP_3) | instskip(NEXT) | instid1(VALU_DEP_3)
	v_dual_add_f32 v8, v8, v10 :: v_dual_fma_f32 v10, v74, v12, -v73
	v_dual_fmac_f32 v13, v75, v12 :: v_dual_mul_f32 v11, v75, v15
	v_mul_f32_e32 v70, v74, v15
	s_delay_alu instid0(VALU_DEP_3) | instskip(NEXT) | instid1(VALU_DEP_3)
	v_dual_add_f32 v62, v62, v76 :: v_dual_add_f32 v10, v64, v10
	v_dual_add_f32 v9, v9, v13 :: v_dual_fma_f32 v11, v74, v14, -v11
	s_wait_dscnt 0x0
	s_delay_alu instid0(VALU_DEP_3)
	v_dual_mul_f32 v64, v5, v17 :: v_dual_fmac_f32 v70, v75, v14
	v_mul_f32_e32 v73, v4, v17
	ds_load_2addr_b64 v[12:15], v69 offset0:224 offset1:240
	v_add_f32_e32 v11, v68, v11
	v_dual_fma_f32 v64, v4, v16, -v64 :: v_dual_mul_f32 v68, v5, v19
	v_dual_mul_f32 v74, v4, v19 :: v_dual_add_f32 v66, v66, v70
	v_fmac_f32_e32 v73, v5, v16
	s_delay_alu instid0(VALU_DEP_3) | instskip(NEXT) | instid1(VALU_DEP_3)
	v_add_f32_e32 v64, v72, v64
	v_dual_fma_f32 v4, v4, v18, -v68 :: v_dual_fmac_f32 v74, v5, v18
	v_dual_mul_f32 v5, v1, v17 :: v_dual_mul_f32 v17, v0, v17
	v_mul_f32_e32 v68, v0, v19
	s_delay_alu instid0(VALU_DEP_3) | instskip(NEXT) | instid1(VALU_DEP_3)
	v_dual_add_f32 v4, v8, v4 :: v_dual_mul_f32 v8, v1, v19
	v_dual_add_f32 v62, v62, v74 :: v_dual_fma_f32 v5, v0, v16, -v5
	s_delay_alu instid0(VALU_DEP_3) | instskip(SKIP_1) | instid1(VALU_DEP_3)
	v_dual_fmac_f32 v17, v1, v16 :: v_dual_fmac_f32 v68, v1, v18
	s_wait_dscnt 0x0
	v_dual_fma_f32 v0, v0, v18, -v8 :: v_dual_mul_f32 v8, v7, v13
	s_delay_alu instid0(VALU_DEP_3) | instskip(NEXT) | instid1(VALU_DEP_3)
	v_add_f32_e32 v5, v10, v5
	v_add_f32_e32 v70, v9, v17
	v_add_f32_e32 v55, v55, v73
	s_delay_alu instid0(VALU_DEP_4)
	v_add_f32_e32 v0, v11, v0
	v_dual_fma_f32 v1, v6, v12, -v8 :: v_dual_mul_f32 v72, v6, v13
	ds_load_b128 v[8:11], v63 offset:192
	ds_load_2addr_b64 v[16:19], v71 offset1:16
	v_dual_mul_f32 v73, v7, v15 :: v_dual_add_f32 v66, v66, v68
	v_dual_mul_f32 v68, v6, v15 :: v_dual_fmac_f32 v72, v7, v12
	s_delay_alu instid0(VALU_DEP_2) | instskip(SKIP_1) | instid1(VALU_DEP_3)
	v_dual_add_f32 v1, v64, v1 :: v_dual_fma_f32 v6, v6, v14, -v73
	v_dual_mul_f32 v64, v3, v13 :: v_dual_mul_f32 v13, v2, v13
	v_add_f32_e32 v55, v55, v72
	ds_load_b128 v[72:75], v63 offset:4288
	v_dual_add_f32 v76, v4, v6 :: v_dual_fma_f32 v4, v2, v12, -v64
	v_mul_f32_e32 v6, v3, v15
	v_fmac_f32_e32 v68, v7, v14
	v_fmac_f32_e32 v13, v3, v12
	s_delay_alu instid0(VALU_DEP_3) | instskip(NEXT) | instid1(VALU_DEP_3)
	v_dual_add_f32 v64, v5, v4 :: v_dual_fma_f32 v12, v2, v14, -v6
	v_add_f32_e32 v62, v62, v68
	s_wait_dscnt 0x1
	v_dual_mul_f32 v2, v2, v15 :: v_dual_mul_f32 v15, v9, v17
	v_add_f32_e32 v68, v70, v13
	v_mul_f32_e32 v70, v8, v17
	s_delay_alu instid0(VALU_DEP_3) | instskip(NEXT) | instid1(VALU_DEP_4)
	v_dual_add_f32 v77, v0, v12 :: v_dual_fmac_f32 v2, v3, v14
	v_fma_f32 v0, v8, v16, -v15
	ds_load_2addr_b64 v[12:15], v71 offset0:32 offset1:48
	v_mul_f32_e32 v3, v9, v19
	ds_load_b128 v[4:7], v63 offset:208
	v_dual_fmac_f32 v70, v9, v16 :: v_dual_mul_f32 v79, v8, v19
	v_dual_add_f32 v66, v66, v2 :: v_dual_add_f32 v78, v1, v0
	v_fma_f32 v8, v8, v18, -v3
	s_wait_dscnt 0x2
	s_delay_alu instid0(VALU_DEP_3) | instskip(SKIP_1) | instid1(VALU_DEP_3)
	v_dual_add_f32 v55, v55, v70 :: v_dual_mul_f32 v70, v73, v17
	v_dual_fmac_f32 v79, v9, v18 :: v_dual_mul_f32 v9, v72, v17
	v_dual_add_f32 v8, v76, v8 :: v_dual_mul_f32 v17, v73, v19
	s_delay_alu instid0(VALU_DEP_2) | instskip(NEXT) | instid1(VALU_DEP_3)
	v_dual_fma_f32 v70, v72, v16, -v70 :: v_dual_add_f32 v62, v62, v79
	v_dual_fmac_f32 v9, v73, v16 :: v_dual_mul_f32 v76, v72, v19
	s_delay_alu instid0(VALU_DEP_3)
	v_fma_f32 v16, v72, v18, -v17
	ds_load_b128 v[0:3], v63 offset:4304
	s_wait_dscnt 0x2
	v_dual_mul_f32 v17, v11, v13 :: v_dual_add_f32 v64, v64, v70
	v_dual_add_f32 v9, v68, v9 :: v_dual_fmac_f32 v76, v73, v18
	v_dual_add_f32 v68, v77, v16 :: v_dual_mul_f32 v70, v10, v13
	s_delay_alu instid0(VALU_DEP_3) | instskip(SKIP_4) | instid1(VALU_DEP_3)
	v_fma_f32 v72, v10, v12, -v17
	ds_load_2addr_b64 v[16:19], v71 offset0:64 offset1:80
	v_dual_mul_f32 v73, v11, v15 :: v_dual_add_f32 v66, v66, v76
	v_dual_fmac_f32 v70, v11, v12 :: v_dual_mul_f32 v76, v10, v15
	v_add_f32_e32 v72, v78, v72
	v_dual_fma_f32 v10, v10, v14, -v73 :: v_dual_mul_f32 v73, v75, v13
	s_delay_alu instid0(VALU_DEP_3) | instskip(NEXT) | instid1(VALU_DEP_4)
	v_dual_mul_f32 v13, v74, v13 :: v_dual_add_f32 v55, v55, v70
	v_fmac_f32_e32 v76, v11, v14
	s_delay_alu instid0(VALU_DEP_3) | instskip(NEXT) | instid1(VALU_DEP_3)
	v_dual_add_f32 v8, v8, v10 :: v_dual_fma_f32 v10, v74, v12, -v73
	v_dual_fmac_f32 v13, v75, v12 :: v_dual_mul_f32 v11, v75, v15
	v_mul_f32_e32 v70, v74, v15
	s_delay_alu instid0(VALU_DEP_3) | instskip(NEXT) | instid1(VALU_DEP_3)
	v_dual_add_f32 v62, v62, v76 :: v_dual_add_f32 v10, v64, v10
	v_dual_add_f32 v9, v9, v13 :: v_dual_fma_f32 v11, v74, v14, -v11
	s_wait_dscnt 0x0
	s_delay_alu instid0(VALU_DEP_3)
	v_dual_mul_f32 v64, v5, v17 :: v_dual_fmac_f32 v70, v75, v14
	v_mul_f32_e32 v73, v4, v17
	ds_load_2addr_b64 v[12:15], v71 offset0:96 offset1:112
	v_add_f32_e32 v11, v68, v11
	v_dual_fma_f32 v64, v4, v16, -v64 :: v_dual_mul_f32 v68, v5, v19
	v_dual_mul_f32 v74, v4, v19 :: v_dual_add_f32 v66, v66, v70
	v_fmac_f32_e32 v73, v5, v16
	s_delay_alu instid0(VALU_DEP_3) | instskip(NEXT) | instid1(VALU_DEP_3)
	v_add_f32_e32 v64, v72, v64
	v_dual_fma_f32 v4, v4, v18, -v68 :: v_dual_fmac_f32 v74, v5, v18
	v_dual_mul_f32 v5, v1, v17 :: v_dual_mul_f32 v17, v0, v17
	v_mul_f32_e32 v68, v0, v19
	s_delay_alu instid0(VALU_DEP_3) | instskip(NEXT) | instid1(VALU_DEP_3)
	v_dual_add_f32 v4, v8, v4 :: v_dual_mul_f32 v8, v1, v19
	v_dual_add_f32 v62, v62, v74 :: v_dual_fma_f32 v5, v0, v16, -v5
	s_delay_alu instid0(VALU_DEP_3) | instskip(SKIP_1) | instid1(VALU_DEP_3)
	v_dual_fmac_f32 v17, v1, v16 :: v_dual_fmac_f32 v68, v1, v18
	s_wait_dscnt 0x0
	v_dual_fma_f32 v0, v0, v18, -v8 :: v_dual_mul_f32 v8, v7, v13
	s_delay_alu instid0(VALU_DEP_3) | instskip(NEXT) | instid1(VALU_DEP_3)
	v_add_f32_e32 v5, v10, v5
	v_add_f32_e32 v70, v9, v17
	;; [unrolled: 1-line block ×3, first 2 shown]
	s_delay_alu instid0(VALU_DEP_4)
	v_add_f32_e32 v0, v11, v0
	v_dual_fma_f32 v1, v6, v12, -v8 :: v_dual_mul_f32 v72, v6, v13
	ds_load_b128 v[8:11], v63 offset:224
	ds_load_2addr_b64 v[16:19], v71 offset0:128 offset1:144
	v_dual_mul_f32 v73, v7, v15 :: v_dual_add_f32 v66, v66, v68
	v_dual_mul_f32 v68, v6, v15 :: v_dual_fmac_f32 v72, v7, v12
	s_delay_alu instid0(VALU_DEP_2) | instskip(SKIP_1) | instid1(VALU_DEP_3)
	v_dual_add_f32 v64, v64, v1 :: v_dual_fma_f32 v6, v6, v14, -v73
	v_mul_f32_e32 v1, v3, v13
	v_dual_fmac_f32 v68, v7, v14 :: v_dual_mul_f32 v13, v2, v13
	s_delay_alu instid0(VALU_DEP_2)
	v_dual_add_f32 v76, v4, v6 :: v_dual_fma_f32 v1, v2, v12, -v1
	v_mul_f32_e32 v4, v3, v15
	v_add_f32_e32 v55, v55, v72
	ds_load_b128 v[72:75], v63 offset:4320
	v_add_f32_e32 v62, v62, v68
	v_dual_fmac_f32 v13, v3, v12 :: v_dual_mul_f32 v12, v2, v15
	v_dual_add_f32 v68, v5, v1 :: v_dual_fma_f32 v1, v2, v14, -v4
	s_wait_dscnt 0x1
	v_dual_mul_f32 v78, v8, v17 :: v_dual_mul_f32 v2, v9, v17
	s_delay_alu instid0(VALU_DEP_3) | instskip(NEXT) | instid1(VALU_DEP_3)
	v_dual_add_f32 v70, v70, v13 :: v_dual_fmac_f32 v12, v3, v14
	v_dual_add_f32 v77, v0, v1 :: v_dual_mul_f32 v14, v9, v19
	s_delay_alu instid0(VALU_DEP_3)
	v_dual_fma_f32 v13, v8, v16, -v2 :: v_dual_mul_f32 v79, v8, v19
	ds_load_2addr_b64 v[0:3], v71 offset0:160 offset1:176
	ds_load_b128 v[4:7], v63 offset:240
	v_fmac_f32_e32 v78, v9, v16
	v_dual_fma_f32 v8, v8, v18, -v14 :: v_dual_fmac_f32 v79, v9, v18
	v_dual_add_f32 v66, v66, v12 :: v_dual_add_f32 v64, v64, v13
	s_wait_dscnt 0x2
	s_delay_alu instid0(VALU_DEP_3) | instskip(SKIP_2) | instid1(VALU_DEP_3)
	v_dual_mul_f32 v80, v73, v17 :: v_dual_add_f32 v55, v55, v78
	v_mul_f32_e32 v9, v72, v17
	v_dual_add_f32 v8, v76, v8 :: v_dual_mul_f32 v76, v73, v19
	v_dual_fma_f32 v17, v72, v16, -v80 :: v_dual_add_f32 v62, v62, v79
	s_delay_alu instid0(VALU_DEP_3) | instskip(NEXT) | instid1(VALU_DEP_3)
	v_dual_fmac_f32 v9, v73, v16 :: v_dual_mul_f32 v78, v72, v19
	v_fma_f32 v16, v72, v18, -v76
	s_delay_alu instid0(VALU_DEP_3)
	v_add_f32_e32 v68, v68, v17
	ds_load_b128 v[12:15], v63 offset:4336
	s_wait_dscnt 0x2
	v_mul_f32_e32 v17, v11, v1
	v_dual_add_f32 v9, v70, v9 :: v_dual_add_f32 v72, v77, v16
	v_dual_fmac_f32 v78, v73, v18 :: v_dual_mul_f32 v70, v10, v1
	s_delay_alu instid0(VALU_DEP_3) | instskip(SKIP_3) | instid1(VALU_DEP_2)
	v_fma_f32 v73, v10, v0, -v17
	ds_load_2addr_b64 v[16:19], v71 offset0:192 offset1:208
	v_dual_mul_f32 v76, v11, v3 :: v_dual_add_f32 v66, v66, v78
	v_dual_fmac_f32 v70, v11, v0 :: v_dual_add_f32 v64, v64, v73
	v_dual_mul_f32 v73, v10, v3 :: v_dual_fma_f32 v10, v10, v2, -v76
	s_delay_alu instid0(VALU_DEP_2) | instskip(SKIP_1) | instid1(VALU_DEP_3)
	v_add_f32_e32 v55, v55, v70
	v_dual_mul_f32 v70, v75, v1 :: v_dual_mul_f32 v1, v74, v1
	v_dual_add_f32 v8, v8, v10 :: v_dual_mul_f32 v10, v75, v3
	s_delay_alu instid0(VALU_DEP_2) | instskip(NEXT) | instid1(VALU_DEP_3)
	v_dual_fmac_f32 v73, v11, v2 :: v_dual_fma_f32 v11, v74, v0, -v70
	v_dual_fmac_f32 v1, v75, v0 :: v_dual_mul_f32 v70, v74, v3
	s_delay_alu instid0(VALU_DEP_3) | instskip(NEXT) | instid1(VALU_DEP_3)
	v_fma_f32 v0, v74, v2, -v10
	v_dual_add_f32 v62, v62, v73 :: v_dual_add_f32 v10, v68, v11
	s_delay_alu instid0(VALU_DEP_3) | instskip(SKIP_1) | instid1(VALU_DEP_3)
	v_dual_add_f32 v9, v9, v1 :: v_dual_fmac_f32 v70, v75, v2
	s_wait_dscnt 0x0
	v_dual_mul_f32 v11, v5, v17 :: v_dual_add_f32 v68, v72, v0
	ds_load_2addr_b64 v[0:3], v71 offset0:224 offset1:240
	v_dual_mul_f32 v72, v4, v17 :: v_dual_add_f32 v66, v66, v70
	v_dual_mul_f32 v70, v5, v19 :: v_dual_fma_f32 v11, v4, v16, -v11
	s_delay_alu instid0(VALU_DEP_2) | instskip(SKIP_1) | instid1(VALU_DEP_2)
	v_dual_mul_f32 v73, v4, v19 :: v_dual_fmac_f32 v72, v5, v16
	s_wait_dscnt 0x0
	v_fma_f32 v4, v4, v18, -v70
	s_delay_alu instid0(VALU_DEP_3) | instskip(NEXT) | instid1(VALU_DEP_3)
	v_dual_add_f32 v11, v64, v11 :: v_dual_mul_f32 v64, v13, v17
	v_dual_add_f32 v55, v55, v72 :: v_dual_fmac_f32 v73, v5, v18
	v_mul_f32_e32 v5, v12, v17
	s_delay_alu instid0(VALU_DEP_4) | instskip(NEXT) | instid1(VALU_DEP_4)
	v_add_f32_e32 v4, v8, v4
	v_dual_fma_f32 v17, v12, v16, -v64 :: v_dual_mul_f32 v8, v13, v19
	s_delay_alu instid0(VALU_DEP_3) | instskip(NEXT) | instid1(VALU_DEP_2)
	v_dual_add_f32 v62, v62, v73 :: v_dual_fmac_f32 v5, v13, v16
	v_dual_mul_f32 v16, v12, v19 :: v_dual_add_f32 v10, v10, v17
	s_delay_alu instid0(VALU_DEP_3) | instskip(SKIP_1) | instid1(VALU_DEP_4)
	v_dual_fma_f32 v8, v12, v18, -v8 :: v_dual_mul_f32 v12, v7, v1
	v_mul_f32_e32 v17, v6, v1
	v_add_f32_e32 v5, v9, v5
	s_delay_alu instid0(VALU_DEP_3) | instskip(NEXT) | instid1(VALU_DEP_4)
	v_dual_fmac_f32 v16, v13, v18 :: v_dual_add_f32 v8, v68, v8
	v_dual_fma_f32 v9, v6, v0, -v12 :: v_dual_mul_f32 v12, v7, v3
	s_delay_alu instid0(VALU_DEP_4) | instskip(NEXT) | instid1(VALU_DEP_2)
	v_dual_mul_f32 v13, v6, v3 :: v_dual_fmac_f32 v17, v7, v0
	v_dual_add_f32 v16, v66, v16 :: v_dual_add_f32 v68, v11, v9
	s_delay_alu instid0(VALU_DEP_2) | instskip(SKIP_2) | instid1(VALU_DEP_2)
	v_dual_fma_f32 v6, v6, v2, -v12 :: v_dual_fmac_f32 v13, v7, v2
	v_dual_mul_f32 v7, v15, v1 :: v_dual_mul_f32 v1, v14, v1
	v_dual_mul_f32 v9, v15, v3 :: v_dual_mul_f32 v3, v14, v3
	v_dual_add_f32 v66, v4, v6 :: v_dual_fma_f32 v4, v14, v0, -v7
	s_delay_alu instid0(VALU_DEP_3) | instskip(SKIP_1) | instid1(VALU_DEP_4)
	v_fmac_f32_e32 v1, v15, v0
	v_add_f32_e32 v72, v55, v17
	v_dual_fmac_f32 v3, v15, v2 :: v_dual_fma_f32 v0, v14, v2, -v9
	s_barrier_signal -1
	s_delay_alu instid0(VALU_DEP_3) | instskip(SKIP_1) | instid1(VALU_DEP_3)
	v_add_f32_e32 v64, v5, v1
	v_add_f32_e32 v70, v62, v13
	v_dual_add_f32 v62, v10, v4 :: v_dual_add_f32 v16, v16, v3
	v_add_f32_e32 v18, v8, v0
	s_barrier_wait -1
	s_cbranch_scc1 .LBB78_55
.LBB78_11:                              ;   Parent Loop BB78_4 Depth=1
                                        ;     Parent Loop BB78_8 Depth=2
                                        ; =>    This Inner Loop Header: Depth=3
	v_add_nc_u64_e32 v[2:3], s[46:47], v[24:25]
	v_cmp_eq_u64_e64 s7, s[46:47], v[38:39]
	v_add_nc_u64_e32 v[0:1], s[38:39], v[50:51]
	s_delay_alu instid0(VALU_DEP_3) | instskip(SKIP_3) | instid1(SALU_CYCLE_1)
	v_cmp_le_i64_e64 s6, s[42:43], v[2:3]
	v_cmp_gt_i64_e64 s5, v[2:3], v[22:23]
	s_and_b32 s56, s52, s7
	s_or_b32 s7, s6, s5
	s_or_b32 s7, s7, s56
	s_delay_alu instid0(SALU_CYCLE_1) | instskip(NEXT) | instid1(SALU_CYCLE_1)
	s_nor_b32 s7, s0, s7
	s_and_saveexec_b32 s8, s7
	s_delay_alu instid0(SALU_CYCLE_1)
	s_xor_b32 s7, exec_lo, s8
	s_cbranch_execz .LBB78_13
; %bb.12:                               ;   in Loop: Header=BB78_11 Depth=3
	global_load_b64 v[4:5], v[0:1], off
	s_wait_loadcnt 0x0
	ds_store_b64 v65, v[4:5]
.LBB78_13:                              ;   in Loop: Header=BB78_11 Depth=3
	s_wait_xcnt 0x0
	s_or_saveexec_b32 s7, s7
	s_xor_b32 s55, s56, -1
	s_xor_b32 exec_lo, exec_lo, s7
	s_cbranch_execz .LBB78_19
; %bb.14:                               ;   in Loop: Header=BB78_11 Depth=3
	s_and_saveexec_b32 s8, s55
	s_delay_alu instid0(SALU_CYCLE_1)
	s_xor_b32 s8, exec_lo, s8
; %bb.15:                               ;   in Loop: Header=BB78_11 Depth=3
	ds_store_b64 v65, v[26:27]
; %bb.16:                               ;   in Loop: Header=BB78_11 Depth=3
	s_and_not1_saveexec_b32 s8, s8
; %bb.17:                               ;   in Loop: Header=BB78_11 Depth=3
	ds_store_b64 v65, v[28:29]
; %bb.18:                               ;   in Loop: Header=BB78_11 Depth=3
	s_or_b32 exec_lo, exec_lo, s8
.LBB78_19:                              ;   in Loop: Header=BB78_11 Depth=3
	s_delay_alu instid0(SALU_CYCLE_1) | instskip(SKIP_2) | instid1(VALU_DEP_2)
	s_or_b32 exec_lo, exec_lo, s7
	v_add_nc_u64_e32 v[4:5], 16, v[38:39]
	v_cmp_lt_i64_e64 s8, v[34:35], v[2:3]
	v_cmp_eq_u64_e64 s7, s[46:47], v[4:5]
	v_add_nc_u64_e32 v[4:5], s[38:39], v[48:49]
	s_or_b32 s6, s6, s8
	s_and_b32 s7, s52, s7
	s_delay_alu instid0(SALU_CYCLE_1) | instskip(NEXT) | instid1(SALU_CYCLE_1)
	s_or_b32 s6, s6, s7
	s_nor_b32 s6, s3, s6
	s_delay_alu instid0(SALU_CYCLE_1) | instskip(NEXT) | instid1(SALU_CYCLE_1)
	s_and_saveexec_b32 s8, s6
	s_xor_b32 s6, exec_lo, s8
	s_cbranch_execz .LBB78_21
; %bb.20:                               ;   in Loop: Header=BB78_11 Depth=3
	global_load_b64 v[6:7], v[4:5], off
	s_wait_loadcnt 0x0
	ds_store_b64 v65, v[6:7] offset:128
.LBB78_21:                              ;   in Loop: Header=BB78_11 Depth=3
	s_wait_xcnt 0x0
	s_and_not1_saveexec_b32 s6, s6
	s_cbranch_execz .LBB78_27
; %bb.22:                               ;   in Loop: Header=BB78_11 Depth=3
	s_xor_b32 s7, s7, -1
	s_delay_alu instid0(SALU_CYCLE_1) | instskip(NEXT) | instid1(SALU_CYCLE_1)
	s_and_saveexec_b32 s8, s7
	s_xor_b32 s7, exec_lo, s8
; %bb.23:                               ;   in Loop: Header=BB78_11 Depth=3
	ds_store_b64 v65, v[26:27] offset:128
; %bb.24:                               ;   in Loop: Header=BB78_11 Depth=3
	s_and_not1_saveexec_b32 s7, s7
; %bb.25:                               ;   in Loop: Header=BB78_11 Depth=3
	ds_store_b64 v65, v[28:29] offset:128
; %bb.26:                               ;   in Loop: Header=BB78_11 Depth=3
	s_or_b32 exec_lo, exec_lo, s7
.LBB78_27:                              ;   in Loop: Header=BB78_11 Depth=3
	s_delay_alu instid0(SALU_CYCLE_1) | instskip(SKIP_2) | instid1(VALU_DEP_2)
	s_or_b32 exec_lo, exec_lo, s6
	v_add_nc_u64_e32 v[6:7], -16, v[38:39]
	v_add_nc_u64_e32 v[2:3], 16, v[2:3]
	v_cmp_eq_u64_e64 s7, s[46:47], v[6:7]
	s_delay_alu instid0(VALU_DEP_2) | instskip(SKIP_3) | instid1(SALU_CYCLE_1)
	v_cmp_le_i64_e64 s6, s[42:43], v[2:3]
	v_cmp_gt_i64_e64 s8, v[2:3], v[22:23]
	s_and_b32 s57, s52, s7
	s_or_b32 s7, s6, s8
	s_or_b32 s7, s7, s57
	s_delay_alu instid0(SALU_CYCLE_1) | instskip(NEXT) | instid1(SALU_CYCLE_1)
	s_nor_b32 s7, s0, s7
	s_and_saveexec_b32 s8, s7
	s_delay_alu instid0(SALU_CYCLE_1)
	s_xor_b32 s7, exec_lo, s8
	s_cbranch_execz .LBB78_29
; %bb.28:                               ;   in Loop: Header=BB78_11 Depth=3
	global_load_b64 v[0:1], v[0:1], off offset:128
	s_wait_loadcnt 0x0
	ds_store_b64 v65, v[0:1] offset:4096
.LBB78_29:                              ;   in Loop: Header=BB78_11 Depth=3
	s_wait_xcnt 0x0
	s_and_not1_saveexec_b32 s7, s7
	s_cbranch_execz .LBB78_35
; %bb.30:                               ;   in Loop: Header=BB78_11 Depth=3
	s_xor_b32 s8, s57, -1
	s_delay_alu instid0(SALU_CYCLE_1) | instskip(NEXT) | instid1(SALU_CYCLE_1)
	s_and_saveexec_b32 s57, s8
	s_xor_b32 s8, exec_lo, s57
; %bb.31:                               ;   in Loop: Header=BB78_11 Depth=3
	ds_store_b64 v65, v[26:27] offset:4096
; %bb.32:                               ;   in Loop: Header=BB78_11 Depth=3
	s_and_not1_saveexec_b32 s8, s8
; %bb.33:                               ;   in Loop: Header=BB78_11 Depth=3
	ds_store_b64 v65, v[28:29] offset:4096
; %bb.34:                               ;   in Loop: Header=BB78_11 Depth=3
	s_or_b32 exec_lo, exec_lo, s8
.LBB78_35:                              ;   in Loop: Header=BB78_11 Depth=3
	s_delay_alu instid0(SALU_CYCLE_1) | instskip(SKIP_1) | instid1(SALU_CYCLE_1)
	s_or_b32 exec_lo, exec_lo, s7
	s_or_b32 s5, s6, s5
	s_or_b32 s5, s5, s56
	s_delay_alu instid0(SALU_CYCLE_1) | instskip(NEXT) | instid1(SALU_CYCLE_1)
	s_nor_b32 s5, s3, s5
	s_and_saveexec_b32 s6, s5
	s_delay_alu instid0(SALU_CYCLE_1)
	s_xor_b32 s5, exec_lo, s6
	s_cbranch_execz .LBB78_37
; %bb.36:                               ;   in Loop: Header=BB78_11 Depth=3
	global_load_b64 v[0:1], v[4:5], off offset:128
	s_wait_loadcnt 0x0
	ds_store_b64 v65, v[0:1] offset:4224
.LBB78_37:                              ;   in Loop: Header=BB78_11 Depth=3
	s_wait_xcnt 0x0
	s_and_not1_saveexec_b32 s5, s5
	s_cbranch_execz .LBB78_43
; %bb.38:                               ;   in Loop: Header=BB78_11 Depth=3
	s_and_saveexec_b32 s6, s55
	s_delay_alu instid0(SALU_CYCLE_1)
	s_xor_b32 s6, exec_lo, s6
; %bb.39:                               ;   in Loop: Header=BB78_11 Depth=3
	ds_store_b64 v65, v[26:27] offset:4224
; %bb.40:                               ;   in Loop: Header=BB78_11 Depth=3
	s_and_not1_saveexec_b32 s6, s6
; %bb.41:                               ;   in Loop: Header=BB78_11 Depth=3
	ds_store_b64 v65, v[28:29] offset:4224
; %bb.42:                               ;   in Loop: Header=BB78_11 Depth=3
	s_or_b32 exec_lo, exec_lo, s6
.LBB78_43:                              ;   in Loop: Header=BB78_11 Depth=3
	s_delay_alu instid0(SALU_CYCLE_1) | instskip(SKIP_3) | instid1(VALU_DEP_3)
	s_or_b32 exec_lo, exec_lo, s5
	v_add_nc_u64_e32 v[2:3], s[46:47], v[20:21]
	v_add_nc_u64_e32 v[0:1], s[38:39], v[58:59]
	v_dual_mov_b32 v4, 0 :: v_dual_mov_b32 v5, 0
	v_cmp_gt_i64_e64 s5, s[42:43], v[2:3]
	s_and_b32 s7, vcc_lo, s5
	s_delay_alu instid0(SALU_CYCLE_1)
	s_and_saveexec_b32 s6, s7
	s_cbranch_execz .LBB78_45
; %bb.44:                               ;   in Loop: Header=BB78_11 Depth=3
	global_load_b64 v[4:5], v[0:1], off
.LBB78_45:                              ;   in Loop: Header=BB78_11 Depth=3
	s_wait_xcnt 0x0
	s_or_b32 exec_lo, exec_lo, s6
	v_cmp_gt_i64_e64 s6, s[20:21], v[2:3]
	s_wait_loadcnt 0x0
	ds_store_b64 v67, v[4:5]
	s_and_b32 s7, vcc_lo, s6
	s_delay_alu instid0(SALU_CYCLE_1) | instskip(NEXT) | instid1(SALU_CYCLE_1)
	s_xor_b32 s7, s7, -1
	s_and_saveexec_b32 s8, s7
	s_delay_alu instid0(SALU_CYCLE_1)
	s_xor_b32 s7, exec_lo, s8
; %bb.46:                               ;   in Loop: Header=BB78_11 Depth=3
	ds_store_b64 v67, v[26:27] offset:128
                                        ; implicit-def: $vgpr0_vgpr1
; %bb.47:                               ;   in Loop: Header=BB78_11 Depth=3
	s_and_not1_saveexec_b32 s7, s7
	s_cbranch_execz .LBB78_49
; %bb.48:                               ;   in Loop: Header=BB78_11 Depth=3
	global_load_b64 v[0:1], v[0:1], off offset:128
	s_wait_loadcnt 0x0
	ds_store_b64 v67, v[0:1] offset:128
.LBB78_49:                              ;   in Loop: Header=BB78_11 Depth=3
	s_wait_xcnt 0x0
	s_or_b32 exec_lo, exec_lo, s7
	v_add_nc_u64_e32 v[0:1], s[38:39], v[60:61]
	v_dual_mov_b32 v2, 0 :: v_dual_mov_b32 v3, 0
	s_and_b32 s7, s4, s5
	s_delay_alu instid0(SALU_CYCLE_1)
	s_and_saveexec_b32 s5, s7
	s_cbranch_execz .LBB78_51
; %bb.50:                               ;   in Loop: Header=BB78_11 Depth=3
	global_load_b64 v[2:3], v[0:1], off
.LBB78_51:                              ;   in Loop: Header=BB78_11 Depth=3
	s_wait_xcnt 0x0
	s_or_b32 exec_lo, exec_lo, s5
	s_and_b32 s5, s4, s6
	s_wait_loadcnt 0x0
	ds_store_b64 v67, v[2:3] offset:4096
	s_xor_b32 s5, s5, -1
	s_delay_alu instid0(SALU_CYCLE_1) | instskip(NEXT) | instid1(SALU_CYCLE_1)
	s_and_saveexec_b32 s6, s5
	s_xor_b32 s5, exec_lo, s6
; %bb.52:                               ;   in Loop: Header=BB78_11 Depth=3
	ds_store_b64 v67, v[26:27] offset:4224
                                        ; implicit-def: $vgpr0_vgpr1
; %bb.53:                               ;   in Loop: Header=BB78_11 Depth=3
	s_and_not1_saveexec_b32 s5, s5
	s_cbranch_execz .LBB78_10
; %bb.54:                               ;   in Loop: Header=BB78_11 Depth=3
	global_load_b64 v[0:1], v[0:1], off offset:128
	s_wait_loadcnt 0x0
	ds_store_b64 v67, v[0:1] offset:4224
	s_branch .LBB78_10
.LBB78_55:                              ;   in Loop: Header=BB78_8 Depth=2
	v_mul_u64_e32 v[0:1], s[28:29], v[56:57]
	v_cmp_gt_i32_e32 vcc_lo, s10, v56
	s_and_b32 s5, s1, vcc_lo
	s_delay_alu instid0(VALU_DEP_2)
	v_lshl_add_u64 v[0:1], v[0:1], 3, s[26:27]
	s_and_saveexec_b32 s4, s5
	s_cbranch_execz .LBB78_57
; %bb.56:                               ;   in Loop: Header=BB78_8 Depth=2
	s_delay_alu instid0(VALU_DEP_1) | instskip(SKIP_4) | instid1(VALU_DEP_2)
	v_lshl_add_u64 v[2:3], v[22:23], 3, v[0:1]
	v_pk_mul_f32 v[6:7], v[72:73], v[52:53] op_sel_hi:[0,1]
	global_load_b64 v[4:5], v[2:3], off
	v_pk_fma_f32 v[8:9], v[68:69], v[44:45], v[6:7] op_sel_hi:[0,1,1]
	v_pk_fma_f32 v[6:7], v[68:69], v[44:45], v[6:7] neg_lo:[0,0,1] neg_hi:[0,0,1]
	v_mov_b32_e32 v7, v9
	s_wait_loadcnt 0x0
	s_delay_alu instid0(VALU_DEP_1)
	v_pk_add_f32 v[4:5], v[4:5], v[6:7]
	global_store_b64 v[2:3], v[4:5], off
.LBB78_57:                              ;   in Loop: Header=BB78_8 Depth=2
	s_wait_xcnt 0x0
	s_or_b32 exec_lo, exec_lo, s4
	s_and_b32 s5, s2, vcc_lo
	s_delay_alu instid0(SALU_CYCLE_1)
	s_and_saveexec_b32 s4, s5
	s_cbranch_execz .LBB78_59
; %bb.58:                               ;   in Loop: Header=BB78_8 Depth=2
	v_lshl_add_u64 v[0:1], v[32:33], 3, v[0:1]
	v_pk_mul_f32 v[4:5], v[70:71], v[52:53] op_sel_hi:[0,1]
	global_load_b64 v[2:3], v[0:1], off
	v_pk_fma_f32 v[6:7], v[66:67], v[44:45], v[4:5] op_sel_hi:[0,1,1]
	v_pk_fma_f32 v[4:5], v[66:67], v[44:45], v[4:5] neg_lo:[0,0,1] neg_hi:[0,0,1]
	s_delay_alu instid0(VALU_DEP_2) | instskip(SKIP_1) | instid1(VALU_DEP_1)
	v_mov_b32_e32 v5, v7
	s_wait_loadcnt 0x0
	v_pk_add_f32 v[2:3], v[2:3], v[4:5]
	global_store_b64 v[0:1], v[2:3], off
.LBB78_59:                              ;   in Loop: Header=BB78_8 Depth=2
	s_wait_xcnt 0x0
	s_or_b32 exec_lo, exec_lo, s4
	v_add_nc_u32_e32 v0, 16, v56
	s_delay_alu instid0(VALU_DEP_1) | instskip(SKIP_1) | instid1(VALU_DEP_2)
	v_ashrrev_i32_e32 v1, 31, v0
	v_cmp_gt_i32_e32 vcc_lo, s10, v0
	v_mul_u64_e32 v[2:3], s[28:29], v[0:1]
	s_and_b32 s5, s1, vcc_lo
	s_delay_alu instid0(VALU_DEP_1)
	v_lshl_add_u64 v[0:1], v[2:3], 3, s[26:27]
	s_and_saveexec_b32 s4, s5
	s_cbranch_execz .LBB78_61
; %bb.60:                               ;   in Loop: Header=BB78_8 Depth=2
	s_delay_alu instid0(VALU_DEP_1) | instskip(SKIP_4) | instid1(VALU_DEP_2)
	v_lshl_add_u64 v[2:3], v[22:23], 3, v[0:1]
	v_pk_mul_f32 v[6:7], v[64:65], v[52:53] op_sel_hi:[0,1]
	global_load_b64 v[4:5], v[2:3], off
	v_pk_fma_f32 v[8:9], v[62:63], v[44:45], v[6:7] op_sel_hi:[0,1,1]
	v_pk_fma_f32 v[6:7], v[62:63], v[44:45], v[6:7] neg_lo:[0,0,1] neg_hi:[0,0,1]
	v_mov_b32_e32 v7, v9
	s_wait_loadcnt 0x0
	s_delay_alu instid0(VALU_DEP_1)
	v_pk_add_f32 v[4:5], v[4:5], v[6:7]
	global_store_b64 v[2:3], v[4:5], off
.LBB78_61:                              ;   in Loop: Header=BB78_8 Depth=2
	s_wait_xcnt 0x0
	s_or_b32 exec_lo, exec_lo, s4
	s_and_b32 s5, s2, vcc_lo
	s_delay_alu instid0(SALU_CYCLE_1)
	s_and_saveexec_b32 s4, s5
	s_cbranch_execz .LBB78_7
; %bb.62:                               ;   in Loop: Header=BB78_8 Depth=2
	v_lshl_add_u64 v[0:1], v[32:33], 3, v[0:1]
	v_pk_mul_f32 v[4:5], v[16:17], v[52:53] op_sel_hi:[0,1]
	global_load_b64 v[2:3], v[0:1], off
	v_pk_fma_f32 v[6:7], v[18:19], v[44:45], v[4:5] op_sel_hi:[0,1,1]
	v_pk_fma_f32 v[4:5], v[18:19], v[44:45], v[4:5] neg_lo:[0,0,1] neg_hi:[0,0,1]
	s_delay_alu instid0(VALU_DEP_2) | instskip(SKIP_1) | instid1(VALU_DEP_1)
	v_mov_b32_e32 v5, v7
	s_wait_loadcnt 0x0
	v_pk_add_f32 v[2:3], v[2:3], v[4:5]
	global_store_b64 v[0:1], v[2:3], off
	s_branch .LBB78_7
.LBB78_63:
	s_sendmsg sendmsg(MSG_DEALLOC_VGPRS)
	s_endpgm
	.section	.rodata,"a",@progbits
	.p2align	6, 0x0
	.amdhsa_kernel _ZL30rocblas_trmm_outofplace_kernelI19rocblas_complex_numIfELi32ELi2ELb1ELb1ELb1ELb0EPKS1_S2_S1_Ev17rocblas_diagonal_iiT6_lPT7_lllS7_lllPT8_llli
		.amdhsa_group_segment_fixed_size 16384
		.amdhsa_private_segment_fixed_size 0
		.amdhsa_kernarg_size 392
		.amdhsa_user_sgpr_count 2
		.amdhsa_user_sgpr_dispatch_ptr 0
		.amdhsa_user_sgpr_queue_ptr 0
		.amdhsa_user_sgpr_kernarg_segment_ptr 1
		.amdhsa_user_sgpr_dispatch_id 0
		.amdhsa_user_sgpr_kernarg_preload_length 0
		.amdhsa_user_sgpr_kernarg_preload_offset 0
		.amdhsa_user_sgpr_private_segment_size 0
		.amdhsa_wavefront_size32 1
		.amdhsa_uses_dynamic_stack 0
		.amdhsa_enable_private_segment 0
		.amdhsa_system_sgpr_workgroup_id_x 1
		.amdhsa_system_sgpr_workgroup_id_y 1
		.amdhsa_system_sgpr_workgroup_id_z 1
		.amdhsa_system_sgpr_workgroup_info 0
		.amdhsa_system_vgpr_workitem_id 1
		.amdhsa_next_free_vgpr 92
		.amdhsa_next_free_sgpr 58
		.amdhsa_named_barrier_count 0
		.amdhsa_reserve_vcc 1
		.amdhsa_float_round_mode_32 0
		.amdhsa_float_round_mode_16_64 0
		.amdhsa_float_denorm_mode_32 3
		.amdhsa_float_denorm_mode_16_64 3
		.amdhsa_fp16_overflow 0
		.amdhsa_memory_ordered 1
		.amdhsa_forward_progress 1
		.amdhsa_inst_pref_size 60
		.amdhsa_round_robin_scheduling 0
		.amdhsa_exception_fp_ieee_invalid_op 0
		.amdhsa_exception_fp_denorm_src 0
		.amdhsa_exception_fp_ieee_div_zero 0
		.amdhsa_exception_fp_ieee_overflow 0
		.amdhsa_exception_fp_ieee_underflow 0
		.amdhsa_exception_fp_ieee_inexact 0
		.amdhsa_exception_int_div_zero 0
	.end_amdhsa_kernel
	.section	.text._ZL30rocblas_trmm_outofplace_kernelI19rocblas_complex_numIfELi32ELi2ELb1ELb1ELb1ELb0EPKS1_S2_S1_Ev17rocblas_diagonal_iiT6_lPT7_lllS7_lllPT8_llli,"axG",@progbits,_ZL30rocblas_trmm_outofplace_kernelI19rocblas_complex_numIfELi32ELi2ELb1ELb1ELb1ELb0EPKS1_S2_S1_Ev17rocblas_diagonal_iiT6_lPT7_lllS7_lllPT8_llli,comdat
.Lfunc_end78:
	.size	_ZL30rocblas_trmm_outofplace_kernelI19rocblas_complex_numIfELi32ELi2ELb1ELb1ELb1ELb0EPKS1_S2_S1_Ev17rocblas_diagonal_iiT6_lPT7_lllS7_lllPT8_llli, .Lfunc_end78-_ZL30rocblas_trmm_outofplace_kernelI19rocblas_complex_numIfELi32ELi2ELb1ELb1ELb1ELb0EPKS1_S2_S1_Ev17rocblas_diagonal_iiT6_lPT7_lllS7_lllPT8_llli
                                        ; -- End function
	.set _ZL30rocblas_trmm_outofplace_kernelI19rocblas_complex_numIfELi32ELi2ELb1ELb1ELb1ELb0EPKS1_S2_S1_Ev17rocblas_diagonal_iiT6_lPT7_lllS7_lllPT8_llli.num_vgpr, 92
	.set _ZL30rocblas_trmm_outofplace_kernelI19rocblas_complex_numIfELi32ELi2ELb1ELb1ELb1ELb0EPKS1_S2_S1_Ev17rocblas_diagonal_iiT6_lPT7_lllS7_lllPT8_llli.num_agpr, 0
	.set _ZL30rocblas_trmm_outofplace_kernelI19rocblas_complex_numIfELi32ELi2ELb1ELb1ELb1ELb0EPKS1_S2_S1_Ev17rocblas_diagonal_iiT6_lPT7_lllS7_lllPT8_llli.numbered_sgpr, 58
	.set _ZL30rocblas_trmm_outofplace_kernelI19rocblas_complex_numIfELi32ELi2ELb1ELb1ELb1ELb0EPKS1_S2_S1_Ev17rocblas_diagonal_iiT6_lPT7_lllS7_lllPT8_llli.num_named_barrier, 0
	.set _ZL30rocblas_trmm_outofplace_kernelI19rocblas_complex_numIfELi32ELi2ELb1ELb1ELb1ELb0EPKS1_S2_S1_Ev17rocblas_diagonal_iiT6_lPT7_lllS7_lllPT8_llli.private_seg_size, 0
	.set _ZL30rocblas_trmm_outofplace_kernelI19rocblas_complex_numIfELi32ELi2ELb1ELb1ELb1ELb0EPKS1_S2_S1_Ev17rocblas_diagonal_iiT6_lPT7_lllS7_lllPT8_llli.uses_vcc, 1
	.set _ZL30rocblas_trmm_outofplace_kernelI19rocblas_complex_numIfELi32ELi2ELb1ELb1ELb1ELb0EPKS1_S2_S1_Ev17rocblas_diagonal_iiT6_lPT7_lllS7_lllPT8_llli.uses_flat_scratch, 0
	.set _ZL30rocblas_trmm_outofplace_kernelI19rocblas_complex_numIfELi32ELi2ELb1ELb1ELb1ELb0EPKS1_S2_S1_Ev17rocblas_diagonal_iiT6_lPT7_lllS7_lllPT8_llli.has_dyn_sized_stack, 0
	.set _ZL30rocblas_trmm_outofplace_kernelI19rocblas_complex_numIfELi32ELi2ELb1ELb1ELb1ELb0EPKS1_S2_S1_Ev17rocblas_diagonal_iiT6_lPT7_lllS7_lllPT8_llli.has_recursion, 0
	.set _ZL30rocblas_trmm_outofplace_kernelI19rocblas_complex_numIfELi32ELi2ELb1ELb1ELb1ELb0EPKS1_S2_S1_Ev17rocblas_diagonal_iiT6_lPT7_lllS7_lllPT8_llli.has_indirect_call, 0
	.section	.AMDGPU.csdata,"",@progbits
; Kernel info:
; codeLenInByte = 7556
; TotalNumSgprs: 60
; NumVgprs: 92
; ScratchSize: 0
; MemoryBound: 1
; FloatMode: 240
; IeeeMode: 1
; LDSByteSize: 16384 bytes/workgroup (compile time only)
; SGPRBlocks: 0
; VGPRBlocks: 5
; NumSGPRsForWavesPerEU: 60
; NumVGPRsForWavesPerEU: 92
; NamedBarCnt: 0
; Occupancy: 10
; WaveLimiterHint : 0
; COMPUTE_PGM_RSRC2:SCRATCH_EN: 0
; COMPUTE_PGM_RSRC2:USER_SGPR: 2
; COMPUTE_PGM_RSRC2:TRAP_HANDLER: 0
; COMPUTE_PGM_RSRC2:TGID_X_EN: 1
; COMPUTE_PGM_RSRC2:TGID_Y_EN: 1
; COMPUTE_PGM_RSRC2:TGID_Z_EN: 1
; COMPUTE_PGM_RSRC2:TIDIG_COMP_CNT: 1
	.section	.text._ZL30rocblas_trmm_outofplace_kernelI19rocblas_complex_numIfELi32ELi2ELb1ELb1ELb1ELb0ES1_KS1_S1_Ev17rocblas_diagonal_iiT6_lPT7_lllS6_lllPT8_llli,"axG",@progbits,_ZL30rocblas_trmm_outofplace_kernelI19rocblas_complex_numIfELi32ELi2ELb1ELb1ELb1ELb0ES1_KS1_S1_Ev17rocblas_diagonal_iiT6_lPT7_lllS6_lllPT8_llli,comdat
	.globl	_ZL30rocblas_trmm_outofplace_kernelI19rocblas_complex_numIfELi32ELi2ELb1ELb1ELb1ELb0ES1_KS1_S1_Ev17rocblas_diagonal_iiT6_lPT7_lllS6_lllPT8_llli ; -- Begin function _ZL30rocblas_trmm_outofplace_kernelI19rocblas_complex_numIfELi32ELi2ELb1ELb1ELb1ELb0ES1_KS1_S1_Ev17rocblas_diagonal_iiT6_lPT7_lllS6_lllPT8_llli
	.p2align	8
	.type	_ZL30rocblas_trmm_outofplace_kernelI19rocblas_complex_numIfELi32ELi2ELb1ELb1ELb1ELb0ES1_KS1_S1_Ev17rocblas_diagonal_iiT6_lPT7_lllS6_lllPT8_llli,@function
_ZL30rocblas_trmm_outofplace_kernelI19rocblas_complex_numIfELi32ELi2ELb1ELb1ELb1ELb0ES1_KS1_S1_Ev17rocblas_diagonal_iiT6_lPT7_lllS6_lllPT8_llli: ; @_ZL30rocblas_trmm_outofplace_kernelI19rocblas_complex_numIfELi32ELi2ELb1ELb1ELb1ELb0ES1_KS1_S1_Ev17rocblas_diagonal_iiT6_lPT7_lllS6_lllPT8_llli
; %bb.0:
	s_load_b32 s31, s[0:1], 0x80
	s_bfe_u32 s2, ttmp6, 0x40014
	s_lshr_b32 s3, ttmp7, 16
	s_add_co_i32 s2, s2, 1
	s_bfe_u32 s5, ttmp6, 0x40008
	s_mul_i32 s4, s3, s2
	s_getreg_b32 s2, hwreg(HW_REG_IB_STS2, 6, 4)
	s_add_co_i32 s5, s5, s4
	s_cmp_eq_u32 s2, 0
	s_cselect_b32 s34, s3, s5
	s_wait_kmcnt 0x0
	s_cmp_ge_u32 s34, s31
	s_cbranch_scc1 .LBB79_62
; %bb.1:
	s_load_b64 s[36:37], s[0:1], 0xc
	s_wait_kmcnt 0x0
	s_or_b32 s3, s36, s37
	s_delay_alu instid0(SALU_CYCLE_1) | instskip(NEXT) | instid1(SALU_CYCLE_1)
	s_bitset0_b32 s3, 31
	s_cmp_eq_u32 s3, 0
	s_cbranch_scc1 .LBB79_62
; %bb.2:
	s_clause 0x1
	s_load_b96 s[28:30], s[0:1], 0x0
	s_load_b512 s[4:19], s[0:1], 0x20
	s_bfe_u32 s20, ttmp6, 0x4000c
	s_bfe_u32 s22, ttmp6, 0x40010
	s_and_b32 s21, ttmp7, 0xffff
	s_add_co_i32 s20, s20, 1
	s_add_co_i32 s22, s22, 1
	s_and_b32 s3, ttmp6, 15
	s_bfe_u32 s23, ttmp6, 0x40004
	s_mul_i32 s20, ttmp9, s20
	s_mul_i32 s22, s21, s22
	s_add_co_i32 s3, s3, s20
	s_add_co_i32 s23, s23, s22
	v_and_b32_e32 v20, 0x3ff, v0
	v_bfe_u32 v24, v0, 10, 10
	s_add_nc_u64 s[38:39], s[0:1], 0x88
	v_mov_b64_e32 v[26:27], 0
	v_mov_b64_e32 v[28:29], 0x3f800000
	s_mov_b32 s35, 0
	s_mov_b32 s40, s37
	s_wait_kmcnt 0x0
	s_add_co_i32 s24, s30, -1
	s_mov_b32 s42, s29
	s_ashr_i32 s25, s24, 31
	s_mov_b32 s41, s36
	s_lshr_b32 s25, s25, 27
	s_mov_b32 s44, s30
	s_add_co_i32 s24, s24, s25
	v_mov_b32_e32 v25, 0
	s_ashr_i32 s33, s24, 5
	s_cmp_eq_u32 s2, 0
	v_lshlrev_b32_e32 v8, 8, v24
	s_cselect_b32 s48, s21, s23
	s_cselect_b32 s2, ttmp9, s3
	s_cmp_le_i32 s48, s33
	s_load_b256 s[20:27], s[0:1], 0x60
	s_cselect_b32 s49, -1, 0
	s_lshl_b32 s50, s2, 5
	s_cmp_gt_i32 s2, -1
	v_add_nc_u32_e32 v22, s50, v20
	s_cselect_b32 s51, -1, 0
	s_cmp_eq_u32 s28, 0x84
	v_dual_mov_b32 v21, v25 :: v_dual_lshlrev_b32 v30, 3, v20
	s_delay_alu instid0(VALU_DEP_2) | instskip(SKIP_3) | instid1(VALU_DEP_2)
	v_ashrrev_i32_e32 v23, 31, v22
	s_cselect_b32 s52, -1, 0
	s_lshl_b64 s[2:3], s[6:7], 3
	v_dual_mov_b32 v31, v25 :: v_dual_lshlrev_b32 v6, 3, v24
	v_lshl_add_u64 v[0:1], v[22:23], 3, 0x80
	v_mul_u64_e32 v[2:3], s[8:9], v[22:23]
	v_dual_mov_b32 v7, v25 :: v_dual_add_nc_u32 v65, v30, v8
	v_add_nc_u64_e32 v[34:35], 16, v[22:23]
	s_delay_alu instid0(VALU_DEP_4)
	v_mad_nc_u64_u32 v[4:5], s8, v0, s[2:3]
	v_sub_nc_u64_e32 v[36:37], v[22:23], v[24:25]
	s_lshl_b64 s[6:7], s[14:15], 3
	v_add_nc_u32_e32 v63, 0x2000, v8
	v_add_nc_u32_e32 v32, 16, v22
	s_ashr_i32 s43, s29, 31
	s_wait_kmcnt 0x0
	s_lshl_b64 s[0:1], s[22:23], 3
	v_lshl_add_u32 v69, s48, 5, v24
	v_add_nc_u64_e32 v[40:41], 16, v[36:37]
	v_add_nc_u64_e32 v[42:43], -16, v[36:37]
	v_dual_add_nc_u32 v67, v63, v30 :: v_dual_ashrrev_i32 v33, 31, v32
	v_mad_u32 v0, s9, v0, v5
	s_add_nc_u64 s[14:15], s[20:21], s[0:1]
	v_cmp_le_i32_e64 s0, s29, v22
	v_cmp_gt_i32_e64 s1, s29, v22
	v_add_nc_u32_e32 v71, 0x1000, v30
	v_add_nc_u32_e32 v73, 0x1800, v30
	s_ashr_i32 s45, s30, 31
	s_add_nc_u64 s[20:21], s[42:43], -16
	s_lshl_b64 s[10:11], s[10:11], 3
	v_mad_u32 v5, s8, v1, v0
	v_lshl_add_u64 v[0:1], v[2:3], 3, s[2:3]
	s_add_nc_u64 s[2:3], s[12:13], s[6:7]
	s_lshl_b64 s[12:13], s[18:19], 3
	v_add_nc_u64_e32 v[38:39], s[2:3], v[30:31]
	v_cmp_le_i64_e64 s3, s[42:43], v[34:35]
	v_add_nc_u64_e32 v[0:1], v[0:1], v[6:7]
	v_add_nc_u64_e32 v[2:3], v[4:5], v[6:7]
	v_cmp_gt_i32_e64 s2, s29, v32
	v_add_nc_u32_e32 v31, 0x800, v30
	s_lshl_b64 s[18:19], s[16:17], 3
	v_add_nc_u64_e32 v[44:45], s[4:5], v[0:1]
	v_add_nc_u64_e32 v[46:47], s[4:5], v[2:3]
	s_branch .LBB79_4
.LBB79_3:                               ;   in Loop: Header=BB79_4 Depth=1
	s_add_co_i32 s34, s34, 0x10000
	s_delay_alu instid0(SALU_CYCLE_1)
	s_cmp_ge_u32 s34, s31
	s_cbranch_scc1 .LBB79_62
.LBB79_4:                               ; =>This Loop Header: Depth=1
                                        ;     Child Loop BB79_7 Depth 2
                                        ;       Child Loop BB79_10 Depth 3
	s_and_not1_b32 vcc_lo, exec_lo, s49
	s_cbranch_vccnz .LBB79_3
; %bb.5:                                ;   in Loop: Header=BB79_4 Depth=1
	s_load_b32 s9, s[38:39], 0x4
	v_mad_nc_u64_u32 v[48:49], s12, s34, v[38:39]
	s_delay_alu instid0(VALU_DEP_2)
	v_mad_nc_u64_u32 v[50:51], s10, s34, v[46:47]
	v_mad_nc_u64_u32 v[52:53], s10, s34, v[44:45]
	s_mul_i32 s6, s11, s34
	s_mul_u64 s[4:5], s[26:27], s[34:35]
	v_mov_b32_e32 v54, v69
	s_lshl_b64 s[4:5], s[4:5], 3
	s_mov_b32 s54, s48
	s_add_nc_u64 s[22:23], s[14:15], s[4:5]
	s_delay_alu instid0(VALU_DEP_4) | instskip(NEXT) | instid1(VALU_DEP_3)
	v_mad_u32 v49, s13, s34, v49
	v_dual_add_nc_u32 v51, s6, v51 :: v_dual_add_nc_u32 v53, s6, v53
	s_wait_kmcnt 0x0
	s_lshl_b32 s53, s9, 5
	s_branch .LBB79_7
.LBB79_6:                               ;   in Loop: Header=BB79_7 Depth=2
	s_wait_xcnt 0x0
	s_or_b32 exec_lo, exec_lo, s4
	v_add_nc_u32_e32 v54, s53, v54
	s_add_co_i32 s54, s9, s54
	s_delay_alu instid0(SALU_CYCLE_1)
	s_cmp_gt_i32 s54, s33
	s_cbranch_scc1 .LBB79_3
.LBB79_7:                               ;   Parent Loop BB79_4 Depth=1
                                        ; =>  This Loop Header: Depth=2
                                        ;       Child Loop BB79_10 Depth 3
	v_lshl_add_u32 v56, s54, 5, v24
	v_dual_mov_b32 v70, 0 :: v_dual_mov_b32 v72, 0
	v_dual_mov_b32 v66, 0 :: v_dual_mov_b32 v68, 0
	s_delay_alu instid0(VALU_DEP_3)
	v_dual_mov_b32 v62, 0 :: v_dual_ashrrev_i32 v57, 31, v56
	v_dual_mov_b32 v64, 0 :: v_dual_mov_b32 v18, 0
	v_mov_b32_e32 v16, 0
	s_and_not1_b32 vcc_lo, exec_lo, s51
	s_cbranch_vccnz .LBB79_54
; %bb.8:                                ;   in Loop: Header=BB79_7 Depth=2
	v_dual_mov_b32 v16, 0 :: v_dual_ashrrev_i32 v55, 31, v54
	v_mad_nc_u64_u32 v[58:59], s18, v54, v[48:49]
	v_sub_nc_u64_e32 v[2:3], s[44:45], v[56:57]
	v_dual_mov_b32 v18, 0 :: v_dual_mov_b32 v64, 0
	s_delay_alu instid0(VALU_DEP_4) | instskip(SKIP_2) | instid1(VALU_DEP_3)
	v_lshl_add_u64 v[0:1], v[54:55], 3, 0x80
	v_dual_mov_b32 v62, 0 :: v_dual_mov_b32 v68, 0
	v_dual_mov_b32 v66, 0 :: v_dual_mov_b32 v72, 0
	v_mad_nc_u64_u32 v[60:61], s16, v0, v[48:49]
	v_cmp_lt_i64_e64 s4, 16, v[2:3]
	v_mad_u32 v4, s19, v54, v59
	v_mov_b32_e32 v70, 0
	s_mov_b64 s[28:29], 0
	s_mov_b64 s[46:47], 0
	v_cmp_lt_i64_e32 vcc_lo, 0, v[2:3]
	v_mad_u32 v0, s17, v0, v61
	s_delay_alu instid0(VALU_DEP_4) | instskip(NEXT) | instid1(VALU_DEP_2)
	v_mad_u32 v59, s18, v55, v4
	v_mad_u32 v61, s16, v1, v0
	s_branch .LBB79_10
.LBB79_9:                               ;   in Loop: Header=BB79_10 Depth=3
	s_wait_xcnt 0x0
	s_or_b32 exec_lo, exec_lo, s5
	s_wait_dscnt 0x0
	s_barrier_signal -1
	s_barrier_wait -1
	ds_load_b128 v[74:77], v63
	ds_load_2addr_b64 v[78:81], v30 offset1:16
	ds_load_b128 v[82:85], v63 offset:4096
	ds_load_b128 v[8:11], v63 offset:16
	;; [unrolled: 1-line block ×4, first 2 shown]
	ds_load_2addr_b64 v[86:89], v30 offset0:32 offset1:48
	ds_load_b128 v[12:15], v63 offset:4112
	s_add_nc_u64 s[46:47], s[46:47], 32
	s_add_nc_u64 s[28:29], s[28:29], 0x100
	s_sub_co_i32 s5, s46, 32
	s_delay_alu instid0(SALU_CYCLE_1)
	s_cmp_ge_i32 s5, s50
	s_wait_dscnt 0x6
	v_dual_mul_f32 v17, v75, v79 :: v_dual_mul_f32 v19, v74, v79
	v_dual_mul_f32 v55, v75, v81 :: v_dual_mul_f32 v90, v74, v81
	s_wait_dscnt 0x5
	v_dual_mul_f32 v91, v83, v79 :: v_dual_mul_f32 v79, v82, v79
	v_dual_mul_f32 v92, v83, v81 :: v_dual_mul_f32 v93, v82, v81
	v_dual_fma_f32 v17, v74, v78, -v17 :: v_dual_fmac_f32 v19, v75, v78
	v_dual_fma_f32 v55, v74, v80, -v55 :: v_dual_fmac_f32 v90, v75, v80
	s_delay_alu instid0(VALU_DEP_2) | instskip(NEXT) | instid1(VALU_DEP_4)
	v_dual_fmac_f32 v79, v83, v78 :: v_dual_add_f32 v17, v70, v17
	v_dual_fma_f32 v74, v82, v78, -v91 :: v_dual_fma_f32 v75, v82, v80, -v92
	s_delay_alu instid0(VALU_DEP_3) | instskip(NEXT) | instid1(VALU_DEP_3)
	v_dual_add_f32 v55, v66, v55 :: v_dual_add_f32 v66, v68, v90
	v_dual_add_f32 v64, v64, v79 :: v_dual_fmac_f32 v93, v83, v80
	s_wait_dscnt 0x1
	v_dual_mul_f32 v68, v77, v87 :: v_dual_mul_f32 v70, v76, v87
	ds_load_2addr_b64 v[78:81], v30 offset0:64 offset1:80
	v_dual_add_f32 v19, v72, v19 :: v_dual_add_f32 v62, v62, v74
	v_dual_add_f32 v18, v18, v75 :: v_dual_fma_f32 v68, v76, v86, -v68
	v_dual_mul_f32 v72, v77, v89 :: v_dual_fmac_f32 v70, v77, v86
	v_add_f32_e32 v74, v16, v93
	s_delay_alu instid0(VALU_DEP_3) | instskip(NEXT) | instid1(VALU_DEP_3)
	v_dual_mul_f32 v16, v76, v89 :: v_dual_add_f32 v68, v17, v68
	v_dual_fma_f32 v17, v76, v88, -v72 :: v_dual_mul_f32 v72, v85, v87
	s_delay_alu instid0(VALU_DEP_2) | instskip(NEXT) | instid1(VALU_DEP_2)
	v_dual_add_f32 v70, v19, v70 :: v_dual_fmac_f32 v16, v77, v88
	v_dual_mul_f32 v19, v84, v87 :: v_dual_add_f32 v55, v55, v17
	s_delay_alu instid0(VALU_DEP_3) | instskip(NEXT) | instid1(VALU_DEP_2)
	v_dual_fma_f32 v17, v84, v86, -v72 :: v_dual_mul_f32 v72, v85, v89
	v_dual_add_f32 v66, v66, v16 :: v_dual_fmac_f32 v19, v85, v86
	v_mul_f32_e32 v75, v84, v89
	s_delay_alu instid0(VALU_DEP_3) | instskip(SKIP_2) | instid1(VALU_DEP_3)
	v_dual_add_f32 v62, v62, v17 :: v_dual_fma_f32 v16, v84, v88, -v72
	s_wait_dscnt 0x0
	v_dual_mul_f32 v17, v9, v79 :: v_dual_mul_f32 v72, v8, v79
	v_dual_add_f32 v64, v64, v19 :: v_dual_fmac_f32 v75, v85, v88
	s_delay_alu instid0(VALU_DEP_2) | instskip(NEXT) | instid1(VALU_DEP_3)
	v_dual_add_f32 v76, v18, v16 :: v_dual_fma_f32 v77, v8, v78, -v17
	v_dual_mul_f32 v82, v9, v81 :: v_dual_fmac_f32 v72, v9, v78
	ds_load_2addr_b64 v[16:19], v30 offset0:96 offset1:112
	v_dual_add_f32 v83, v74, v75 :: v_dual_add_f32 v68, v68, v77
	v_dual_mul_f32 v74, v8, v81 :: v_dual_fma_f32 v8, v8, v80, -v82
	v_dual_add_f32 v70, v70, v72 :: v_dual_mul_f32 v72, v13, v79
	s_delay_alu instid0(VALU_DEP_2) | instskip(NEXT) | instid1(VALU_DEP_3)
	v_dual_mul_f32 v75, v12, v79 :: v_dual_fmac_f32 v74, v9, v80
	v_dual_add_f32 v8, v55, v8 :: v_dual_mul_f32 v9, v13, v81
	s_delay_alu instid0(VALU_DEP_2) | instskip(NEXT) | instid1(VALU_DEP_3)
	v_dual_fma_f32 v55, v12, v78, -v72 :: v_dual_fmac_f32 v75, v13, v78
	v_dual_mul_f32 v72, v12, v81 :: v_dual_add_f32 v66, v66, v74
	s_delay_alu instid0(VALU_DEP_2) | instskip(NEXT) | instid1(VALU_DEP_2)
	v_dual_fma_f32 v9, v12, v80, -v9 :: v_dual_add_f32 v12, v62, v55
	v_dual_add_f32 v55, v64, v75 :: v_dual_fmac_f32 v72, v13, v80
	s_wait_dscnt 0x0
	v_dual_mul_f32 v13, v11, v17 :: v_dual_mul_f32 v62, v10, v17
	s_delay_alu instid0(VALU_DEP_3) | instskip(SKIP_3) | instid1(VALU_DEP_2)
	v_dual_add_f32 v9, v76, v9 :: v_dual_mul_f32 v64, v11, v19
	ds_load_2addr_b64 v[74:77], v30 offset0:128 offset1:144
	v_dual_fma_f32 v13, v10, v16, -v13 :: v_dual_mul_f32 v78, v10, v19
	v_dual_add_f32 v72, v83, v72 :: v_dual_fma_f32 v10, v10, v18, -v64
	v_dual_fmac_f32 v62, v11, v16 :: v_dual_add_f32 v64, v68, v13
	v_mul_f32_e32 v13, v15, v17
	s_delay_alu instid0(VALU_DEP_4) | instskip(NEXT) | instid1(VALU_DEP_3)
	v_fmac_f32_e32 v78, v11, v18
	v_add_f32_e32 v11, v70, v62
	s_delay_alu instid0(VALU_DEP_3) | instskip(SKIP_1) | instid1(VALU_DEP_4)
	v_dual_add_f32 v62, v8, v10 :: v_dual_fma_f32 v10, v14, v16, -v13
	v_mul_f32_e32 v8, v14, v17
	v_dual_add_f32 v17, v66, v78 :: v_dual_mul_f32 v13, v15, v19
	ds_load_b128 v[78:81], v63 offset:4128
	v_dual_fmac_f32 v8, v15, v16 :: v_dual_add_f32 v16, v12, v10
	v_dual_mul_f32 v10, v14, v19 :: v_dual_fma_f32 v12, v14, v18, -v13
	s_wait_dscnt 0x1
	s_delay_alu instid0(VALU_DEP_2) | instskip(NEXT) | instid1(VALU_DEP_2)
	v_dual_mul_f32 v13, v5, v75 :: v_dual_add_f32 v19, v55, v8
	v_dual_mul_f32 v8, v4, v75 :: v_dual_fmac_f32 v10, v15, v18
	s_delay_alu instid0(VALU_DEP_2) | instskip(SKIP_4) | instid1(VALU_DEP_3)
	v_dual_add_f32 v18, v9, v12 :: v_dual_fma_f32 v9, v4, v74, -v13
	ds_load_2addr_b64 v[12:15], v30 offset0:160 offset1:176
	v_dual_fmac_f32 v8, v5, v74 :: v_dual_mul_f32 v55, v5, v77
	v_mul_f32_e32 v68, v4, v77
	v_add_f32_e32 v66, v72, v10
	v_dual_add_f32 v64, v64, v9 :: v_dual_add_f32 v70, v11, v8
	s_delay_alu instid0(VALU_DEP_4)
	v_fma_f32 v4, v4, v76, -v55
	ds_load_b128 v[8:11], v63 offset:4144
	s_wait_dscnt 0x2
	v_dual_mul_f32 v55, v79, v75 :: v_dual_fmac_f32 v68, v5, v76
	v_mul_f32_e32 v5, v78, v75
	v_dual_add_f32 v4, v62, v4 :: v_dual_mul_f32 v62, v79, v77
	s_delay_alu instid0(VALU_DEP_3) | instskip(NEXT) | instid1(VALU_DEP_3)
	v_dual_fma_f32 v55, v78, v74, -v55 :: v_dual_add_f32 v17, v17, v68
	v_dual_fmac_f32 v5, v79, v74 :: v_dual_mul_f32 v68, v78, v77
	s_delay_alu instid0(VALU_DEP_2) | instskip(SKIP_2) | instid1(VALU_DEP_3)
	v_dual_fma_f32 v62, v78, v76, -v62 :: v_dual_add_f32 v16, v16, v55
	s_wait_dscnt 0x1
	v_mul_f32_e32 v55, v7, v13
	v_fmac_f32_e32 v68, v79, v76
	ds_load_2addr_b64 v[74:77], v30 offset0:192 offset1:208
	v_dual_add_f32 v62, v18, v62 :: v_dual_add_f32 v5, v19, v5
	v_dual_fma_f32 v19, v6, v12, -v55 :: v_dual_mul_f32 v18, v6, v13
	v_dual_mul_f32 v55, v7, v15 :: v_dual_add_f32 v66, v66, v68
	s_delay_alu instid0(VALU_DEP_2) | instskip(NEXT) | instid1(VALU_DEP_2)
	v_dual_add_f32 v64, v64, v19 :: v_dual_fmac_f32 v18, v7, v12
	v_dual_mul_f32 v19, v6, v15 :: v_dual_fma_f32 v6, v6, v14, -v55
	v_dual_mul_f32 v55, v81, v13 :: v_dual_mul_f32 v13, v80, v13
	s_delay_alu instid0(VALU_DEP_3) | instskip(NEXT) | instid1(VALU_DEP_3)
	v_add_f32_e32 v68, v70, v18
	v_fmac_f32_e32 v19, v7, v14
	s_delay_alu instid0(VALU_DEP_4) | instskip(NEXT) | instid1(VALU_DEP_4)
	v_dual_add_f32 v4, v4, v6 :: v_dual_mul_f32 v7, v81, v15
	v_dual_fma_f32 v6, v80, v12, -v55 :: v_dual_fmac_f32 v13, v81, v12
	s_delay_alu instid0(VALU_DEP_3) | instskip(NEXT) | instid1(VALU_DEP_3)
	v_add_f32_e32 v12, v17, v19
	v_dual_mul_f32 v15, v80, v15 :: v_dual_fma_f32 v7, v80, v14, -v7
	s_delay_alu instid0(VALU_DEP_3)
	v_dual_add_f32 v6, v16, v6 :: v_dual_add_f32 v5, v5, v13
	s_wait_dscnt 0x0
	v_mul_f32_e32 v13, v1, v75
	ds_load_2addr_b64 v[16:19], v30 offset0:224 offset1:240
	v_dual_fmac_f32 v15, v81, v14 :: v_dual_mul_f32 v14, v0, v75
	v_dual_add_f32 v7, v62, v7 :: v_dual_fma_f32 v13, v0, v74, -v13
	v_dual_mul_f32 v55, v1, v77 :: v_dual_mul_f32 v62, v0, v77
	s_delay_alu instid0(VALU_DEP_3) | instskip(NEXT) | instid1(VALU_DEP_3)
	v_dual_add_f32 v66, v66, v15 :: v_dual_fmac_f32 v14, v1, v74
	v_add_f32_e32 v64, v64, v13
	s_delay_alu instid0(VALU_DEP_3) | instskip(NEXT) | instid1(VALU_DEP_3)
	v_dual_fma_f32 v0, v0, v76, -v55 :: v_dual_fmac_f32 v62, v1, v76
	v_dual_mul_f32 v1, v9, v75 :: v_dual_add_f32 v55, v68, v14
	v_mul_f32_e32 v13, v8, v75
	s_delay_alu instid0(VALU_DEP_3) | instskip(NEXT) | instid1(VALU_DEP_3)
	v_add_f32_e32 v62, v12, v62
	v_fma_f32 v1, v8, v74, -v1
	s_delay_alu instid0(VALU_DEP_3) | instskip(SKIP_2) | instid1(VALU_DEP_1)
	v_dual_add_f32 v0, v4, v0 :: v_dual_fmac_f32 v13, v9, v74
	v_dual_mul_f32 v4, v9, v77 :: v_dual_mul_f32 v68, v8, v77
	s_wait_dscnt 0x0
	v_dual_fma_f32 v4, v8, v76, -v4 :: v_dual_mul_f32 v8, v3, v17
	s_delay_alu instid0(VALU_DEP_2) | instskip(NEXT) | instid1(VALU_DEP_2)
	v_dual_add_f32 v1, v6, v1 :: v_dual_fmac_f32 v68, v9, v76
	v_dual_add_f32 v70, v5, v13 :: v_dual_add_f32 v9, v7, v4
	s_delay_alu instid0(VALU_DEP_3) | instskip(NEXT) | instid1(VALU_DEP_3)
	v_dual_fma_f32 v4, v2, v16, -v8 :: v_dual_mul_f32 v5, v2, v17
	v_dual_mul_f32 v6, v3, v19 :: v_dual_add_f32 v66, v66, v68
	ds_load_b128 v[12:15], v63 offset:64
	ds_load_2addr_b64 v[74:77], v31 offset1:16
	v_dual_mul_f32 v7, v2, v19 :: v_dual_fmac_f32 v5, v3, v16
	v_dual_add_f32 v64, v64, v4 :: v_dual_fma_f32 v2, v2, v18, -v6
	v_mul_f32_e32 v4, v11, v17
	s_delay_alu instid0(VALU_DEP_3) | instskip(NEXT) | instid1(VALU_DEP_4)
	v_fmac_f32_e32 v7, v3, v18
	v_add_f32_e32 v55, v55, v5
	s_delay_alu instid0(VALU_DEP_4) | instskip(NEXT) | instid1(VALU_DEP_4)
	v_dual_mul_f32 v3, v10, v17 :: v_dual_add_f32 v17, v0, v2
	v_dual_fma_f32 v0, v10, v16, -v4 :: v_dual_mul_f32 v2, v11, v19
	ds_load_b128 v[78:81], v63 offset:4160
	v_dual_add_f32 v62, v62, v7 :: v_dual_fmac_f32 v3, v11, v16
	v_dual_add_f32 v16, v1, v0 :: v_dual_fma_f32 v0, v10, v18, -v2
	v_mul_f32_e32 v1, v10, v19
	ds_load_b128 v[4:7], v63 offset:80
	v_add_f32_e32 v19, v70, v3
	s_wait_dscnt 0x2
	v_dual_mul_f32 v2, v13, v75 :: v_dual_mul_f32 v3, v12, v75
	v_dual_fmac_f32 v1, v11, v18 :: v_dual_add_f32 v18, v9, v0
	ds_load_2addr_b64 v[8:11], v31 offset0:32 offset1:48
	v_dual_fma_f32 v0, v12, v74, -v2 :: v_dual_fmac_f32 v3, v13, v74
	v_dual_mul_f32 v2, v13, v77 :: v_dual_mul_f32 v68, v12, v77
	s_delay_alu instid0(VALU_DEP_2) | instskip(NEXT) | instid1(VALU_DEP_2)
	v_dual_add_f32 v66, v66, v1 :: v_dual_add_f32 v64, v64, v0
	v_dual_add_f32 v55, v55, v3 :: v_dual_fma_f32 v12, v12, v76, -v2
	s_wait_dscnt 0x2
	s_delay_alu instid0(VALU_DEP_3)
	v_dual_mul_f32 v70, v79, v75 :: v_dual_fmac_f32 v68, v13, v76
	v_mul_f32_e32 v13, v78, v75
	ds_load_b128 v[0:3], v63 offset:4176
	v_dual_add_f32 v12, v17, v12 :: v_dual_mul_f32 v17, v79, v77
	v_dual_fma_f32 v70, v78, v74, -v70 :: v_dual_fmac_f32 v13, v79, v74
	v_add_f32_e32 v62, v62, v68
	s_delay_alu instid0(VALU_DEP_3) | instskip(SKIP_1) | instid1(VALU_DEP_3)
	v_dual_mul_f32 v68, v78, v77 :: v_dual_fma_f32 v17, v78, v76, -v17
	s_wait_dscnt 0x1
	v_dual_add_f32 v70, v16, v70 :: v_dual_mul_f32 v16, v15, v9
	v_mul_f32_e32 v74, v14, v9
	v_add_f32_e32 v13, v19, v13
	v_dual_fmac_f32 v68, v79, v76 :: v_dual_add_f32 v72, v18, v17
	s_delay_alu instid0(VALU_DEP_4) | instskip(SKIP_3) | instid1(VALU_DEP_2)
	v_fma_f32 v75, v14, v8, -v16
	ds_load_2addr_b64 v[16:19], v31 offset0:64 offset1:80
	v_dual_mul_f32 v76, v15, v11 :: v_dual_add_f32 v66, v66, v68
	v_dual_fmac_f32 v74, v15, v8 :: v_dual_add_f32 v64, v64, v75
	v_dual_mul_f32 v68, v14, v11 :: v_dual_fma_f32 v14, v14, v10, -v76
	v_dual_mul_f32 v75, v81, v9 :: v_dual_mul_f32 v9, v80, v9
	s_delay_alu instid0(VALU_DEP_3) | instskip(NEXT) | instid1(VALU_DEP_3)
	v_add_f32_e32 v55, v55, v74
	v_fmac_f32_e32 v68, v15, v10
	s_delay_alu instid0(VALU_DEP_4) | instskip(NEXT) | instid1(VALU_DEP_4)
	v_add_f32_e32 v74, v12, v14
	v_dual_fma_f32 v12, v80, v8, -v75 :: v_dual_fmac_f32 v9, v81, v8
	s_delay_alu instid0(VALU_DEP_3) | instskip(NEXT) | instid1(VALU_DEP_2)
	v_dual_mul_f32 v8, v81, v11 :: v_dual_add_f32 v62, v62, v68
	v_dual_mul_f32 v11, v80, v11 :: v_dual_add_f32 v68, v70, v12
	s_delay_alu instid0(VALU_DEP_2)
	v_dual_add_f32 v9, v13, v9 :: v_dual_fma_f32 v8, v80, v10, -v8
	s_wait_dscnt 0x0
	v_mul_f32_e32 v70, v5, v17
	ds_load_2addr_b64 v[12:15], v31 offset0:96 offset1:112
	v_dual_fmac_f32 v11, v81, v10 :: v_dual_mul_f32 v10, v4, v17
	v_dual_add_f32 v8, v72, v8 :: v_dual_mul_f32 v72, v5, v19
	v_dual_fma_f32 v70, v4, v16, -v70 :: v_dual_mul_f32 v75, v4, v19
	s_delay_alu instid0(VALU_DEP_3) | instskip(NEXT) | instid1(VALU_DEP_3)
	v_dual_fmac_f32 v10, v5, v16 :: v_dual_add_f32 v66, v66, v11
	v_fma_f32 v4, v4, v18, -v72
	s_delay_alu instid0(VALU_DEP_3) | instskip(NEXT) | instid1(VALU_DEP_4)
	v_add_f32_e32 v64, v64, v70
	v_fmac_f32_e32 v75, v5, v18
	s_delay_alu instid0(VALU_DEP_4) | instskip(NEXT) | instid1(VALU_DEP_4)
	v_dual_add_f32 v55, v55, v10 :: v_dual_mul_f32 v10, v0, v17
	v_dual_mul_f32 v5, v1, v17 :: v_dual_add_f32 v4, v74, v4
	v_mul_f32_e32 v11, v1, v19
	s_delay_alu instid0(VALU_DEP_3) | instskip(NEXT) | instid1(VALU_DEP_3)
	v_dual_add_f32 v62, v62, v75 :: v_dual_fmac_f32 v10, v1, v16
	v_dual_mul_f32 v70, v0, v19 :: v_dual_fma_f32 v5, v0, v16, -v5
	s_wait_dscnt 0x0
	s_delay_alu instid0(VALU_DEP_3) | instskip(NEXT) | instid1(VALU_DEP_2)
	v_dual_fma_f32 v0, v0, v18, -v11 :: v_dual_mul_f32 v11, v7, v13
	v_dual_mul_f32 v72, v6, v13 :: v_dual_fmac_f32 v70, v1, v18
	s_delay_alu instid0(VALU_DEP_3) | instskip(NEXT) | instid1(VALU_DEP_3)
	v_dual_add_f32 v5, v68, v5 :: v_dual_add_f32 v68, v9, v10
	v_add_f32_e32 v0, v8, v0
	s_delay_alu instid0(VALU_DEP_4) | instskip(SKIP_4) | instid1(VALU_DEP_2)
	v_fma_f32 v1, v6, v12, -v11
	ds_load_b128 v[8:11], v63 offset:96
	ds_load_2addr_b64 v[16:19], v31 offset0:128 offset1:144
	v_dual_mul_f32 v74, v7, v15 :: v_dual_add_f32 v66, v66, v70
	v_dual_fmac_f32 v72, v7, v12 :: v_dual_mul_f32 v70, v6, v15
	v_dual_add_f32 v1, v64, v1 :: v_dual_fma_f32 v6, v6, v14, -v74
	v_dual_mul_f32 v64, v3, v13 :: v_dual_mul_f32 v13, v2, v13
	s_delay_alu instid0(VALU_DEP_3) | instskip(NEXT) | instid1(VALU_DEP_4)
	v_add_f32_e32 v55, v55, v72
	v_fmac_f32_e32 v70, v7, v14
	s_delay_alu instid0(VALU_DEP_3)
	v_dual_add_f32 v72, v4, v6 :: v_dual_fma_f32 v4, v2, v12, -v64
	v_mul_f32_e32 v6, v3, v15
	ds_load_b128 v[74:77], v63 offset:4192
	v_dual_add_f32 v62, v62, v70 :: v_dual_fmac_f32 v13, v3, v12
	v_dual_add_f32 v64, v5, v4 :: v_dual_fma_f32 v12, v2, v14, -v6
	s_wait_dscnt 0x1
	v_dual_mul_f32 v2, v2, v15 :: v_dual_mul_f32 v15, v9, v17
	v_mul_f32_e32 v70, v8, v17
	v_add_f32_e32 v68, v68, v13
	s_delay_alu instid0(VALU_DEP_3) | instskip(NEXT) | instid1(VALU_DEP_3)
	v_dual_add_f32 v78, v0, v12 :: v_dual_fmac_f32 v2, v3, v14
	v_dual_fma_f32 v0, v8, v16, -v15 :: v_dual_fmac_f32 v70, v9, v16
	ds_load_2addr_b64 v[12:15], v31 offset0:160 offset1:176
	v_mul_f32_e32 v3, v9, v19
	ds_load_b128 v[4:7], v63 offset:112
	v_dual_mul_f32 v80, v8, v19 :: v_dual_add_f32 v55, v55, v70
	v_dual_add_f32 v66, v66, v2 :: v_dual_add_f32 v79, v1, v0
	s_wait_dscnt 0x2
	v_dual_fma_f32 v8, v8, v18, -v3 :: v_dual_mul_f32 v70, v75, v17
	s_delay_alu instid0(VALU_DEP_3) | instskip(NEXT) | instid1(VALU_DEP_2)
	v_dual_fmac_f32 v80, v9, v18 :: v_dual_mul_f32 v9, v74, v17
	v_dual_mul_f32 v17, v75, v19 :: v_dual_add_f32 v8, v72, v8
	s_delay_alu instid0(VALU_DEP_3) | instskip(NEXT) | instid1(VALU_DEP_3)
	v_dual_fma_f32 v70, v74, v16, -v70 :: v_dual_mul_f32 v72, v74, v19
	v_fmac_f32_e32 v9, v75, v16
	s_delay_alu instid0(VALU_DEP_3) | instskip(NEXT) | instid1(VALU_DEP_3)
	v_fma_f32 v16, v74, v18, -v17
	v_dual_add_f32 v62, v62, v80 :: v_dual_add_f32 v64, v64, v70
	s_delay_alu instid0(VALU_DEP_3) | instskip(SKIP_1) | instid1(VALU_DEP_3)
	v_dual_fmac_f32 v72, v75, v18 :: v_dual_add_f32 v9, v68, v9
	s_wait_dscnt 0x1
	v_dual_mul_f32 v17, v11, v13 :: v_dual_add_f32 v68, v78, v16
	v_dual_mul_f32 v70, v10, v13 :: v_dual_mul_f32 v75, v11, v15
	s_delay_alu instid0(VALU_DEP_3) | instskip(NEXT) | instid1(VALU_DEP_3)
	v_add_f32_e32 v66, v66, v72
	v_fma_f32 v74, v10, v12, -v17
	ds_load_2addr_b64 v[16:19], v31 offset0:192 offset1:208
	v_fmac_f32_e32 v70, v11, v12
	ds_load_b128 v[0:3], v63 offset:4208
	v_dual_add_f32 v72, v79, v74 :: v_dual_mul_f32 v74, v10, v15
	v_dual_fma_f32 v10, v10, v14, -v75 :: v_dual_mul_f32 v75, v77, v13
	v_dual_mul_f32 v13, v76, v13 :: v_dual_add_f32 v55, v55, v70
	s_delay_alu instid0(VALU_DEP_3) | instskip(NEXT) | instid1(VALU_DEP_3)
	v_fmac_f32_e32 v74, v11, v14
	v_dual_add_f32 v8, v8, v10 :: v_dual_mul_f32 v11, v77, v15
	s_delay_alu instid0(VALU_DEP_3) | instskip(NEXT) | instid1(VALU_DEP_3)
	v_dual_fma_f32 v10, v76, v12, -v75 :: v_dual_fmac_f32 v13, v77, v12
	v_dual_add_f32 v62, v62, v74 :: v_dual_mul_f32 v70, v76, v15
	s_delay_alu instid0(VALU_DEP_3) | instskip(NEXT) | instid1(VALU_DEP_3)
	v_fma_f32 v11, v76, v14, -v11
	v_dual_add_f32 v10, v64, v10 :: v_dual_add_f32 v9, v9, v13
	s_wait_dscnt 0x1
	v_mul_f32_e32 v64, v5, v17
	v_dual_fmac_f32 v70, v77, v14 :: v_dual_mul_f32 v74, v4, v17
	ds_load_2addr_b64 v[12:15], v31 offset0:224 offset1:240
	v_add_f32_e32 v11, v68, v11
	v_dual_fma_f32 v64, v4, v16, -v64 :: v_dual_mul_f32 v68, v5, v19
	v_dual_mul_f32 v75, v4, v19 :: v_dual_add_f32 v66, v66, v70
	v_fmac_f32_e32 v74, v5, v16
	s_delay_alu instid0(VALU_DEP_3) | instskip(NEXT) | instid1(VALU_DEP_3)
	v_add_f32_e32 v64, v72, v64
	v_dual_fma_f32 v4, v4, v18, -v68 :: v_dual_fmac_f32 v75, v5, v18
	s_wait_dscnt 0x1
	v_dual_mul_f32 v5, v1, v17 :: v_dual_mul_f32 v17, v0, v17
	v_mul_f32_e32 v68, v0, v19
	s_delay_alu instid0(VALU_DEP_3) | instskip(NEXT) | instid1(VALU_DEP_3)
	v_dual_add_f32 v4, v8, v4 :: v_dual_mul_f32 v8, v1, v19
	v_dual_add_f32 v62, v62, v75 :: v_dual_fma_f32 v5, v0, v16, -v5
	s_delay_alu instid0(VALU_DEP_3) | instskip(SKIP_1) | instid1(VALU_DEP_3)
	v_dual_fmac_f32 v17, v1, v16 :: v_dual_fmac_f32 v68, v1, v18
	s_wait_dscnt 0x0
	v_dual_fma_f32 v0, v0, v18, -v8 :: v_dual_mul_f32 v8, v7, v13
	s_delay_alu instid0(VALU_DEP_3) | instskip(NEXT) | instid1(VALU_DEP_3)
	v_add_f32_e32 v5, v10, v5
	v_dual_add_f32 v70, v9, v17 :: v_dual_add_f32 v55, v55, v74
	s_delay_alu instid0(VALU_DEP_3) | instskip(NEXT) | instid1(VALU_DEP_4)
	v_add_f32_e32 v0, v11, v0
	v_dual_fma_f32 v1, v6, v12, -v8 :: v_dual_mul_f32 v72, v6, v13
	ds_load_b128 v[8:11], v63 offset:128
	ds_load_2addr_b64 v[16:19], v71 offset1:16
	v_dual_mul_f32 v74, v7, v15 :: v_dual_add_f32 v66, v66, v68
	v_dual_mul_f32 v68, v6, v15 :: v_dual_fmac_f32 v72, v7, v12
	s_delay_alu instid0(VALU_DEP_2) | instskip(SKIP_1) | instid1(VALU_DEP_3)
	v_dual_add_f32 v1, v64, v1 :: v_dual_fma_f32 v6, v6, v14, -v74
	v_dual_mul_f32 v64, v3, v13 :: v_dual_mul_f32 v13, v2, v13
	v_add_f32_e32 v55, v55, v72
	ds_load_b128 v[74:77], v63 offset:4224
	v_dual_add_f32 v72, v4, v6 :: v_dual_fma_f32 v4, v2, v12, -v64
	v_mul_f32_e32 v6, v3, v15
	v_fmac_f32_e32 v68, v7, v14
	v_fmac_f32_e32 v13, v3, v12
	s_delay_alu instid0(VALU_DEP_3) | instskip(NEXT) | instid1(VALU_DEP_3)
	v_dual_add_f32 v64, v5, v4 :: v_dual_fma_f32 v12, v2, v14, -v6
	v_add_f32_e32 v62, v62, v68
	s_wait_dscnt 0x1
	v_dual_mul_f32 v2, v2, v15 :: v_dual_mul_f32 v15, v9, v17
	v_add_f32_e32 v68, v70, v13
	v_mul_f32_e32 v70, v8, v17
	s_delay_alu instid0(VALU_DEP_3) | instskip(NEXT) | instid1(VALU_DEP_4)
	v_dual_add_f32 v78, v0, v12 :: v_dual_fmac_f32 v2, v3, v14
	v_fma_f32 v0, v8, v16, -v15
	ds_load_2addr_b64 v[12:15], v71 offset0:32 offset1:48
	v_mul_f32_e32 v3, v9, v19
	ds_load_b128 v[4:7], v63 offset:144
	v_dual_fmac_f32 v70, v9, v16 :: v_dual_mul_f32 v80, v8, v19
	v_dual_add_f32 v66, v66, v2 :: v_dual_add_f32 v79, v1, v0
	v_fma_f32 v8, v8, v18, -v3
	s_delay_alu instid0(VALU_DEP_3) | instskip(SKIP_2) | instid1(VALU_DEP_3)
	v_add_f32_e32 v55, v55, v70
	s_wait_dscnt 0x2
	v_dual_mul_f32 v70, v75, v17 :: v_dual_fmac_f32 v80, v9, v18
	v_dual_mul_f32 v9, v74, v17 :: v_dual_add_f32 v8, v72, v8
	s_delay_alu instid0(VALU_DEP_2) | instskip(NEXT) | instid1(VALU_DEP_2)
	v_dual_mul_f32 v17, v75, v19 :: v_dual_fma_f32 v70, v74, v16, -v70
	v_dual_mul_f32 v72, v74, v19 :: v_dual_fmac_f32 v9, v75, v16
	s_delay_alu instid0(VALU_DEP_4) | instskip(NEXT) | instid1(VALU_DEP_3)
	v_add_f32_e32 v62, v62, v80
	v_fma_f32 v16, v74, v18, -v17
	s_wait_dscnt 0x1
	v_dual_add_f32 v64, v64, v70 :: v_dual_mul_f32 v17, v11, v13
	v_dual_add_f32 v9, v68, v9 :: v_dual_fmac_f32 v72, v75, v18
	s_delay_alu instid0(VALU_DEP_3) | instskip(NEXT) | instid1(VALU_DEP_3)
	v_add_f32_e32 v68, v78, v16
	v_dual_mul_f32 v70, v10, v13 :: v_dual_fma_f32 v74, v10, v12, -v17
	ds_load_2addr_b64 v[16:19], v71 offset0:64 offset1:80
	v_dual_mul_f32 v75, v11, v15 :: v_dual_add_f32 v66, v66, v72
	v_fmac_f32_e32 v70, v11, v12
	v_dual_add_f32 v72, v79, v74 :: v_dual_mul_f32 v74, v10, v15
	s_delay_alu instid0(VALU_DEP_3)
	v_dual_fma_f32 v10, v10, v14, -v75 :: v_dual_mul_f32 v75, v77, v13
	v_mul_f32_e32 v13, v76, v13
	ds_load_b128 v[0:3], v63 offset:4240
	v_fmac_f32_e32 v74, v11, v14
	v_add_f32_e32 v55, v55, v70
	v_dual_add_f32 v8, v8, v10 :: v_dual_mul_f32 v11, v77, v15
	v_dual_fma_f32 v10, v76, v12, -v75 :: v_dual_fmac_f32 v13, v77, v12
	s_delay_alu instid0(VALU_DEP_4) | instskip(NEXT) | instid1(VALU_DEP_3)
	v_dual_add_f32 v62, v62, v74 :: v_dual_mul_f32 v70, v76, v15
	v_fma_f32 v11, v76, v14, -v11
	s_delay_alu instid0(VALU_DEP_3)
	v_dual_add_f32 v10, v64, v10 :: v_dual_add_f32 v9, v9, v13
	s_wait_dscnt 0x1
	v_mul_f32_e32 v64, v5, v17
	v_dual_fmac_f32 v70, v77, v14 :: v_dual_mul_f32 v74, v4, v17
	ds_load_2addr_b64 v[12:15], v71 offset0:96 offset1:112
	v_add_f32_e32 v11, v68, v11
	v_dual_fma_f32 v64, v4, v16, -v64 :: v_dual_mul_f32 v68, v5, v19
	v_dual_mul_f32 v75, v4, v19 :: v_dual_add_f32 v66, v66, v70
	v_fmac_f32_e32 v74, v5, v16
	s_delay_alu instid0(VALU_DEP_3) | instskip(NEXT) | instid1(VALU_DEP_3)
	v_add_f32_e32 v64, v72, v64
	v_dual_fma_f32 v4, v4, v18, -v68 :: v_dual_fmac_f32 v75, v5, v18
	s_wait_dscnt 0x1
	v_dual_mul_f32 v5, v1, v17 :: v_dual_mul_f32 v17, v0, v17
	v_mul_f32_e32 v68, v0, v19
	s_delay_alu instid0(VALU_DEP_3) | instskip(NEXT) | instid1(VALU_DEP_3)
	v_dual_add_f32 v4, v8, v4 :: v_dual_mul_f32 v8, v1, v19
	v_dual_add_f32 v62, v62, v75 :: v_dual_fma_f32 v5, v0, v16, -v5
	s_delay_alu instid0(VALU_DEP_3) | instskip(SKIP_1) | instid1(VALU_DEP_3)
	v_dual_fmac_f32 v17, v1, v16 :: v_dual_fmac_f32 v68, v1, v18
	s_wait_dscnt 0x0
	v_dual_fma_f32 v0, v0, v18, -v8 :: v_dual_mul_f32 v8, v7, v13
	s_delay_alu instid0(VALU_DEP_3) | instskip(NEXT) | instid1(VALU_DEP_3)
	v_add_f32_e32 v5, v10, v5
	v_dual_add_f32 v70, v9, v17 :: v_dual_add_f32 v55, v55, v74
	s_delay_alu instid0(VALU_DEP_3) | instskip(NEXT) | instid1(VALU_DEP_4)
	v_add_f32_e32 v0, v11, v0
	v_dual_fma_f32 v1, v6, v12, -v8 :: v_dual_mul_f32 v72, v6, v13
	ds_load_b128 v[8:11], v63 offset:160
	ds_load_2addr_b64 v[16:19], v71 offset0:128 offset1:144
	v_dual_mul_f32 v74, v7, v15 :: v_dual_add_f32 v66, v66, v68
	v_dual_mul_f32 v68, v6, v15 :: v_dual_fmac_f32 v72, v7, v12
	s_delay_alu instid0(VALU_DEP_2) | instskip(SKIP_1) | instid1(VALU_DEP_3)
	v_dual_add_f32 v1, v64, v1 :: v_dual_fma_f32 v6, v6, v14, -v74
	v_dual_mul_f32 v64, v3, v13 :: v_dual_mul_f32 v13, v2, v13
	v_add_f32_e32 v55, v55, v72
	ds_load_b128 v[74:77], v63 offset:4256
	v_dual_add_f32 v72, v4, v6 :: v_dual_fma_f32 v4, v2, v12, -v64
	v_mul_f32_e32 v6, v3, v15
	v_fmac_f32_e32 v68, v7, v14
	v_fmac_f32_e32 v13, v3, v12
	s_delay_alu instid0(VALU_DEP_3) | instskip(NEXT) | instid1(VALU_DEP_3)
	v_dual_add_f32 v64, v5, v4 :: v_dual_fma_f32 v12, v2, v14, -v6
	v_add_f32_e32 v62, v62, v68
	s_wait_dscnt 0x1
	v_dual_mul_f32 v2, v2, v15 :: v_dual_mul_f32 v15, v9, v17
	v_add_f32_e32 v68, v70, v13
	v_mul_f32_e32 v70, v8, v17
	s_delay_alu instid0(VALU_DEP_3) | instskip(NEXT) | instid1(VALU_DEP_4)
	v_dual_add_f32 v78, v0, v12 :: v_dual_fmac_f32 v2, v3, v14
	v_fma_f32 v0, v8, v16, -v15
	ds_load_2addr_b64 v[12:15], v71 offset0:160 offset1:176
	v_mul_f32_e32 v3, v9, v19
	ds_load_b128 v[4:7], v63 offset:176
	v_dual_fmac_f32 v70, v9, v16 :: v_dual_mul_f32 v80, v8, v19
	v_dual_add_f32 v66, v66, v2 :: v_dual_add_f32 v79, v1, v0
	v_fma_f32 v8, v8, v18, -v3
	s_delay_alu instid0(VALU_DEP_3) | instskip(SKIP_2) | instid1(VALU_DEP_3)
	v_add_f32_e32 v55, v55, v70
	s_wait_dscnt 0x2
	v_dual_mul_f32 v70, v75, v17 :: v_dual_fmac_f32 v80, v9, v18
	v_dual_mul_f32 v9, v74, v17 :: v_dual_add_f32 v8, v72, v8
	s_delay_alu instid0(VALU_DEP_2) | instskip(NEXT) | instid1(VALU_DEP_2)
	v_dual_mul_f32 v17, v75, v19 :: v_dual_fma_f32 v70, v74, v16, -v70
	v_dual_mul_f32 v72, v74, v19 :: v_dual_fmac_f32 v9, v75, v16
	s_delay_alu instid0(VALU_DEP_4) | instskip(NEXT) | instid1(VALU_DEP_3)
	v_add_f32_e32 v62, v62, v80
	v_fma_f32 v16, v74, v18, -v17
	s_wait_dscnt 0x1
	v_dual_add_f32 v64, v64, v70 :: v_dual_mul_f32 v17, v11, v13
	v_dual_add_f32 v9, v68, v9 :: v_dual_fmac_f32 v72, v75, v18
	s_delay_alu instid0(VALU_DEP_3) | instskip(NEXT) | instid1(VALU_DEP_3)
	v_add_f32_e32 v68, v78, v16
	v_dual_mul_f32 v70, v10, v13 :: v_dual_fma_f32 v74, v10, v12, -v17
	ds_load_2addr_b64 v[16:19], v71 offset0:192 offset1:208
	v_dual_mul_f32 v75, v11, v15 :: v_dual_add_f32 v66, v66, v72
	v_fmac_f32_e32 v70, v11, v12
	v_dual_add_f32 v72, v79, v74 :: v_dual_mul_f32 v74, v10, v15
	s_delay_alu instid0(VALU_DEP_3)
	v_dual_fma_f32 v10, v10, v14, -v75 :: v_dual_mul_f32 v75, v77, v13
	v_mul_f32_e32 v13, v76, v13
	ds_load_b128 v[0:3], v63 offset:4272
	v_fmac_f32_e32 v74, v11, v14
	v_add_f32_e32 v55, v55, v70
	v_dual_add_f32 v8, v8, v10 :: v_dual_mul_f32 v11, v77, v15
	v_dual_fma_f32 v10, v76, v12, -v75 :: v_dual_fmac_f32 v13, v77, v12
	s_delay_alu instid0(VALU_DEP_4) | instskip(NEXT) | instid1(VALU_DEP_3)
	v_dual_add_f32 v62, v62, v74 :: v_dual_mul_f32 v70, v76, v15
	v_fma_f32 v11, v76, v14, -v11
	s_delay_alu instid0(VALU_DEP_3)
	v_dual_add_f32 v10, v64, v10 :: v_dual_add_f32 v9, v9, v13
	s_wait_dscnt 0x1
	v_mul_f32_e32 v64, v5, v17
	v_dual_fmac_f32 v70, v77, v14 :: v_dual_mul_f32 v74, v4, v17
	ds_load_2addr_b64 v[12:15], v71 offset0:224 offset1:240
	v_add_f32_e32 v11, v68, v11
	v_dual_fma_f32 v64, v4, v16, -v64 :: v_dual_mul_f32 v68, v5, v19
	v_dual_mul_f32 v75, v4, v19 :: v_dual_add_f32 v66, v66, v70
	v_fmac_f32_e32 v74, v5, v16
	s_delay_alu instid0(VALU_DEP_3) | instskip(NEXT) | instid1(VALU_DEP_3)
	v_add_f32_e32 v64, v72, v64
	v_dual_fma_f32 v4, v4, v18, -v68 :: v_dual_fmac_f32 v75, v5, v18
	s_wait_dscnt 0x1
	v_dual_mul_f32 v5, v1, v17 :: v_dual_mul_f32 v17, v0, v17
	v_mul_f32_e32 v68, v0, v19
	s_delay_alu instid0(VALU_DEP_3) | instskip(NEXT) | instid1(VALU_DEP_3)
	v_dual_add_f32 v4, v8, v4 :: v_dual_mul_f32 v8, v1, v19
	v_dual_add_f32 v62, v62, v75 :: v_dual_fma_f32 v5, v0, v16, -v5
	s_delay_alu instid0(VALU_DEP_3) | instskip(SKIP_1) | instid1(VALU_DEP_3)
	v_dual_fmac_f32 v17, v1, v16 :: v_dual_fmac_f32 v68, v1, v18
	s_wait_dscnt 0x0
	v_dual_fma_f32 v0, v0, v18, -v8 :: v_dual_mul_f32 v8, v7, v13
	s_delay_alu instid0(VALU_DEP_3) | instskip(NEXT) | instid1(VALU_DEP_3)
	v_add_f32_e32 v5, v10, v5
	v_dual_add_f32 v70, v9, v17 :: v_dual_add_f32 v55, v55, v74
	s_delay_alu instid0(VALU_DEP_3) | instskip(NEXT) | instid1(VALU_DEP_4)
	v_add_f32_e32 v0, v11, v0
	v_dual_fma_f32 v1, v6, v12, -v8 :: v_dual_mul_f32 v72, v6, v13
	ds_load_b128 v[8:11], v63 offset:192
	ds_load_2addr_b64 v[16:19], v73 offset1:16
	v_dual_mul_f32 v74, v7, v15 :: v_dual_add_f32 v66, v66, v68
	v_dual_mul_f32 v68, v6, v15 :: v_dual_fmac_f32 v72, v7, v12
	s_delay_alu instid0(VALU_DEP_2) | instskip(SKIP_1) | instid1(VALU_DEP_3)
	v_dual_add_f32 v1, v64, v1 :: v_dual_fma_f32 v6, v6, v14, -v74
	v_dual_mul_f32 v64, v3, v13 :: v_dual_mul_f32 v13, v2, v13
	v_add_f32_e32 v55, v55, v72
	ds_load_b128 v[74:77], v63 offset:4288
	v_dual_add_f32 v72, v4, v6 :: v_dual_fma_f32 v4, v2, v12, -v64
	v_mul_f32_e32 v6, v3, v15
	v_fmac_f32_e32 v68, v7, v14
	v_fmac_f32_e32 v13, v3, v12
	s_delay_alu instid0(VALU_DEP_3) | instskip(NEXT) | instid1(VALU_DEP_3)
	v_dual_add_f32 v64, v5, v4 :: v_dual_fma_f32 v12, v2, v14, -v6
	v_add_f32_e32 v62, v62, v68
	s_wait_dscnt 0x1
	v_dual_mul_f32 v2, v2, v15 :: v_dual_mul_f32 v15, v9, v17
	v_add_f32_e32 v68, v70, v13
	v_mul_f32_e32 v70, v8, v17
	s_delay_alu instid0(VALU_DEP_3) | instskip(NEXT) | instid1(VALU_DEP_4)
	v_dual_add_f32 v78, v0, v12 :: v_dual_fmac_f32 v2, v3, v14
	v_fma_f32 v0, v8, v16, -v15
	ds_load_2addr_b64 v[12:15], v73 offset0:32 offset1:48
	v_mul_f32_e32 v3, v9, v19
	ds_load_b128 v[4:7], v63 offset:208
	v_dual_fmac_f32 v70, v9, v16 :: v_dual_mul_f32 v80, v8, v19
	v_dual_add_f32 v66, v66, v2 :: v_dual_add_f32 v79, v1, v0
	v_fma_f32 v8, v8, v18, -v3
	s_delay_alu instid0(VALU_DEP_3) | instskip(SKIP_2) | instid1(VALU_DEP_3)
	v_add_f32_e32 v55, v55, v70
	s_wait_dscnt 0x2
	v_dual_mul_f32 v70, v75, v17 :: v_dual_fmac_f32 v80, v9, v18
	v_dual_mul_f32 v9, v74, v17 :: v_dual_add_f32 v8, v72, v8
	s_delay_alu instid0(VALU_DEP_2) | instskip(NEXT) | instid1(VALU_DEP_2)
	v_dual_mul_f32 v17, v75, v19 :: v_dual_fma_f32 v70, v74, v16, -v70
	v_dual_mul_f32 v72, v74, v19 :: v_dual_fmac_f32 v9, v75, v16
	s_delay_alu instid0(VALU_DEP_4) | instskip(NEXT) | instid1(VALU_DEP_3)
	v_add_f32_e32 v62, v62, v80
	v_fma_f32 v16, v74, v18, -v17
	s_wait_dscnt 0x1
	v_dual_add_f32 v64, v64, v70 :: v_dual_mul_f32 v17, v11, v13
	v_dual_add_f32 v9, v68, v9 :: v_dual_fmac_f32 v72, v75, v18
	s_delay_alu instid0(VALU_DEP_3) | instskip(NEXT) | instid1(VALU_DEP_3)
	v_add_f32_e32 v68, v78, v16
	v_dual_mul_f32 v70, v10, v13 :: v_dual_fma_f32 v74, v10, v12, -v17
	ds_load_2addr_b64 v[16:19], v73 offset0:64 offset1:80
	v_dual_mul_f32 v75, v11, v15 :: v_dual_add_f32 v66, v66, v72
	v_fmac_f32_e32 v70, v11, v12
	v_dual_add_f32 v72, v79, v74 :: v_dual_mul_f32 v74, v10, v15
	s_delay_alu instid0(VALU_DEP_3)
	v_dual_fma_f32 v10, v10, v14, -v75 :: v_dual_mul_f32 v75, v77, v13
	v_mul_f32_e32 v13, v76, v13
	ds_load_b128 v[0:3], v63 offset:4304
	v_fmac_f32_e32 v74, v11, v14
	v_add_f32_e32 v55, v55, v70
	v_dual_add_f32 v8, v8, v10 :: v_dual_mul_f32 v11, v77, v15
	v_dual_fma_f32 v10, v76, v12, -v75 :: v_dual_fmac_f32 v13, v77, v12
	s_delay_alu instid0(VALU_DEP_4) | instskip(NEXT) | instid1(VALU_DEP_3)
	v_dual_add_f32 v62, v62, v74 :: v_dual_mul_f32 v70, v76, v15
	v_fma_f32 v11, v76, v14, -v11
	s_delay_alu instid0(VALU_DEP_3)
	v_dual_add_f32 v10, v64, v10 :: v_dual_add_f32 v9, v9, v13
	s_wait_dscnt 0x1
	v_mul_f32_e32 v64, v5, v17
	v_dual_fmac_f32 v70, v77, v14 :: v_dual_mul_f32 v74, v4, v17
	ds_load_2addr_b64 v[12:15], v73 offset0:96 offset1:112
	v_add_f32_e32 v11, v68, v11
	v_dual_fma_f32 v64, v4, v16, -v64 :: v_dual_mul_f32 v68, v5, v19
	v_dual_mul_f32 v75, v4, v19 :: v_dual_add_f32 v66, v66, v70
	v_fmac_f32_e32 v74, v5, v16
	s_delay_alu instid0(VALU_DEP_3) | instskip(NEXT) | instid1(VALU_DEP_3)
	v_add_f32_e32 v64, v72, v64
	v_dual_fma_f32 v4, v4, v18, -v68 :: v_dual_fmac_f32 v75, v5, v18
	s_wait_dscnt 0x1
	v_dual_mul_f32 v5, v1, v17 :: v_dual_mul_f32 v17, v0, v17
	v_mul_f32_e32 v68, v0, v19
	s_delay_alu instid0(VALU_DEP_3) | instskip(NEXT) | instid1(VALU_DEP_3)
	v_dual_add_f32 v4, v8, v4 :: v_dual_mul_f32 v8, v1, v19
	v_dual_add_f32 v62, v62, v75 :: v_dual_fma_f32 v5, v0, v16, -v5
	s_delay_alu instid0(VALU_DEP_3) | instskip(SKIP_1) | instid1(VALU_DEP_3)
	v_dual_fmac_f32 v17, v1, v16 :: v_dual_fmac_f32 v68, v1, v18
	s_wait_dscnt 0x0
	v_dual_fma_f32 v0, v0, v18, -v8 :: v_dual_mul_f32 v8, v7, v13
	s_delay_alu instid0(VALU_DEP_3) | instskip(NEXT) | instid1(VALU_DEP_3)
	v_add_f32_e32 v5, v10, v5
	v_dual_add_f32 v70, v9, v17 :: v_dual_add_f32 v55, v55, v74
	s_delay_alu instid0(VALU_DEP_3) | instskip(NEXT) | instid1(VALU_DEP_4)
	v_add_f32_e32 v0, v11, v0
	v_dual_fma_f32 v1, v6, v12, -v8 :: v_dual_mul_f32 v72, v6, v13
	ds_load_b128 v[8:11], v63 offset:224
	ds_load_2addr_b64 v[16:19], v73 offset0:128 offset1:144
	v_dual_mul_f32 v74, v7, v15 :: v_dual_add_f32 v66, v66, v68
	v_dual_mul_f32 v68, v6, v15 :: v_dual_fmac_f32 v72, v7, v12
	s_delay_alu instid0(VALU_DEP_2) | instskip(SKIP_1) | instid1(VALU_DEP_3)
	v_dual_add_f32 v64, v64, v1 :: v_dual_fma_f32 v6, v6, v14, -v74
	v_mul_f32_e32 v1, v3, v13
	v_dual_fmac_f32 v68, v7, v14 :: v_dual_mul_f32 v13, v2, v13
	s_delay_alu instid0(VALU_DEP_3) | instskip(NEXT) | instid1(VALU_DEP_3)
	v_dual_add_f32 v55, v55, v72 :: v_dual_add_f32 v72, v4, v6
	v_dual_fma_f32 v1, v2, v12, -v1 :: v_dual_mul_f32 v4, v3, v15
	ds_load_b128 v[74:77], v63 offset:4320
	v_add_f32_e32 v62, v62, v68
	v_dual_fmac_f32 v13, v3, v12 :: v_dual_mul_f32 v12, v2, v15
	v_dual_add_f32 v68, v5, v1 :: v_dual_fma_f32 v1, v2, v14, -v4
	s_wait_dscnt 0x1
	v_dual_mul_f32 v79, v8, v17 :: v_dual_mul_f32 v2, v9, v17
	s_delay_alu instid0(VALU_DEP_3) | instskip(NEXT) | instid1(VALU_DEP_3)
	v_dual_add_f32 v70, v70, v13 :: v_dual_fmac_f32 v12, v3, v14
	v_dual_add_f32 v78, v0, v1 :: v_dual_mul_f32 v14, v9, v19
	s_delay_alu instid0(VALU_DEP_3)
	v_dual_fma_f32 v13, v8, v16, -v2 :: v_dual_fmac_f32 v79, v9, v16
	ds_load_2addr_b64 v[0:3], v73 offset0:160 offset1:176
	ds_load_b128 v[4:7], v63 offset:240
	v_dual_mul_f32 v80, v8, v19 :: v_dual_fma_f32 v8, v8, v18, -v14
	v_dual_add_f32 v55, v55, v79 :: v_dual_add_f32 v66, v66, v12
	v_add_f32_e32 v64, v64, v13
	s_wait_dscnt 0x2
	s_delay_alu instid0(VALU_DEP_3) | instskip(SKIP_1) | instid1(VALU_DEP_2)
	v_dual_mul_f32 v81, v75, v17 :: v_dual_fmac_f32 v80, v9, v18
	v_dual_mul_f32 v9, v74, v17 :: v_dual_add_f32 v8, v72, v8
	v_dual_mul_f32 v72, v75, v19 :: v_dual_fma_f32 v17, v74, v16, -v81
	v_mul_f32_e32 v79, v74, v19
	s_delay_alu instid0(VALU_DEP_4) | instskip(NEXT) | instid1(VALU_DEP_3)
	v_add_f32_e32 v62, v62, v80
	v_dual_fmac_f32 v9, v75, v16 :: v_dual_fma_f32 v16, v74, v18, -v72
	s_delay_alu instid0(VALU_DEP_3)
	v_dual_add_f32 v68, v68, v17 :: v_dual_fmac_f32 v79, v75, v18
	ds_load_b128 v[12:15], v63 offset:4336
	s_wait_dscnt 0x2
	v_mul_f32_e32 v17, v11, v1
	v_add_f32_e32 v9, v70, v9
	v_mul_f32_e32 v70, v10, v1
	v_dual_add_f32 v72, v78, v16 :: v_dual_mul_f32 v75, v11, v3
	s_delay_alu instid0(VALU_DEP_4) | instskip(SKIP_4) | instid1(VALU_DEP_3)
	v_fma_f32 v74, v10, v0, -v17
	ds_load_2addr_b64 v[16:19], v73 offset0:192 offset1:208
	v_dual_fmac_f32 v70, v11, v0 :: v_dual_add_f32 v66, v66, v79
	v_dual_add_f32 v64, v64, v74 :: v_dual_mul_f32 v74, v10, v3
	v_fma_f32 v10, v10, v2, -v75
	v_dual_add_f32 v55, v55, v70 :: v_dual_mul_f32 v70, v77, v1
	s_delay_alu instid0(VALU_DEP_3) | instskip(NEXT) | instid1(VALU_DEP_3)
	v_dual_mul_f32 v1, v76, v1 :: v_dual_fmac_f32 v74, v11, v2
	v_dual_add_f32 v8, v8, v10 :: v_dual_mul_f32 v10, v77, v3
	s_delay_alu instid0(VALU_DEP_2) | instskip(NEXT) | instid1(VALU_DEP_3)
	v_dual_fma_f32 v11, v76, v0, -v70 :: v_dual_fmac_f32 v1, v77, v0
	v_dual_add_f32 v62, v62, v74 :: v_dual_mul_f32 v70, v76, v3
	s_delay_alu instid0(VALU_DEP_3) | instskip(NEXT) | instid1(VALU_DEP_3)
	v_fma_f32 v0, v76, v2, -v10
	v_dual_add_f32 v10, v68, v11 :: v_dual_add_f32 v9, v9, v1
	s_wait_dscnt 0x0
	v_mul_f32_e32 v11, v5, v17
	s_delay_alu instid0(VALU_DEP_3) | instskip(SKIP_3) | instid1(VALU_DEP_2)
	v_dual_fmac_f32 v70, v77, v2 :: v_dual_add_f32 v68, v72, v0
	ds_load_2addr_b64 v[0:3], v73 offset0:224 offset1:240
	v_dual_mul_f32 v72, v4, v17 :: v_dual_fma_f32 v11, v4, v16, -v11
	v_dual_add_f32 v66, v66, v70 :: v_dual_mul_f32 v70, v5, v19
	v_dual_mul_f32 v74, v4, v19 :: v_dual_fmac_f32 v72, v5, v16
	s_delay_alu instid0(VALU_DEP_3) | instskip(NEXT) | instid1(VALU_DEP_3)
	v_dual_add_f32 v11, v64, v11 :: v_dual_mul_f32 v64, v13, v17
	v_fma_f32 v4, v4, v18, -v70
	s_delay_alu instid0(VALU_DEP_3) | instskip(NEXT) | instid1(VALU_DEP_4)
	v_dual_fmac_f32 v74, v5, v18 :: v_dual_mul_f32 v5, v12, v17
	v_add_f32_e32 v55, v55, v72
	s_delay_alu instid0(VALU_DEP_4) | instskip(NEXT) | instid1(VALU_DEP_3)
	v_fma_f32 v17, v12, v16, -v64
	v_dual_add_f32 v4, v8, v4 :: v_dual_add_f32 v62, v62, v74
	s_delay_alu instid0(VALU_DEP_4) | instskip(NEXT) | instid1(VALU_DEP_3)
	v_dual_mul_f32 v8, v13, v19 :: v_dual_fmac_f32 v5, v13, v16
	v_dual_add_f32 v10, v10, v17 :: v_dual_mul_f32 v16, v12, v19
	s_wait_dscnt 0x0
	s_delay_alu instid0(VALU_DEP_2) | instskip(SKIP_2) | instid1(VALU_DEP_3)
	v_dual_mul_f32 v17, v6, v1 :: v_dual_fma_f32 v8, v12, v18, -v8
	v_mul_f32_e32 v12, v7, v1
	v_add_f32_e32 v5, v9, v5
	v_dual_fmac_f32 v16, v13, v18 :: v_dual_fmac_f32 v17, v7, v0
	s_delay_alu instid0(VALU_DEP_4) | instskip(NEXT) | instid1(VALU_DEP_4)
	v_add_f32_e32 v8, v68, v8
	v_dual_fma_f32 v9, v6, v0, -v12 :: v_dual_mul_f32 v12, v7, v3
	v_mul_f32_e32 v13, v6, v3
	s_delay_alu instid0(VALU_DEP_4) | instskip(NEXT) | instid1(VALU_DEP_3)
	v_dual_add_f32 v16, v66, v16 :: v_dual_add_f32 v72, v55, v17
	v_dual_add_f32 v70, v11, v9 :: v_dual_fma_f32 v6, v6, v2, -v12
	s_delay_alu instid0(VALU_DEP_3) | instskip(SKIP_2) | instid1(VALU_DEP_2)
	v_fmac_f32_e32 v13, v7, v2
	v_dual_mul_f32 v7, v15, v1 :: v_dual_mul_f32 v1, v14, v1
	v_dual_mul_f32 v9, v15, v3 :: v_dual_mul_f32 v3, v14, v3
	v_dual_add_f32 v66, v4, v6 :: v_dual_fma_f32 v4, v14, v0, -v7
	s_delay_alu instid0(VALU_DEP_3) | instskip(NEXT) | instid1(VALU_DEP_3)
	v_fmac_f32_e32 v1, v15, v0
	v_dual_fmac_f32 v3, v15, v2 :: v_dual_fma_f32 v0, v14, v2, -v9
	s_barrier_signal -1
	s_delay_alu instid0(VALU_DEP_2) | instskip(SKIP_1) | instid1(VALU_DEP_3)
	v_add_f32_e32 v64, v5, v1
	v_add_f32_e32 v68, v62, v13
	v_dual_add_f32 v62, v10, v4 :: v_dual_add_f32 v16, v16, v3
	v_add_f32_e32 v18, v8, v0
	s_barrier_wait -1
	s_cbranch_scc1 .LBB79_54
.LBB79_10:                              ;   Parent Loop BB79_4 Depth=1
                                        ;     Parent Loop BB79_7 Depth=2
                                        ; =>    This Inner Loop Header: Depth=3
	v_add_nc_u64_e32 v[2:3], s[46:47], v[24:25]
	v_cmp_eq_u64_e64 s7, s[46:47], v[36:37]
	v_add_nc_u64_e32 v[0:1], s[28:29], v[52:53]
	s_delay_alu instid0(VALU_DEP_3) | instskip(SKIP_3) | instid1(SALU_CYCLE_1)
	v_cmp_le_i64_e64 s6, s[42:43], v[2:3]
	v_cmp_gt_i64_e64 s5, v[2:3], v[22:23]
	s_and_b32 s56, s52, s7
	s_or_b32 s7, s6, s5
	s_or_b32 s7, s7, s56
	s_delay_alu instid0(SALU_CYCLE_1) | instskip(NEXT) | instid1(SALU_CYCLE_1)
	s_nor_b32 s7, s0, s7
	s_and_saveexec_b32 s8, s7
	s_delay_alu instid0(SALU_CYCLE_1)
	s_xor_b32 s7, exec_lo, s8
	s_cbranch_execz .LBB79_12
; %bb.11:                               ;   in Loop: Header=BB79_10 Depth=3
	global_load_b64 v[4:5], v[0:1], off
	s_wait_loadcnt 0x0
	ds_store_b64 v65, v[4:5]
.LBB79_12:                              ;   in Loop: Header=BB79_10 Depth=3
	s_wait_xcnt 0x0
	s_or_saveexec_b32 s7, s7
	s_xor_b32 s55, s56, -1
	s_xor_b32 exec_lo, exec_lo, s7
	s_cbranch_execz .LBB79_18
; %bb.13:                               ;   in Loop: Header=BB79_10 Depth=3
	s_and_saveexec_b32 s8, s55
	s_delay_alu instid0(SALU_CYCLE_1)
	s_xor_b32 s8, exec_lo, s8
; %bb.14:                               ;   in Loop: Header=BB79_10 Depth=3
	ds_store_b64 v65, v[26:27]
; %bb.15:                               ;   in Loop: Header=BB79_10 Depth=3
	s_and_not1_saveexec_b32 s8, s8
; %bb.16:                               ;   in Loop: Header=BB79_10 Depth=3
	ds_store_b64 v65, v[28:29]
; %bb.17:                               ;   in Loop: Header=BB79_10 Depth=3
	s_or_b32 exec_lo, exec_lo, s8
.LBB79_18:                              ;   in Loop: Header=BB79_10 Depth=3
	s_delay_alu instid0(SALU_CYCLE_1)
	s_or_b32 exec_lo, exec_lo, s7
	v_cmp_eq_u64_e64 s7, s[46:47], v[40:41]
	v_cmp_lt_i64_e64 s8, v[34:35], v[2:3]
	v_add_nc_u64_e32 v[4:5], s[28:29], v[50:51]
	s_and_b32 s7, s52, s7
	s_or_b32 s6, s6, s8
	s_delay_alu instid0(SALU_CYCLE_1) | instskip(NEXT) | instid1(SALU_CYCLE_1)
	s_or_b32 s6, s6, s7
	s_nor_b32 s6, s3, s6
	s_delay_alu instid0(SALU_CYCLE_1) | instskip(NEXT) | instid1(SALU_CYCLE_1)
	s_and_saveexec_b32 s8, s6
	s_xor_b32 s6, exec_lo, s8
	s_cbranch_execz .LBB79_20
; %bb.19:                               ;   in Loop: Header=BB79_10 Depth=3
	global_load_b64 v[6:7], v[4:5], off
	s_wait_loadcnt 0x0
	ds_store_b64 v65, v[6:7] offset:128
.LBB79_20:                              ;   in Loop: Header=BB79_10 Depth=3
	s_wait_xcnt 0x0
	s_and_not1_saveexec_b32 s6, s6
	s_cbranch_execz .LBB79_26
; %bb.21:                               ;   in Loop: Header=BB79_10 Depth=3
	s_xor_b32 s7, s7, -1
	s_delay_alu instid0(SALU_CYCLE_1) | instskip(NEXT) | instid1(SALU_CYCLE_1)
	s_and_saveexec_b32 s8, s7
	s_xor_b32 s7, exec_lo, s8
; %bb.22:                               ;   in Loop: Header=BB79_10 Depth=3
	ds_store_b64 v65, v[26:27] offset:128
; %bb.23:                               ;   in Loop: Header=BB79_10 Depth=3
	s_and_not1_saveexec_b32 s7, s7
; %bb.24:                               ;   in Loop: Header=BB79_10 Depth=3
	ds_store_b64 v65, v[28:29] offset:128
; %bb.25:                               ;   in Loop: Header=BB79_10 Depth=3
	s_or_b32 exec_lo, exec_lo, s7
.LBB79_26:                              ;   in Loop: Header=BB79_10 Depth=3
	s_delay_alu instid0(SALU_CYCLE_1) | instskip(SKIP_2) | instid1(VALU_DEP_2)
	s_or_b32 exec_lo, exec_lo, s6
	v_add_nc_u64_e32 v[2:3], 16, v[2:3]
	v_cmp_eq_u64_e64 s7, s[46:47], v[42:43]
	v_cmp_le_i64_e64 s6, s[42:43], v[2:3]
	v_cmp_gt_i64_e64 s8, v[2:3], v[22:23]
	s_and_b32 s57, s52, s7
	s_or_b32 s7, s6, s8
	s_delay_alu instid0(SALU_CYCLE_1) | instskip(NEXT) | instid1(SALU_CYCLE_1)
	s_or_b32 s7, s7, s57
	s_nor_b32 s7, s0, s7
	s_delay_alu instid0(SALU_CYCLE_1) | instskip(NEXT) | instid1(SALU_CYCLE_1)
	s_and_saveexec_b32 s8, s7
	s_xor_b32 s7, exec_lo, s8
	s_cbranch_execz .LBB79_28
; %bb.27:                               ;   in Loop: Header=BB79_10 Depth=3
	global_load_b64 v[0:1], v[0:1], off offset:128
	s_wait_loadcnt 0x0
	ds_store_b64 v65, v[0:1] offset:4096
.LBB79_28:                              ;   in Loop: Header=BB79_10 Depth=3
	s_wait_xcnt 0x0
	s_and_not1_saveexec_b32 s7, s7
	s_cbranch_execz .LBB79_34
; %bb.29:                               ;   in Loop: Header=BB79_10 Depth=3
	s_xor_b32 s8, s57, -1
	s_delay_alu instid0(SALU_CYCLE_1) | instskip(NEXT) | instid1(SALU_CYCLE_1)
	s_and_saveexec_b32 s57, s8
	s_xor_b32 s8, exec_lo, s57
; %bb.30:                               ;   in Loop: Header=BB79_10 Depth=3
	ds_store_b64 v65, v[26:27] offset:4096
; %bb.31:                               ;   in Loop: Header=BB79_10 Depth=3
	s_and_not1_saveexec_b32 s8, s8
; %bb.32:                               ;   in Loop: Header=BB79_10 Depth=3
	ds_store_b64 v65, v[28:29] offset:4096
; %bb.33:                               ;   in Loop: Header=BB79_10 Depth=3
	s_or_b32 exec_lo, exec_lo, s8
.LBB79_34:                              ;   in Loop: Header=BB79_10 Depth=3
	s_delay_alu instid0(SALU_CYCLE_1) | instskip(SKIP_1) | instid1(SALU_CYCLE_1)
	s_or_b32 exec_lo, exec_lo, s7
	s_or_b32 s5, s6, s5
	s_or_b32 s5, s5, s56
	s_delay_alu instid0(SALU_CYCLE_1) | instskip(NEXT) | instid1(SALU_CYCLE_1)
	s_nor_b32 s5, s3, s5
	s_and_saveexec_b32 s6, s5
	s_delay_alu instid0(SALU_CYCLE_1)
	s_xor_b32 s5, exec_lo, s6
	s_cbranch_execz .LBB79_36
; %bb.35:                               ;   in Loop: Header=BB79_10 Depth=3
	global_load_b64 v[0:1], v[4:5], off offset:128
	s_wait_loadcnt 0x0
	ds_store_b64 v65, v[0:1] offset:4224
.LBB79_36:                              ;   in Loop: Header=BB79_10 Depth=3
	s_wait_xcnt 0x0
	s_and_not1_saveexec_b32 s5, s5
	s_cbranch_execz .LBB79_42
; %bb.37:                               ;   in Loop: Header=BB79_10 Depth=3
	s_and_saveexec_b32 s6, s55
	s_delay_alu instid0(SALU_CYCLE_1)
	s_xor_b32 s6, exec_lo, s6
; %bb.38:                               ;   in Loop: Header=BB79_10 Depth=3
	ds_store_b64 v65, v[26:27] offset:4224
; %bb.39:                               ;   in Loop: Header=BB79_10 Depth=3
	s_and_not1_saveexec_b32 s6, s6
; %bb.40:                               ;   in Loop: Header=BB79_10 Depth=3
	ds_store_b64 v65, v[28:29] offset:4224
; %bb.41:                               ;   in Loop: Header=BB79_10 Depth=3
	s_or_b32 exec_lo, exec_lo, s6
.LBB79_42:                              ;   in Loop: Header=BB79_10 Depth=3
	s_delay_alu instid0(SALU_CYCLE_1) | instskip(SKIP_3) | instid1(VALU_DEP_3)
	s_or_b32 exec_lo, exec_lo, s5
	v_add_nc_u64_e32 v[2:3], s[46:47], v[20:21]
	v_add_nc_u64_e32 v[0:1], s[28:29], v[58:59]
	v_dual_mov_b32 v4, 0 :: v_dual_mov_b32 v5, 0
	v_cmp_gt_i64_e64 s5, s[42:43], v[2:3]
	s_and_b32 s7, vcc_lo, s5
	s_delay_alu instid0(SALU_CYCLE_1)
	s_and_saveexec_b32 s6, s7
	s_cbranch_execz .LBB79_44
; %bb.43:                               ;   in Loop: Header=BB79_10 Depth=3
	global_load_b64 v[4:5], v[0:1], off
.LBB79_44:                              ;   in Loop: Header=BB79_10 Depth=3
	s_wait_xcnt 0x0
	s_or_b32 exec_lo, exec_lo, s6
	v_cmp_gt_i64_e64 s6, s[20:21], v[2:3]
	s_wait_loadcnt 0x0
	ds_store_b64 v67, v[4:5]
	s_and_b32 s7, vcc_lo, s6
	s_delay_alu instid0(SALU_CYCLE_1) | instskip(NEXT) | instid1(SALU_CYCLE_1)
	s_xor_b32 s7, s7, -1
	s_and_saveexec_b32 s8, s7
	s_delay_alu instid0(SALU_CYCLE_1)
	s_xor_b32 s7, exec_lo, s8
; %bb.45:                               ;   in Loop: Header=BB79_10 Depth=3
	ds_store_b64 v67, v[26:27] offset:128
                                        ; implicit-def: $vgpr0_vgpr1
; %bb.46:                               ;   in Loop: Header=BB79_10 Depth=3
	s_and_not1_saveexec_b32 s7, s7
	s_cbranch_execz .LBB79_48
; %bb.47:                               ;   in Loop: Header=BB79_10 Depth=3
	global_load_b64 v[0:1], v[0:1], off offset:128
	s_wait_loadcnt 0x0
	ds_store_b64 v67, v[0:1] offset:128
.LBB79_48:                              ;   in Loop: Header=BB79_10 Depth=3
	s_wait_xcnt 0x0
	s_or_b32 exec_lo, exec_lo, s7
	v_add_nc_u64_e32 v[0:1], s[28:29], v[60:61]
	v_dual_mov_b32 v2, 0 :: v_dual_mov_b32 v3, 0
	s_and_b32 s7, s4, s5
	s_delay_alu instid0(SALU_CYCLE_1)
	s_and_saveexec_b32 s5, s7
	s_cbranch_execz .LBB79_50
; %bb.49:                               ;   in Loop: Header=BB79_10 Depth=3
	global_load_b64 v[2:3], v[0:1], off
.LBB79_50:                              ;   in Loop: Header=BB79_10 Depth=3
	s_wait_xcnt 0x0
	s_or_b32 exec_lo, exec_lo, s5
	s_and_b32 s5, s4, s6
	s_wait_loadcnt 0x0
	ds_store_b64 v67, v[2:3] offset:4096
	s_xor_b32 s5, s5, -1
	s_delay_alu instid0(SALU_CYCLE_1) | instskip(NEXT) | instid1(SALU_CYCLE_1)
	s_and_saveexec_b32 s6, s5
	s_xor_b32 s5, exec_lo, s6
; %bb.51:                               ;   in Loop: Header=BB79_10 Depth=3
	ds_store_b64 v67, v[26:27] offset:4224
                                        ; implicit-def: $vgpr0_vgpr1
; %bb.52:                               ;   in Loop: Header=BB79_10 Depth=3
	s_and_not1_saveexec_b32 s5, s5
	s_cbranch_execz .LBB79_9
; %bb.53:                               ;   in Loop: Header=BB79_10 Depth=3
	global_load_b64 v[0:1], v[0:1], off offset:128
	s_wait_loadcnt 0x0
	ds_store_b64 v67, v[0:1] offset:4224
	s_branch .LBB79_9
.LBB79_54:                              ;   in Loop: Header=BB79_7 Depth=2
	v_mul_u64_e32 v[0:1], s[24:25], v[56:57]
	v_cmp_gt_i32_e32 vcc_lo, s30, v56
	s_and_b32 s5, s1, vcc_lo
	s_delay_alu instid0(VALU_DEP_2)
	v_lshl_add_u64 v[0:1], v[0:1], 3, s[22:23]
	s_and_saveexec_b32 s4, s5
	s_cbranch_execz .LBB79_56
; %bb.55:                               ;   in Loop: Header=BB79_7 Depth=2
	s_delay_alu instid0(VALU_DEP_1) | instskip(SKIP_4) | instid1(VALU_DEP_1)
	v_lshl_add_u64 v[2:3], v[22:23], 3, v[0:1]
	v_mov_b64_e32 v[6:7], s[40:41]
	v_mov_b64_e32 v[8:9], s[36:37]
	global_load_b64 v[4:5], v[2:3], off
	v_pk_mul_f32 v[6:7], v[72:73], v[6:7] op_sel_hi:[0,1]
	v_pk_fma_f32 v[10:11], v[70:71], v[8:9], v[6:7] op_sel_hi:[0,1,1]
	v_pk_fma_f32 v[6:7], v[70:71], v[8:9], v[6:7] neg_lo:[0,0,1] neg_hi:[0,0,1]
	s_delay_alu instid0(VALU_DEP_2) | instskip(SKIP_1) | instid1(VALU_DEP_1)
	v_mov_b32_e32 v7, v11
	s_wait_loadcnt 0x0
	v_pk_add_f32 v[4:5], v[4:5], v[6:7]
	global_store_b64 v[2:3], v[4:5], off
.LBB79_56:                              ;   in Loop: Header=BB79_7 Depth=2
	s_wait_xcnt 0x0
	s_or_b32 exec_lo, exec_lo, s4
	s_and_b32 s5, s2, vcc_lo
	s_delay_alu instid0(SALU_CYCLE_1)
	s_and_saveexec_b32 s4, s5
	s_cbranch_execz .LBB79_58
; %bb.57:                               ;   in Loop: Header=BB79_7 Depth=2
	v_lshl_add_u64 v[0:1], v[32:33], 3, v[0:1]
	v_mov_b64_e32 v[4:5], s[40:41]
	v_mov_b64_e32 v[6:7], s[36:37]
	global_load_b64 v[2:3], v[0:1], off
	v_pk_mul_f32 v[4:5], v[68:69], v[4:5] op_sel_hi:[0,1]
	s_delay_alu instid0(VALU_DEP_1) | instskip(SKIP_1) | instid1(VALU_DEP_2)
	v_pk_fma_f32 v[8:9], v[66:67], v[6:7], v[4:5] op_sel_hi:[0,1,1]
	v_pk_fma_f32 v[4:5], v[66:67], v[6:7], v[4:5] neg_lo:[0,0,1] neg_hi:[0,0,1]
	v_mov_b32_e32 v5, v9
	s_wait_loadcnt 0x0
	s_delay_alu instid0(VALU_DEP_1)
	v_pk_add_f32 v[2:3], v[2:3], v[4:5]
	global_store_b64 v[0:1], v[2:3], off
.LBB79_58:                              ;   in Loop: Header=BB79_7 Depth=2
	s_wait_xcnt 0x0
	s_or_b32 exec_lo, exec_lo, s4
	v_add_nc_u32_e32 v0, 16, v56
	s_delay_alu instid0(VALU_DEP_1) | instskip(SKIP_1) | instid1(VALU_DEP_2)
	v_ashrrev_i32_e32 v1, 31, v0
	v_cmp_gt_i32_e32 vcc_lo, s30, v0
	v_mul_u64_e32 v[2:3], s[24:25], v[0:1]
	s_and_b32 s5, s1, vcc_lo
	s_delay_alu instid0(VALU_DEP_1)
	v_lshl_add_u64 v[0:1], v[2:3], 3, s[22:23]
	s_and_saveexec_b32 s4, s5
	s_cbranch_execz .LBB79_60
; %bb.59:                               ;   in Loop: Header=BB79_7 Depth=2
	s_delay_alu instid0(VALU_DEP_1) | instskip(SKIP_4) | instid1(VALU_DEP_1)
	v_lshl_add_u64 v[2:3], v[22:23], 3, v[0:1]
	v_mov_b64_e32 v[6:7], s[40:41]
	v_mov_b64_e32 v[8:9], s[36:37]
	global_load_b64 v[4:5], v[2:3], off
	v_pk_mul_f32 v[6:7], v[64:65], v[6:7] op_sel_hi:[0,1]
	v_pk_fma_f32 v[10:11], v[62:63], v[8:9], v[6:7] op_sel_hi:[0,1,1]
	v_pk_fma_f32 v[6:7], v[62:63], v[8:9], v[6:7] neg_lo:[0,0,1] neg_hi:[0,0,1]
	s_delay_alu instid0(VALU_DEP_2) | instskip(SKIP_1) | instid1(VALU_DEP_1)
	v_mov_b32_e32 v7, v11
	s_wait_loadcnt 0x0
	v_pk_add_f32 v[4:5], v[4:5], v[6:7]
	global_store_b64 v[2:3], v[4:5], off
.LBB79_60:                              ;   in Loop: Header=BB79_7 Depth=2
	s_wait_xcnt 0x0
	s_or_b32 exec_lo, exec_lo, s4
	s_and_b32 s5, s2, vcc_lo
	s_delay_alu instid0(SALU_CYCLE_1)
	s_and_saveexec_b32 s4, s5
	s_cbranch_execz .LBB79_6
; %bb.61:                               ;   in Loop: Header=BB79_7 Depth=2
	v_lshl_add_u64 v[0:1], v[32:33], 3, v[0:1]
	v_mov_b64_e32 v[4:5], s[40:41]
	v_mov_b64_e32 v[6:7], s[36:37]
	global_load_b64 v[2:3], v[0:1], off
	v_pk_mul_f32 v[4:5], v[16:17], v[4:5] op_sel_hi:[0,1]
	s_delay_alu instid0(VALU_DEP_1) | instskip(SKIP_1) | instid1(VALU_DEP_2)
	v_pk_fma_f32 v[8:9], v[18:19], v[6:7], v[4:5] op_sel_hi:[0,1,1]
	v_pk_fma_f32 v[4:5], v[18:19], v[6:7], v[4:5] neg_lo:[0,0,1] neg_hi:[0,0,1]
	v_mov_b32_e32 v5, v9
	s_wait_loadcnt 0x0
	s_delay_alu instid0(VALU_DEP_1)
	v_pk_add_f32 v[2:3], v[2:3], v[4:5]
	global_store_b64 v[0:1], v[2:3], off
	s_branch .LBB79_6
.LBB79_62:
	s_sendmsg sendmsg(MSG_DEALLOC_VGPRS)
	s_endpgm
	.section	.rodata,"a",@progbits
	.p2align	6, 0x0
	.amdhsa_kernel _ZL30rocblas_trmm_outofplace_kernelI19rocblas_complex_numIfELi32ELi2ELb1ELb1ELb1ELb0ES1_KS1_S1_Ev17rocblas_diagonal_iiT6_lPT7_lllS6_lllPT8_llli
		.amdhsa_group_segment_fixed_size 16384
		.amdhsa_private_segment_fixed_size 0
		.amdhsa_kernarg_size 392
		.amdhsa_user_sgpr_count 2
		.amdhsa_user_sgpr_dispatch_ptr 0
		.amdhsa_user_sgpr_queue_ptr 0
		.amdhsa_user_sgpr_kernarg_segment_ptr 1
		.amdhsa_user_sgpr_dispatch_id 0
		.amdhsa_user_sgpr_kernarg_preload_length 0
		.amdhsa_user_sgpr_kernarg_preload_offset 0
		.amdhsa_user_sgpr_private_segment_size 0
		.amdhsa_wavefront_size32 1
		.amdhsa_uses_dynamic_stack 0
		.amdhsa_enable_private_segment 0
		.amdhsa_system_sgpr_workgroup_id_x 1
		.amdhsa_system_sgpr_workgroup_id_y 1
		.amdhsa_system_sgpr_workgroup_id_z 1
		.amdhsa_system_sgpr_workgroup_info 0
		.amdhsa_system_vgpr_workitem_id 1
		.amdhsa_next_free_vgpr 94
		.amdhsa_next_free_sgpr 58
		.amdhsa_named_barrier_count 0
		.amdhsa_reserve_vcc 1
		.amdhsa_float_round_mode_32 0
		.amdhsa_float_round_mode_16_64 0
		.amdhsa_float_denorm_mode_32 3
		.amdhsa_float_denorm_mode_16_64 3
		.amdhsa_fp16_overflow 0
		.amdhsa_memory_ordered 1
		.amdhsa_forward_progress 1
		.amdhsa_inst_pref_size 59
		.amdhsa_round_robin_scheduling 0
		.amdhsa_exception_fp_ieee_invalid_op 0
		.amdhsa_exception_fp_denorm_src 0
		.amdhsa_exception_fp_ieee_div_zero 0
		.amdhsa_exception_fp_ieee_overflow 0
		.amdhsa_exception_fp_ieee_underflow 0
		.amdhsa_exception_fp_ieee_inexact 0
		.amdhsa_exception_int_div_zero 0
	.end_amdhsa_kernel
	.section	.text._ZL30rocblas_trmm_outofplace_kernelI19rocblas_complex_numIfELi32ELi2ELb1ELb1ELb1ELb0ES1_KS1_S1_Ev17rocblas_diagonal_iiT6_lPT7_lllS6_lllPT8_llli,"axG",@progbits,_ZL30rocblas_trmm_outofplace_kernelI19rocblas_complex_numIfELi32ELi2ELb1ELb1ELb1ELb0ES1_KS1_S1_Ev17rocblas_diagonal_iiT6_lPT7_lllS6_lllPT8_llli,comdat
.Lfunc_end79:
	.size	_ZL30rocblas_trmm_outofplace_kernelI19rocblas_complex_numIfELi32ELi2ELb1ELb1ELb1ELb0ES1_KS1_S1_Ev17rocblas_diagonal_iiT6_lPT7_lllS6_lllPT8_llli, .Lfunc_end79-_ZL30rocblas_trmm_outofplace_kernelI19rocblas_complex_numIfELi32ELi2ELb1ELb1ELb1ELb0ES1_KS1_S1_Ev17rocblas_diagonal_iiT6_lPT7_lllS6_lllPT8_llli
                                        ; -- End function
	.set _ZL30rocblas_trmm_outofplace_kernelI19rocblas_complex_numIfELi32ELi2ELb1ELb1ELb1ELb0ES1_KS1_S1_Ev17rocblas_diagonal_iiT6_lPT7_lllS6_lllPT8_llli.num_vgpr, 94
	.set _ZL30rocblas_trmm_outofplace_kernelI19rocblas_complex_numIfELi32ELi2ELb1ELb1ELb1ELb0ES1_KS1_S1_Ev17rocblas_diagonal_iiT6_lPT7_lllS6_lllPT8_llli.num_agpr, 0
	.set _ZL30rocblas_trmm_outofplace_kernelI19rocblas_complex_numIfELi32ELi2ELb1ELb1ELb1ELb0ES1_KS1_S1_Ev17rocblas_diagonal_iiT6_lPT7_lllS6_lllPT8_llli.numbered_sgpr, 58
	.set _ZL30rocblas_trmm_outofplace_kernelI19rocblas_complex_numIfELi32ELi2ELb1ELb1ELb1ELb0ES1_KS1_S1_Ev17rocblas_diagonal_iiT6_lPT7_lllS6_lllPT8_llli.num_named_barrier, 0
	.set _ZL30rocblas_trmm_outofplace_kernelI19rocblas_complex_numIfELi32ELi2ELb1ELb1ELb1ELb0ES1_KS1_S1_Ev17rocblas_diagonal_iiT6_lPT7_lllS6_lllPT8_llli.private_seg_size, 0
	.set _ZL30rocblas_trmm_outofplace_kernelI19rocblas_complex_numIfELi32ELi2ELb1ELb1ELb1ELb0ES1_KS1_S1_Ev17rocblas_diagonal_iiT6_lPT7_lllS6_lllPT8_llli.uses_vcc, 1
	.set _ZL30rocblas_trmm_outofplace_kernelI19rocblas_complex_numIfELi32ELi2ELb1ELb1ELb1ELb0ES1_KS1_S1_Ev17rocblas_diagonal_iiT6_lPT7_lllS6_lllPT8_llli.uses_flat_scratch, 0
	.set _ZL30rocblas_trmm_outofplace_kernelI19rocblas_complex_numIfELi32ELi2ELb1ELb1ELb1ELb0ES1_KS1_S1_Ev17rocblas_diagonal_iiT6_lPT7_lllS6_lllPT8_llli.has_dyn_sized_stack, 0
	.set _ZL30rocblas_trmm_outofplace_kernelI19rocblas_complex_numIfELi32ELi2ELb1ELb1ELb1ELb0ES1_KS1_S1_Ev17rocblas_diagonal_iiT6_lPT7_lllS6_lllPT8_llli.has_recursion, 0
	.set _ZL30rocblas_trmm_outofplace_kernelI19rocblas_complex_numIfELi32ELi2ELb1ELb1ELb1ELb0ES1_KS1_S1_Ev17rocblas_diagonal_iiT6_lPT7_lllS6_lllPT8_llli.has_indirect_call, 0
	.section	.AMDGPU.csdata,"",@progbits
; Kernel info:
; codeLenInByte = 7504
; TotalNumSgprs: 60
; NumVgprs: 94
; ScratchSize: 0
; MemoryBound: 1
; FloatMode: 240
; IeeeMode: 1
; LDSByteSize: 16384 bytes/workgroup (compile time only)
; SGPRBlocks: 0
; VGPRBlocks: 5
; NumSGPRsForWavesPerEU: 60
; NumVGPRsForWavesPerEU: 94
; NamedBarCnt: 0
; Occupancy: 10
; WaveLimiterHint : 0
; COMPUTE_PGM_RSRC2:SCRATCH_EN: 0
; COMPUTE_PGM_RSRC2:USER_SGPR: 2
; COMPUTE_PGM_RSRC2:TRAP_HANDLER: 0
; COMPUTE_PGM_RSRC2:TGID_X_EN: 1
; COMPUTE_PGM_RSRC2:TGID_Y_EN: 1
; COMPUTE_PGM_RSRC2:TGID_Z_EN: 1
; COMPUTE_PGM_RSRC2:TIDIG_COMP_CNT: 1
	.section	.text._ZL30rocblas_trmm_outofplace_kernelI19rocblas_complex_numIfELi32ELi2ELb1ELb0ELb1ELb1EPKS1_S2_S1_Ev17rocblas_diagonal_iiT6_lPT7_lllS7_lllPT8_llli,"axG",@progbits,_ZL30rocblas_trmm_outofplace_kernelI19rocblas_complex_numIfELi32ELi2ELb1ELb0ELb1ELb1EPKS1_S2_S1_Ev17rocblas_diagonal_iiT6_lPT7_lllS7_lllPT8_llli,comdat
	.globl	_ZL30rocblas_trmm_outofplace_kernelI19rocblas_complex_numIfELi32ELi2ELb1ELb0ELb1ELb1EPKS1_S2_S1_Ev17rocblas_diagonal_iiT6_lPT7_lllS7_lllPT8_llli ; -- Begin function _ZL30rocblas_trmm_outofplace_kernelI19rocblas_complex_numIfELi32ELi2ELb1ELb0ELb1ELb1EPKS1_S2_S1_Ev17rocblas_diagonal_iiT6_lPT7_lllS7_lllPT8_llli
	.p2align	8
	.type	_ZL30rocblas_trmm_outofplace_kernelI19rocblas_complex_numIfELi32ELi2ELb1ELb0ELb1ELb1EPKS1_S2_S1_Ev17rocblas_diagonal_iiT6_lPT7_lllS7_lllPT8_llli,@function
_ZL30rocblas_trmm_outofplace_kernelI19rocblas_complex_numIfELi32ELi2ELb1ELb0ELb1ELb1EPKS1_S2_S1_Ev17rocblas_diagonal_iiT6_lPT7_lllS7_lllPT8_llli: ; @_ZL30rocblas_trmm_outofplace_kernelI19rocblas_complex_numIfELi32ELi2ELb1ELb0ELb1ELb1EPKS1_S2_S1_Ev17rocblas_diagonal_iiT6_lPT7_lllS7_lllPT8_llli
; %bb.0:
	s_load_b32 s11, s[0:1], 0x80
	s_bfe_u32 s2, ttmp6, 0x40014
	s_lshr_b32 s3, ttmp7, 16
	s_add_co_i32 s2, s2, 1
	s_bfe_u32 s5, ttmp6, 0x40008
	s_mul_i32 s2, s3, s2
	s_getreg_b32 s4, hwreg(HW_REG_IB_STS2, 6, 4)
	s_add_co_i32 s5, s5, s2
	s_cmp_eq_u32 s4, 0
	s_mov_b32 s35, 0
	s_cselect_b32 s34, s3, s5
	s_wait_kmcnt 0x0
	s_cmp_ge_u32 s34, s11
	s_cbranch_scc1 .LBB80_64
; %bb.1:
	s_clause 0x1
	s_load_b96 s[8:10], s[0:1], 0x0
	s_load_b256 s[36:43], s[0:1], 0x50
	s_bfe_u32 s3, ttmp6, 0x4000c
	s_and_b32 s2, ttmp6, 15
	s_add_co_i32 s3, s3, 1
	s_bfe_u32 s6, ttmp6, 0x40010
	s_mul_i32 s3, ttmp9, s3
	s_and_b32 s5, ttmp7, 0xffff
	s_add_co_i32 s6, s6, 1
	s_add_co_i32 s14, s2, s3
	s_bfe_u32 s7, ttmp6, 0x40004
	s_mul_i32 s6, s5, s6
	v_and_b32_e32 v8, 0x3ff, v0
	s_add_co_i32 s7, s7, s6
	v_bfe_u32 v55, v0, 10, 10
	s_load_b128 s[28:31], s[0:1], 0x70
	v_mov_b64_e32 v[18:19], 0
	v_mov_b64_e32 v[20:21], 0x3f800000
	s_delay_alu instid0(VALU_DEP_3) | instskip(SKIP_4) | instid1(SALU_CYCLE_1)
	v_lshlrev_b32_e32 v9, 8, v55
	s_wait_kmcnt 0x0
	s_add_co_i32 s12, s10, -1
	s_mov_b32 s44, s10
	s_ashr_i32 s13, s12, 31
	s_lshr_b32 s2, s13, 27
	v_add_nc_u32_e32 v59, 0x2000, v9
	s_add_co_i32 s12, s12, s2
	s_lshl_b64 s[2:3], s[42:43], 3
	s_ashr_i32 s33, s12, 5
	s_cmp_eq_u32 s4, 0
	s_add_nc_u64 s[40:41], s[40:41], s[2:3]
	s_cselect_b32 s48, s5, s7
	s_cselect_b32 s4, ttmp9, s14
	s_cmp_le_i32 s48, s33
	s_load_b512 s[12:27], s[0:1], 0x10
	s_cselect_b32 s49, -1, 0
	s_lshl_b32 s6, s4, 5
	s_delay_alu instid0(SALU_CYCLE_1) | instskip(SKIP_3) | instid1(VALU_DEP_2)
	v_dual_lshlrev_b32 v57, 3, v8 :: v_dual_add_nc_u32 v22, s6, v55
	v_add_nc_u32_e32 v16, s6, v8
	s_sub_co_i32 s50, s9, s6
	s_mov_b32 s42, s9
	v_add_nc_u32_e32 v61, v57, v9
	s_cmp_gt_i32 s50, 0
	v_ashrrev_i32_e32 v17, 31, v16
	s_cselect_b32 s51, -1, 0
	s_cmp_eq_u32 s8, 0x84
	v_dual_add_nc_u32 v63, v59, v57 :: v_dual_ashrrev_i32 v23, 31, v22
	s_delay_alu instid0(VALU_DEP_2)
	v_lshlrev_b64_e32 v[2:3], 3, v[16:17]
	s_cselect_b32 s52, -1, 0
	v_add_nc_u64_e32 v[26:27], 16, v[16:17]
	v_add_nc_u32_e32 v24, 16, v16
	s_ashr_i32 s43, s9, 31
	s_wait_kmcnt 0x0
	v_mul_u64_e32 v[6:7], s[20:21], v[16:17]
	s_lshl_b64 s[4:5], s[18:19], 3
	v_add_nc_u64_e32 v[4:5], 0x80, v[2:3]
	s_lshl_b64 s[2:3], s[26:27], 3
	v_sub_nc_u64_e32 v[28:29], v[16:17], v[22:23]
	s_add_nc_u64 s[18:19], s[0:1], 0x88
	v_cmp_le_i32_e64 s0, s9, v16
	v_cmp_gt_i32_e64 s1, s9, v16
	v_ashrrev_i32_e32 v25, 31, v24
	v_mad_nc_u64_u32 v[0:1], s20, v4, s[4:5]
	v_add_nc_u32_e32 v65, 0x800, v57
	v_add_nc_u32_e32 v66, 0x1000, v57
	;; [unrolled: 1-line block ×3, first 2 shown]
	s_ashr_i32 s45, s10, 31
	s_delay_alu instid0(VALU_DEP_4) | instskip(NEXT) | instid1(VALU_DEP_1)
	v_mad_u32 v1, s21, v4, v1
	v_mad_u32 v1, s20, v5, v1
	v_lshlrev_b64_e32 v[4:5], 3, v[22:23]
	v_lshl_add_u64 v[6:7], v[6:7], 3, s[4:5]
	s_add_nc_u64 s[4:5], s[24:25], s[2:3]
	v_cmp_le_i64_e64 s3, s[42:43], v[26:27]
	v_add_nc_u64_e32 v[30:31], s[4:5], v[2:3]
	v_cmp_gt_i32_e64 s2, s9, v24
	s_add_nc_u64 s[20:21], s[42:43], -16
	v_add_nc_u64_e32 v[6:7], v[6:7], v[4:5]
	s_lshl_b64 s[24:25], s[36:37], 3
	v_add_nc_u64_e32 v[0:1], v[0:1], v[4:5]
	s_delay_alu instid0(VALU_DEP_2) | instskip(NEXT) | instid1(VALU_DEP_2)
	v_add_nc_u64_e32 v[32:33], s[16:17], v[6:7]
	v_add_nc_u64_e32 v[34:35], s[16:17], v[0:1]
	s_lshl_b64 s[16:17], s[22:23], 3
	s_lshl_b64 s[22:23], s[38:39], 3
	s_branch .LBB80_4
.LBB80_2:                               ;   in Loop: Header=BB80_4 Depth=1
	s_add_co_i32 s34, s34, 0x10000
	s_delay_alu instid0(SALU_CYCLE_1)
	s_cmp_ge_u32 s34, s11
	s_cselect_b32 s4, -1, 0
.LBB80_3:                               ;   in Loop: Header=BB80_4 Depth=1
	s_delay_alu instid0(SALU_CYCLE_1)
	s_and_b32 vcc_lo, exec_lo, s4
	s_cbranch_vccnz .LBB80_64
.LBB80_4:                               ; =>This Loop Header: Depth=1
                                        ;     Child Loop BB80_8 Depth 2
                                        ;       Child Loop BB80_11 Depth 3
	s_mul_u64 s[4:5], s[14:15], s[34:35]
	v_mov_b32_e32 v0, 0
	s_lshl_b64 s[4:5], s[4:5], 3
	s_delay_alu instid0(SALU_CYCLE_1)
	s_add_nc_u64 s[4:5], s[12:13], s[4:5]
	global_load_b64 v[36:37], v0, s[4:5]
	s_wait_xcnt 0x0
	s_mov_b32 s4, -1
	s_wait_loadcnt 0x0
	v_or_b32_e32 v0, v36, v37
	s_delay_alu instid0(VALU_DEP_1) | instskip(NEXT) | instid1(VALU_DEP_1)
	v_and_b32_e32 v0, 0x7fffffff, v0
	v_cmp_eq_u32_e32 vcc_lo, 0, v0
	s_cbranch_vccnz .LBB80_3
; %bb.5:                                ;   in Loop: Header=BB80_4 Depth=1
	s_and_not1_b32 vcc_lo, exec_lo, s49
	s_cbranch_vccnz .LBB80_2
; %bb.6:                                ;   in Loop: Header=BB80_4 Depth=1
	s_load_b32 s9, s[18:19], 0x4
	v_mad_nc_u64_u32 v[38:39], s22, s34, v[30:31]
	v_mad_nc_u64_u32 v[40:41], s16, s34, v[34:35]
	;; [unrolled: 1-line block ×3, first 2 shown]
	s_mul_i32 s6, s17, s34
	s_mul_u64 s[4:5], s[30:31], s[34:35]
	v_lshl_add_u32 v46, s48, 5, v55
	v_dual_mov_b32 v44, v37 :: v_dual_mov_b32 v45, v36
	s_lshl_b64 s[4:5], s[4:5], 3
	s_mov_b32 s54, s48
	s_add_nc_u64 s[26:27], s[40:41], s[4:5]
	v_mad_u32 v39, s23, s34, v39
	s_delay_alu instid0(VALU_DEP_4)
	v_dual_add_nc_u32 v41, s6, v41 :: v_dual_add_nc_u32 v43, s6, v43
	s_wait_kmcnt 0x0
	s_lshl_b32 s53, s9, 5
	s_branch .LBB80_8
.LBB80_7:                               ;   in Loop: Header=BB80_8 Depth=2
	s_wait_xcnt 0x0
	s_or_b32 exec_lo, exec_lo, s4
	v_add_nc_u32_e32 v46, s53, v46
	s_add_co_i32 s54, s9, s54
	s_delay_alu instid0(SALU_CYCLE_1)
	s_cmp_gt_i32 s54, s33
	s_cbranch_scc1 .LBB80_2
.LBB80_8:                               ;   Parent Loop BB80_4 Depth=1
                                        ; =>  This Loop Header: Depth=2
                                        ;       Child Loop BB80_11 Depth 3
	v_lshl_add_u32 v48, s54, 5, v55
	s_and_not1_b32 vcc_lo, exec_lo, s51
	s_delay_alu instid0(VALU_DEP_1)
	v_ashrrev_i32_e32 v49, 31, v48
	s_cbranch_vccnz .LBB80_55
; %bb.9:                                ;   in Loop: Header=BB80_8 Depth=2
	v_dual_mov_b32 v12, 0 :: v_dual_ashrrev_i32 v47, 31, v46
	v_mad_nc_u64_u32 v[50:51], s24, v46, v[38:39]
	s_delay_alu instid0(VALU_DEP_3) | instskip(SKIP_1) | instid1(VALU_DEP_4)
	v_sub_nc_u64_e32 v[2:3], s[44:45], v[48:49]
	v_dual_mov_b32 v14, 0 :: v_dual_mov_b32 v56, 0
	v_lshl_add_u64 v[0:1], v[46:47], 3, 0x80
	v_dual_mov_b32 v54, 0 :: v_dual_mov_b32 v60, 0
	v_dual_mov_b32 v58, 0 :: v_dual_mov_b32 v64, 0
	s_delay_alu instid0(VALU_DEP_3)
	v_mad_nc_u64_u32 v[52:53], s36, v0, v[38:39]
	v_cmp_lt_i64_e64 s4, 16, v[2:3]
	v_mad_u32 v4, s25, v46, v51
	v_mov_b32_e32 v62, 0
	s_mov_b64 s[38:39], 0
	s_mov_b64 s[46:47], 0
	v_cmp_lt_i64_e32 vcc_lo, 0, v[2:3]
	v_mad_u32 v0, s37, v0, v53
	s_delay_alu instid0(VALU_DEP_4) | instskip(NEXT) | instid1(VALU_DEP_2)
	v_mad_u32 v51, s24, v47, v4
	v_mad_u32 v53, s36, v1, v0
	s_branch .LBB80_11
.LBB80_10:                              ;   in Loop: Header=BB80_11 Depth=3
	s_wait_xcnt 0x0
	s_or_b32 exec_lo, exec_lo, s5
	s_wait_dscnt 0x0
	s_barrier_signal -1
	s_barrier_wait -1
	ds_load_b128 v[68:71], v59
	ds_load_b128 v[8:11], v59 offset:16
	ds_load_b128 v[4:7], v59 offset:32
	;; [unrolled: 1-line block ×3, first 2 shown]
	ds_load_2addr_b64 v[72:75], v57 offset1:16
	ds_load_b128 v[76:79], v59 offset:4096
	s_add_nc_u64 s[46:47], s[46:47], 32
	s_add_nc_u64 s[38:39], s[38:39], 0x100
	s_cmp_ge_i32 s46, s50
	s_wait_dscnt 0x1
	v_dual_mul_f32 v13, v69, v73 :: v_dual_mul_f32 v15, v68, v73
	s_delay_alu instid0(VALU_DEP_1) | instskip(NEXT) | instid1(VALU_DEP_1)
	v_dual_fma_f32 v13, v68, v72, -v13 :: v_dual_fmac_f32 v15, v69, v72
	v_dual_add_f32 v47, v62, v13 :: v_dual_add_f32 v62, v64, v15
	v_dual_mul_f32 v13, v69, v75 :: v_dual_mul_f32 v15, v68, v75
	s_delay_alu instid0(VALU_DEP_1) | instskip(NEXT) | instid1(VALU_DEP_1)
	v_dual_fma_f32 v13, v68, v74, -v13 :: v_dual_fmac_f32 v15, v69, v74
	v_dual_add_f32 v58, v58, v13 :: v_dual_add_f32 v60, v60, v15
	s_wait_dscnt 0x0
	v_dual_mul_f32 v13, v77, v73 :: v_dual_mul_f32 v15, v76, v73
	s_delay_alu instid0(VALU_DEP_1) | instskip(NEXT) | instid1(VALU_DEP_1)
	v_dual_fma_f32 v13, v76, v72, -v13 :: v_dual_fmac_f32 v15, v77, v72
	v_dual_add_f32 v54, v54, v13 :: v_dual_add_f32 v56, v56, v15
	v_dual_mul_f32 v13, v77, v75 :: v_dual_mul_f32 v15, v76, v75
	s_delay_alu instid0(VALU_DEP_1) | instskip(NEXT) | instid1(VALU_DEP_1)
	v_dual_fma_f32 v13, v76, v74, -v13 :: v_dual_fmac_f32 v15, v77, v74
	v_dual_add_f32 v64, v14, v13 :: v_dual_add_f32 v68, v12, v15
	ds_load_2addr_b64 v[12:15], v57 offset0:32 offset1:48
	s_wait_dscnt 0x0
	v_dual_mul_f32 v69, v71, v13 :: v_dual_mul_f32 v72, v70, v13
	s_delay_alu instid0(VALU_DEP_1) | instskip(NEXT) | instid1(VALU_DEP_1)
	v_dual_fma_f32 v69, v70, v12, -v69 :: v_dual_fmac_f32 v72, v71, v12
	v_dual_add_f32 v47, v47, v69 :: v_dual_add_f32 v62, v62, v72
	v_mul_f32_e32 v69, v71, v15
	s_delay_alu instid0(VALU_DEP_1) | instskip(NEXT) | instid1(VALU_DEP_1)
	v_dual_fma_f32 v69, v70, v14, -v69 :: v_dual_mul_f32 v70, v70, v15
	v_dual_fmac_f32 v70, v71, v14 :: v_dual_add_f32 v58, v58, v69
	v_dual_mul_f32 v69, v79, v13 :: v_dual_mul_f32 v13, v78, v13
	s_delay_alu instid0(VALU_DEP_1) | instskip(NEXT) | instid1(VALU_DEP_2)
	v_dual_add_f32 v60, v60, v70 :: v_dual_fmac_f32 v13, v79, v12
	v_dual_fma_f32 v69, v78, v12, -v69 :: v_dual_mul_f32 v12, v79, v15
	s_delay_alu instid0(VALU_DEP_2) | instskip(NEXT) | instid1(VALU_DEP_2)
	v_dual_add_f32 v56, v56, v13 :: v_dual_mul_f32 v13, v78, v15
	v_fma_f32 v12, v78, v14, -v12
	s_delay_alu instid0(VALU_DEP_2) | instskip(NEXT) | instid1(VALU_DEP_1)
	v_dual_add_f32 v72, v54, v69 :: v_dual_fmac_f32 v13, v79, v14
	v_add_f32_e32 v73, v68, v13
	ds_load_2addr_b64 v[68:71], v57 offset0:64 offset1:80
	s_wait_dscnt 0x0
	v_dual_add_f32 v64, v64, v12 :: v_dual_mul_f32 v12, v9, v69
	s_delay_alu instid0(VALU_DEP_1) | instskip(NEXT) | instid1(VALU_DEP_1)
	v_dual_mul_f32 v13, v8, v69 :: v_dual_fma_f32 v12, v8, v68, -v12
	v_fmac_f32_e32 v13, v9, v68
	s_delay_alu instid0(VALU_DEP_1) | instskip(SKIP_1) | instid1(VALU_DEP_1)
	v_dual_add_f32 v47, v47, v12 :: v_dual_add_f32 v54, v62, v13
	v_dual_mul_f32 v12, v9, v71 :: v_dual_mul_f32 v13, v8, v71
	v_dual_fma_f32 v12, v8, v70, -v12 :: v_dual_fmac_f32 v13, v9, v70
	s_delay_alu instid0(VALU_DEP_1) | instskip(SKIP_3) | instid1(VALU_DEP_1)
	v_dual_add_f32 v8, v58, v12 :: v_dual_add_f32 v9, v60, v13
	ds_load_b128 v[12:15], v59 offset:4112
	s_wait_dscnt 0x0
	v_dual_mul_f32 v58, v13, v69 :: v_dual_mul_f32 v60, v12, v69
	v_dual_fma_f32 v58, v12, v68, -v58 :: v_dual_fmac_f32 v60, v13, v68
	s_delay_alu instid0(VALU_DEP_1) | instskip(NEXT) | instid1(VALU_DEP_2)
	v_add_f32_e32 v58, v72, v58
	v_dual_add_f32 v56, v56, v60 :: v_dual_mul_f32 v60, v13, v71
	s_delay_alu instid0(VALU_DEP_1) | instskip(NEXT) | instid1(VALU_DEP_1)
	v_dual_fma_f32 v60, v12, v70, -v60 :: v_dual_mul_f32 v12, v12, v71
	v_fmac_f32_e32 v12, v13, v70
	ds_load_2addr_b64 v[68:71], v57 offset0:96 offset1:112
	v_add_f32_e32 v13, v64, v60
	s_wait_dscnt 0x0
	v_dual_add_f32 v12, v73, v12 :: v_dual_mul_f32 v62, v10, v69
	s_delay_alu instid0(VALU_DEP_1) | instskip(NEXT) | instid1(VALU_DEP_1)
	v_dual_mul_f32 v60, v11, v69 :: v_dual_fmac_f32 v62, v11, v68
	v_fma_f32 v60, v10, v68, -v60
	s_delay_alu instid0(VALU_DEP_1) | instskip(SKIP_1) | instid1(VALU_DEP_1)
	v_dual_add_f32 v54, v54, v62 :: v_dual_add_f32 v47, v47, v60
	v_mul_f32_e32 v60, v11, v71
	v_dual_fma_f32 v60, v10, v70, -v60 :: v_dual_mul_f32 v10, v10, v71
	s_delay_alu instid0(VALU_DEP_1) | instskip(NEXT) | instid1(VALU_DEP_1)
	v_dual_fmac_f32 v10, v11, v70 :: v_dual_add_f32 v60, v8, v60
	v_dual_mul_f32 v8, v15, v69 :: v_dual_add_f32 v62, v9, v10
	s_delay_alu instid0(VALU_DEP_1) | instskip(NEXT) | instid1(VALU_DEP_1)
	v_dual_mul_f32 v9, v14, v69 :: v_dual_fma_f32 v8, v14, v68, -v8
	v_fmac_f32_e32 v9, v15, v68
	s_delay_alu instid0(VALU_DEP_2) | instskip(NEXT) | instid1(VALU_DEP_2)
	v_dual_add_f32 v58, v58, v8 :: v_dual_mul_f32 v8, v15, v71
	v_dual_add_f32 v56, v56, v9 :: v_dual_mul_f32 v9, v14, v71
	s_delay_alu instid0(VALU_DEP_1) | instskip(NEXT) | instid1(VALU_DEP_1)
	v_dual_fma_f32 v8, v14, v70, -v8 :: v_dual_fmac_f32 v9, v15, v70
	v_dual_add_f32 v64, v13, v8 :: v_dual_add_f32 v68, v12, v9
	ds_load_2addr_b64 v[8:11], v57 offset0:128 offset1:144
	s_wait_dscnt 0x0
	v_dual_mul_f32 v12, v5, v9 :: v_dual_mul_f32 v13, v4, v9
	s_delay_alu instid0(VALU_DEP_1) | instskip(NEXT) | instid1(VALU_DEP_1)
	v_dual_fma_f32 v12, v4, v8, -v12 :: v_dual_fmac_f32 v13, v5, v8
	v_dual_add_f32 v47, v47, v12 :: v_dual_add_f32 v54, v54, v13
	v_mul_f32_e32 v12, v5, v11
	s_delay_alu instid0(VALU_DEP_1) | instskip(NEXT) | instid1(VALU_DEP_1)
	v_dual_fma_f32 v12, v4, v10, -v12 :: v_dual_mul_f32 v4, v4, v11
	v_fmac_f32_e32 v4, v5, v10
	s_delay_alu instid0(VALU_DEP_1) | instskip(NEXT) | instid1(VALU_DEP_3)
	v_add_f32_e32 v4, v62, v4
	v_add_f32_e32 v5, v60, v12
	ds_load_b128 v[12:15], v59 offset:4128
	s_wait_dscnt 0x0
	v_dual_mul_f32 v60, v13, v9 :: v_dual_mul_f32 v9, v12, v9
	s_delay_alu instid0(VALU_DEP_1) | instskip(NEXT) | instid1(VALU_DEP_1)
	v_dual_fma_f32 v60, v12, v8, -v60 :: v_dual_fmac_f32 v9, v13, v8
	v_dual_mul_f32 v8, v13, v11 :: v_dual_add_f32 v58, v58, v60
	s_delay_alu instid0(VALU_DEP_2) | instskip(NEXT) | instid1(VALU_DEP_2)
	v_add_f32_e32 v56, v56, v9
	v_dual_mul_f32 v9, v12, v11 :: v_dual_fma_f32 v8, v12, v10, -v8
	s_delay_alu instid0(VALU_DEP_1) | instskip(NEXT) | instid1(VALU_DEP_1)
	v_dual_fmac_f32 v9, v13, v10 :: v_dual_add_f32 v12, v64, v8
	v_add_f32_e32 v13, v68, v9
	ds_load_2addr_b64 v[8:11], v57 offset0:160 offset1:176
	s_wait_dscnt 0x0
	v_mul_f32_e32 v60, v7, v9
	s_delay_alu instid0(VALU_DEP_1) | instskip(NEXT) | instid1(VALU_DEP_1)
	v_dual_fma_f32 v60, v6, v8, -v60 :: v_dual_mul_f32 v62, v6, v9
	v_add_f32_e32 v47, v47, v60
	s_delay_alu instid0(VALU_DEP_2) | instskip(NEXT) | instid1(VALU_DEP_1)
	v_dual_fmac_f32 v62, v7, v8 :: v_dual_mul_f32 v60, v7, v11
	v_dual_fma_f32 v60, v6, v10, -v60 :: v_dual_mul_f32 v6, v6, v11
	s_delay_alu instid0(VALU_DEP_1) | instskip(NEXT) | instid1(VALU_DEP_2)
	v_dual_add_f32 v54, v54, v62 :: v_dual_add_f32 v5, v5, v60
	v_dual_fmac_f32 v6, v7, v10 :: v_dual_mul_f32 v7, v14, v9
	s_delay_alu instid0(VALU_DEP_1) | instskip(NEXT) | instid1(VALU_DEP_1)
	v_dual_add_f32 v4, v4, v6 :: v_dual_mul_f32 v6, v15, v9
	v_dual_fmac_f32 v7, v15, v8 :: v_dual_fma_f32 v6, v14, v8, -v6
	s_delay_alu instid0(VALU_DEP_1) | instskip(SKIP_1) | instid1(VALU_DEP_3)
	v_add_f32_e32 v56, v56, v7
	v_mul_f32_e32 v7, v14, v11
	v_dual_add_f32 v58, v58, v6 :: v_dual_mul_f32 v6, v15, v11
	s_delay_alu instid0(VALU_DEP_1) | instskip(NEXT) | instid1(VALU_DEP_1)
	v_dual_fmac_f32 v7, v15, v10 :: v_dual_fma_f32 v6, v14, v10, -v6
	v_dual_add_f32 v15, v13, v7 :: v_dual_add_f32 v14, v12, v6
	ds_load_2addr_b64 v[10:13], v57 offset0:192 offset1:208
	s_wait_dscnt 0x0
	v_dual_mul_f32 v6, v1, v11 :: v_dual_mul_f32 v7, v0, v11
	s_delay_alu instid0(VALU_DEP_1) | instskip(NEXT) | instid1(VALU_DEP_1)
	v_dual_fma_f32 v6, v0, v10, -v6 :: v_dual_fmac_f32 v7, v1, v10
	v_dual_add_f32 v8, v47, v6 :: v_dual_add_f32 v9, v54, v7
	v_dual_mul_f32 v6, v1, v13 :: v_dual_mul_f32 v7, v0, v13
	s_delay_alu instid0(VALU_DEP_1) | instskip(NEXT) | instid1(VALU_DEP_1)
	v_dual_fma_f32 v6, v0, v12, -v6 :: v_dual_fmac_f32 v7, v1, v12
	v_dual_add_f32 v0, v5, v6 :: v_dual_add_f32 v1, v4, v7
	ds_load_b128 v[4:7], v59 offset:4144
	s_wait_dscnt 0x0
	v_dual_mul_f32 v47, v5, v11 :: v_dual_mul_f32 v11, v4, v11
	s_delay_alu instid0(VALU_DEP_1) | instskip(NEXT) | instid1(VALU_DEP_2)
	v_fma_f32 v47, v4, v10, -v47
	v_dual_fmac_f32 v11, v5, v10 :: v_dual_mul_f32 v10, v5, v13
	s_delay_alu instid0(VALU_DEP_1) | instskip(SKIP_1) | instid1(VALU_DEP_1)
	v_dual_add_f32 v47, v58, v47 :: v_dual_fma_f32 v10, v4, v12, -v10
	v_mul_f32_e32 v4, v4, v13
	v_dual_add_f32 v54, v56, v11 :: v_dual_fmac_f32 v4, v5, v12
	s_delay_alu instid0(VALU_DEP_3) | instskip(SKIP_4) | instid1(VALU_DEP_1)
	v_add_f32_e32 v5, v14, v10
	ds_load_2addr_b64 v[10:13], v57 offset0:224 offset1:240
	v_add_f32_e32 v4, v15, v4
	s_wait_dscnt 0x0
	v_dual_mul_f32 v14, v3, v11 :: v_dual_mul_f32 v15, v2, v11
	v_dual_fma_f32 v14, v2, v10, -v14 :: v_dual_fmac_f32 v15, v3, v10
	s_delay_alu instid0(VALU_DEP_1) | instskip(SKIP_1) | instid1(VALU_DEP_1)
	v_dual_add_f32 v8, v8, v14 :: v_dual_add_f32 v9, v9, v15
	v_mul_f32_e32 v14, v3, v13
	v_dual_fma_f32 v14, v2, v12, -v14 :: v_dual_mul_f32 v2, v2, v13
	s_delay_alu instid0(VALU_DEP_1) | instskip(NEXT) | instid1(VALU_DEP_1)
	v_fmac_f32_e32 v2, v3, v12
	v_add_f32_e32 v15, v1, v2
	s_delay_alu instid0(VALU_DEP_3) | instskip(NEXT) | instid1(VALU_DEP_1)
	v_dual_add_f32 v14, v0, v14 :: v_dual_mul_f32 v0, v7, v11
	v_dual_mul_f32 v1, v6, v11 :: v_dual_fma_f32 v0, v6, v10, -v0
	s_delay_alu instid0(VALU_DEP_1) | instskip(NEXT) | instid1(VALU_DEP_1)
	v_fmac_f32_e32 v1, v7, v10
	v_dual_add_f32 v47, v47, v0 :: v_dual_add_f32 v54, v54, v1
	v_dual_mul_f32 v0, v7, v13 :: v_dual_mul_f32 v1, v6, v13
	s_delay_alu instid0(VALU_DEP_1) | instskip(NEXT) | instid1(VALU_DEP_1)
	v_dual_fma_f32 v0, v6, v12, -v0 :: v_dual_fmac_f32 v1, v7, v12
	v_dual_add_f32 v12, v5, v0 :: v_dual_add_f32 v13, v4, v1
	ds_load_b128 v[0:3], v59 offset:64
	ds_load_2addr_b64 v[4:7], v65 offset1:16
	s_wait_dscnt 0x0
	v_dual_mul_f32 v10, v1, v5 :: v_dual_mul_f32 v11, v0, v5
	s_delay_alu instid0(VALU_DEP_1) | instskip(NEXT) | instid1(VALU_DEP_1)
	v_dual_fma_f32 v10, v0, v4, -v10 :: v_dual_fmac_f32 v11, v1, v4
	v_dual_add_f32 v56, v8, v10 :: v_dual_add_f32 v58, v9, v11
	v_mul_f32_e32 v8, v1, v7
	s_delay_alu instid0(VALU_DEP_1) | instskip(NEXT) | instid1(VALU_DEP_1)
	v_dual_fma_f32 v8, v0, v6, -v8 :: v_dual_mul_f32 v0, v0, v7
	v_fmac_f32_e32 v0, v1, v6
	s_delay_alu instid0(VALU_DEP_1) | instskip(NEXT) | instid1(VALU_DEP_3)
	v_add_f32_e32 v0, v15, v0
	v_add_f32_e32 v1, v14, v8
	ds_load_b128 v[8:11], v59 offset:4160
	s_wait_dscnt 0x0
	v_dual_mul_f32 v14, v9, v5 :: v_dual_mul_f32 v5, v8, v5
	s_delay_alu instid0(VALU_DEP_1) | instskip(NEXT) | instid1(VALU_DEP_1)
	v_dual_fma_f32 v14, v8, v4, -v14 :: v_dual_fmac_f32 v5, v9, v4
	v_dual_mul_f32 v4, v9, v7 :: v_dual_add_f32 v14, v47, v14
	s_delay_alu instid0(VALU_DEP_2) | instskip(NEXT) | instid1(VALU_DEP_1)
	v_dual_add_f32 v15, v54, v5 :: v_dual_mul_f32 v5, v8, v7
	v_dual_fma_f32 v4, v8, v6, -v4 :: v_dual_fmac_f32 v5, v9, v6
	s_delay_alu instid0(VALU_DEP_1) | instskip(SKIP_3) | instid1(VALU_DEP_1)
	v_dual_add_f32 v8, v12, v4 :: v_dual_add_f32 v9, v13, v5
	ds_load_2addr_b64 v[4:7], v65 offset0:32 offset1:48
	s_wait_dscnt 0x0
	v_dual_mul_f32 v12, v3, v5 :: v_dual_mul_f32 v13, v2, v5
	v_dual_mul_f32 v47, v3, v7 :: v_dual_fma_f32 v12, v2, v4, -v12
	s_delay_alu instid0(VALU_DEP_1) | instskip(NEXT) | instid1(VALU_DEP_2)
	v_dual_fmac_f32 v13, v3, v4 :: v_dual_fma_f32 v47, v2, v6, -v47
	v_dual_mul_f32 v2, v2, v7 :: v_dual_add_f32 v12, v56, v12
	s_delay_alu instid0(VALU_DEP_1) | instskip(NEXT) | instid1(VALU_DEP_3)
	v_dual_add_f32 v13, v58, v13 :: v_dual_fmac_f32 v2, v3, v6
	v_dual_add_f32 v47, v1, v47 :: v_dual_mul_f32 v1, v10, v5
	s_delay_alu instid0(VALU_DEP_2) | instskip(NEXT) | instid1(VALU_DEP_1)
	v_dual_add_f32 v54, v0, v2 :: v_dual_mul_f32 v0, v11, v5
	v_dual_fmac_f32 v1, v11, v4 :: v_dual_fma_f32 v0, v10, v4, -v0
	s_delay_alu instid0(VALU_DEP_1) | instskip(NEXT) | instid1(VALU_DEP_2)
	v_dual_add_f32 v15, v15, v1 :: v_dual_mul_f32 v1, v10, v7
	v_dual_add_f32 v14, v14, v0 :: v_dual_mul_f32 v0, v11, v7
	s_delay_alu instid0(VALU_DEP_1) | instskip(NEXT) | instid1(VALU_DEP_1)
	v_dual_fmac_f32 v1, v11, v6 :: v_dual_fma_f32 v0, v10, v6, -v0
	v_dual_add_f32 v58, v9, v1 :: v_dual_add_f32 v56, v8, v0
	ds_load_b128 v[0:3], v59 offset:80
	ds_load_2addr_b64 v[8:11], v65 offset0:64 offset1:80
	s_wait_dscnt 0x0
	v_dual_mul_f32 v4, v1, v9 :: v_dual_mul_f32 v5, v0, v9
	s_delay_alu instid0(VALU_DEP_1) | instskip(NEXT) | instid1(VALU_DEP_1)
	v_dual_fma_f32 v4, v0, v8, -v4 :: v_dual_fmac_f32 v5, v1, v8
	v_dual_add_f32 v12, v12, v4 :: v_dual_add_f32 v13, v13, v5
	v_mul_f32_e32 v4, v1, v11
	s_delay_alu instid0(VALU_DEP_1) | instskip(NEXT) | instid1(VALU_DEP_1)
	v_dual_fma_f32 v4, v0, v10, -v4 :: v_dual_mul_f32 v0, v0, v11
	v_fmac_f32_e32 v0, v1, v10
	s_delay_alu instid0(VALU_DEP_1) | instskip(NEXT) | instid1(VALU_DEP_3)
	v_add_f32_e32 v0, v54, v0
	v_add_f32_e32 v1, v47, v4
	ds_load_b128 v[4:7], v59 offset:4176
	s_wait_dscnt 0x0
	v_dual_mul_f32 v47, v5, v9 :: v_dual_mul_f32 v9, v4, v9
	s_delay_alu instid0(VALU_DEP_1) | instskip(SKIP_1) | instid1(VALU_DEP_2)
	v_dual_fma_f32 v47, v4, v8, -v47 :: v_dual_fmac_f32 v9, v5, v8
	v_mul_f32_e32 v8, v5, v11
	v_dual_add_f32 v14, v14, v47 :: v_dual_add_f32 v15, v15, v9
	s_delay_alu instid0(VALU_DEP_2) | instskip(NEXT) | instid1(VALU_DEP_1)
	v_dual_fma_f32 v8, v4, v10, -v8 :: v_dual_mul_f32 v4, v4, v11
	v_fmac_f32_e32 v4, v5, v10
	s_delay_alu instid0(VALU_DEP_1) | instskip(NEXT) | instid1(VALU_DEP_3)
	v_add_f32_e32 v4, v58, v4
	v_add_f32_e32 v5, v56, v8
	ds_load_2addr_b64 v[8:11], v65 offset0:96 offset1:112
	s_wait_dscnt 0x0
	v_dual_mul_f32 v47, v3, v9 :: v_dual_mul_f32 v54, v2, v9
	s_delay_alu instid0(VALU_DEP_1) | instskip(NEXT) | instid1(VALU_DEP_1)
	v_dual_fma_f32 v47, v2, v8, -v47 :: v_dual_fmac_f32 v54, v3, v8
	v_dual_add_f32 v12, v12, v47 :: v_dual_add_f32 v13, v13, v54
	v_mul_f32_e32 v47, v3, v11
	s_delay_alu instid0(VALU_DEP_1) | instskip(NEXT) | instid1(VALU_DEP_1)
	v_dual_fma_f32 v47, v2, v10, -v47 :: v_dual_mul_f32 v2, v2, v11
	v_dual_fmac_f32 v2, v3, v10 :: v_dual_add_f32 v47, v1, v47
	s_delay_alu instid0(VALU_DEP_1) | instskip(NEXT) | instid1(VALU_DEP_1)
	v_dual_mul_f32 v1, v6, v9 :: v_dual_add_f32 v54, v0, v2
	v_dual_mul_f32 v0, v7, v9 :: v_dual_fmac_f32 v1, v7, v8
	s_delay_alu instid0(VALU_DEP_1) | instskip(SKIP_1) | instid1(VALU_DEP_2)
	v_dual_fma_f32 v0, v6, v8, -v0 :: v_dual_add_f32 v15, v15, v1
	v_mul_f32_e32 v1, v6, v11
	v_dual_add_f32 v14, v14, v0 :: v_dual_mul_f32 v0, v7, v11
	s_delay_alu instid0(VALU_DEP_1) | instskip(NEXT) | instid1(VALU_DEP_1)
	v_dual_fmac_f32 v1, v7, v10 :: v_dual_fma_f32 v0, v6, v10, -v0
	v_dual_add_f32 v58, v4, v1 :: v_dual_add_f32 v56, v5, v0
	ds_load_b128 v[0:3], v59 offset:96
	ds_load_2addr_b64 v[4:7], v65 offset0:128 offset1:144
	s_wait_dscnt 0x0
	v_dual_mul_f32 v8, v1, v5 :: v_dual_mul_f32 v9, v0, v5
	s_delay_alu instid0(VALU_DEP_1) | instskip(NEXT) | instid1(VALU_DEP_1)
	v_dual_fma_f32 v8, v0, v4, -v8 :: v_dual_fmac_f32 v9, v1, v4
	v_dual_add_f32 v12, v12, v8 :: v_dual_add_f32 v13, v13, v9
	v_mul_f32_e32 v8, v1, v7
	s_delay_alu instid0(VALU_DEP_1) | instskip(NEXT) | instid1(VALU_DEP_1)
	v_dual_fma_f32 v8, v0, v6, -v8 :: v_dual_mul_f32 v0, v0, v7
	v_fmac_f32_e32 v0, v1, v6
	s_delay_alu instid0(VALU_DEP_1) | instskip(NEXT) | instid1(VALU_DEP_3)
	v_add_f32_e32 v0, v54, v0
	v_add_f32_e32 v1, v47, v8
	ds_load_b128 v[8:11], v59 offset:4192
	s_wait_dscnt 0x0
	v_dual_mul_f32 v47, v9, v5 :: v_dual_mul_f32 v5, v8, v5
	s_delay_alu instid0(VALU_DEP_1) | instskip(SKIP_1) | instid1(VALU_DEP_2)
	v_dual_fma_f32 v47, v8, v4, -v47 :: v_dual_fmac_f32 v5, v9, v4
	v_mul_f32_e32 v4, v9, v7
	v_dual_add_f32 v14, v14, v47 :: v_dual_add_f32 v15, v15, v5
	s_delay_alu instid0(VALU_DEP_2) | instskip(NEXT) | instid1(VALU_DEP_1)
	v_dual_mul_f32 v5, v8, v7 :: v_dual_fma_f32 v4, v8, v6, -v4
	v_dual_fmac_f32 v5, v9, v6 :: v_dual_add_f32 v8, v56, v4
	s_delay_alu instid0(VALU_DEP_1) | instskip(SKIP_3) | instid1(VALU_DEP_1)
	v_add_f32_e32 v9, v58, v5
	ds_load_2addr_b64 v[4:7], v65 offset0:160 offset1:176
	s_wait_dscnt 0x0
	v_dual_mul_f32 v47, v3, v5 :: v_dual_mul_f32 v54, v2, v5
	v_dual_fma_f32 v47, v2, v4, -v47 :: v_dual_fmac_f32 v54, v3, v4
	s_delay_alu instid0(VALU_DEP_1) | instskip(SKIP_1) | instid1(VALU_DEP_1)
	v_dual_add_f32 v12, v12, v47 :: v_dual_add_f32 v13, v13, v54
	v_mul_f32_e32 v47, v3, v7
	v_dual_fma_f32 v47, v2, v6, -v47 :: v_dual_mul_f32 v2, v2, v7
	s_delay_alu instid0(VALU_DEP_1) | instskip(NEXT) | instid1(VALU_DEP_1)
	v_dual_fmac_f32 v2, v3, v6 :: v_dual_add_f32 v47, v1, v47
	v_dual_mul_f32 v1, v10, v5 :: v_dual_add_f32 v54, v0, v2
	s_delay_alu instid0(VALU_DEP_1) | instskip(NEXT) | instid1(VALU_DEP_1)
	v_dual_mul_f32 v0, v11, v5 :: v_dual_fmac_f32 v1, v11, v4
	v_dual_fma_f32 v0, v10, v4, -v0 :: v_dual_add_f32 v15, v15, v1
	v_mul_f32_e32 v1, v10, v7
	s_delay_alu instid0(VALU_DEP_2) | instskip(NEXT) | instid1(VALU_DEP_1)
	v_dual_add_f32 v14, v14, v0 :: v_dual_mul_f32 v0, v11, v7
	v_dual_fmac_f32 v1, v11, v6 :: v_dual_fma_f32 v0, v10, v6, -v0
	s_delay_alu instid0(VALU_DEP_1) | instskip(SKIP_4) | instid1(VALU_DEP_1)
	v_dual_add_f32 v58, v9, v1 :: v_dual_add_f32 v56, v8, v0
	ds_load_b128 v[0:3], v59 offset:112
	ds_load_2addr_b64 v[8:11], v65 offset0:192 offset1:208
	s_wait_dscnt 0x0
	v_dual_mul_f32 v4, v1, v9 :: v_dual_mul_f32 v5, v0, v9
	v_dual_fma_f32 v4, v0, v8, -v4 :: v_dual_fmac_f32 v5, v1, v8
	s_delay_alu instid0(VALU_DEP_1) | instskip(SKIP_1) | instid1(VALU_DEP_1)
	v_dual_add_f32 v12, v12, v4 :: v_dual_add_f32 v13, v13, v5
	v_mul_f32_e32 v4, v1, v11
	v_dual_fma_f32 v4, v0, v10, -v4 :: v_dual_mul_f32 v0, v0, v11
	s_delay_alu instid0(VALU_DEP_1) | instskip(NEXT) | instid1(VALU_DEP_1)
	v_fmac_f32_e32 v0, v1, v10
	v_add_f32_e32 v0, v54, v0
	s_delay_alu instid0(VALU_DEP_3) | instskip(SKIP_3) | instid1(VALU_DEP_1)
	v_add_f32_e32 v1, v47, v4
	ds_load_b128 v[4:7], v59 offset:4208
	s_wait_dscnt 0x0
	v_dual_mul_f32 v47, v5, v9 :: v_dual_mul_f32 v9, v4, v9
	v_dual_fma_f32 v47, v4, v8, -v47 :: v_dual_fmac_f32 v9, v5, v8
	v_mul_f32_e32 v8, v5, v11
	s_delay_alu instid0(VALU_DEP_2) | instskip(NEXT) | instid1(VALU_DEP_2)
	v_dual_add_f32 v14, v14, v47 :: v_dual_add_f32 v15, v15, v9
	v_dual_fma_f32 v8, v4, v10, -v8 :: v_dual_mul_f32 v4, v4, v11
	s_delay_alu instid0(VALU_DEP_1) | instskip(NEXT) | instid1(VALU_DEP_1)
	v_fmac_f32_e32 v4, v5, v10
	v_add_f32_e32 v4, v58, v4
	s_delay_alu instid0(VALU_DEP_3) | instskip(SKIP_3) | instid1(VALU_DEP_1)
	v_add_f32_e32 v5, v56, v8
	ds_load_2addr_b64 v[8:11], v65 offset0:224 offset1:240
	s_wait_dscnt 0x0
	v_dual_mul_f32 v47, v3, v9 :: v_dual_mul_f32 v54, v2, v9
	v_dual_fma_f32 v47, v2, v8, -v47 :: v_dual_fmac_f32 v54, v3, v8
	s_delay_alu instid0(VALU_DEP_1) | instskip(SKIP_1) | instid1(VALU_DEP_1)
	v_dual_add_f32 v12, v12, v47 :: v_dual_add_f32 v13, v13, v54
	v_mul_f32_e32 v47, v3, v11
	v_dual_fma_f32 v47, v2, v10, -v47 :: v_dual_mul_f32 v2, v2, v11
	s_delay_alu instid0(VALU_DEP_1) | instskip(NEXT) | instid1(VALU_DEP_1)
	v_dual_fmac_f32 v2, v3, v10 :: v_dual_add_f32 v47, v1, v47
	v_dual_mul_f32 v1, v6, v9 :: v_dual_add_f32 v54, v0, v2
	s_delay_alu instid0(VALU_DEP_1) | instskip(NEXT) | instid1(VALU_DEP_1)
	v_dual_mul_f32 v0, v7, v9 :: v_dual_fmac_f32 v1, v7, v8
	v_dual_fma_f32 v0, v6, v8, -v0 :: v_dual_add_f32 v15, v15, v1
	v_mul_f32_e32 v1, v6, v11
	s_delay_alu instid0(VALU_DEP_2) | instskip(NEXT) | instid1(VALU_DEP_1)
	v_dual_add_f32 v14, v14, v0 :: v_dual_mul_f32 v0, v7, v11
	v_dual_fmac_f32 v1, v7, v10 :: v_dual_fma_f32 v0, v6, v10, -v0
	s_delay_alu instid0(VALU_DEP_1) | instskip(SKIP_4) | instid1(VALU_DEP_1)
	v_dual_add_f32 v58, v4, v1 :: v_dual_add_f32 v56, v5, v0
	ds_load_b128 v[0:3], v59 offset:128
	ds_load_2addr_b64 v[4:7], v66 offset1:16
	s_wait_dscnt 0x0
	v_dual_mul_f32 v8, v1, v5 :: v_dual_mul_f32 v9, v0, v5
	v_dual_fma_f32 v8, v0, v4, -v8 :: v_dual_fmac_f32 v9, v1, v4
	s_delay_alu instid0(VALU_DEP_1) | instskip(SKIP_1) | instid1(VALU_DEP_1)
	v_dual_add_f32 v12, v12, v8 :: v_dual_add_f32 v13, v13, v9
	v_mul_f32_e32 v8, v1, v7
	v_dual_fma_f32 v8, v0, v6, -v8 :: v_dual_mul_f32 v0, v0, v7
	s_delay_alu instid0(VALU_DEP_1) | instskip(NEXT) | instid1(VALU_DEP_1)
	v_fmac_f32_e32 v0, v1, v6
	v_add_f32_e32 v0, v54, v0
	s_delay_alu instid0(VALU_DEP_3) | instskip(SKIP_3) | instid1(VALU_DEP_1)
	v_add_f32_e32 v1, v47, v8
	ds_load_b128 v[8:11], v59 offset:4224
	s_wait_dscnt 0x0
	v_dual_mul_f32 v47, v9, v5 :: v_dual_mul_f32 v5, v8, v5
	v_dual_fma_f32 v47, v8, v4, -v47 :: v_dual_fmac_f32 v5, v9, v4
	v_mul_f32_e32 v4, v9, v7
	s_delay_alu instid0(VALU_DEP_2) | instskip(NEXT) | instid1(VALU_DEP_2)
	v_dual_add_f32 v14, v14, v47 :: v_dual_add_f32 v15, v15, v5
	v_dual_mul_f32 v5, v8, v7 :: v_dual_fma_f32 v4, v8, v6, -v4
	s_delay_alu instid0(VALU_DEP_1) | instskip(NEXT) | instid1(VALU_DEP_1)
	v_dual_fmac_f32 v5, v9, v6 :: v_dual_add_f32 v8, v56, v4
	v_add_f32_e32 v9, v58, v5
	ds_load_2addr_b64 v[4:7], v66 offset0:32 offset1:48
	s_wait_dscnt 0x0
	v_dual_mul_f32 v47, v3, v5 :: v_dual_mul_f32 v54, v2, v5
	s_delay_alu instid0(VALU_DEP_1) | instskip(NEXT) | instid1(VALU_DEP_1)
	v_dual_fma_f32 v47, v2, v4, -v47 :: v_dual_fmac_f32 v54, v3, v4
	v_dual_add_f32 v12, v12, v47 :: v_dual_add_f32 v13, v13, v54
	v_mul_f32_e32 v47, v3, v7
	s_delay_alu instid0(VALU_DEP_1) | instskip(NEXT) | instid1(VALU_DEP_1)
	v_dual_fma_f32 v47, v2, v6, -v47 :: v_dual_mul_f32 v2, v2, v7
	v_dual_fmac_f32 v2, v3, v6 :: v_dual_add_f32 v47, v1, v47
	s_delay_alu instid0(VALU_DEP_1) | instskip(NEXT) | instid1(VALU_DEP_1)
	v_dual_mul_f32 v1, v10, v5 :: v_dual_add_f32 v54, v0, v2
	v_dual_mul_f32 v0, v11, v5 :: v_dual_fmac_f32 v1, v11, v4
	s_delay_alu instid0(VALU_DEP_1) | instskip(SKIP_1) | instid1(VALU_DEP_2)
	v_dual_fma_f32 v0, v10, v4, -v0 :: v_dual_add_f32 v15, v15, v1
	v_mul_f32_e32 v1, v10, v7
	v_dual_add_f32 v14, v14, v0 :: v_dual_mul_f32 v0, v11, v7
	s_delay_alu instid0(VALU_DEP_1) | instskip(NEXT) | instid1(VALU_DEP_1)
	v_dual_fmac_f32 v1, v11, v6 :: v_dual_fma_f32 v0, v10, v6, -v0
	v_dual_add_f32 v58, v9, v1 :: v_dual_add_f32 v56, v8, v0
	ds_load_b128 v[0:3], v59 offset:144
	ds_load_2addr_b64 v[8:11], v66 offset0:64 offset1:80
	s_wait_dscnt 0x0
	v_dual_mul_f32 v4, v1, v9 :: v_dual_mul_f32 v5, v0, v9
	s_delay_alu instid0(VALU_DEP_1) | instskip(NEXT) | instid1(VALU_DEP_1)
	v_dual_fma_f32 v4, v0, v8, -v4 :: v_dual_fmac_f32 v5, v1, v8
	v_dual_add_f32 v12, v12, v4 :: v_dual_add_f32 v13, v13, v5
	v_mul_f32_e32 v4, v1, v11
	s_delay_alu instid0(VALU_DEP_1) | instskip(NEXT) | instid1(VALU_DEP_1)
	v_dual_fma_f32 v4, v0, v10, -v4 :: v_dual_mul_f32 v0, v0, v11
	v_fmac_f32_e32 v0, v1, v10
	s_delay_alu instid0(VALU_DEP_1) | instskip(NEXT) | instid1(VALU_DEP_3)
	v_add_f32_e32 v0, v54, v0
	v_add_f32_e32 v1, v47, v4
	ds_load_b128 v[4:7], v59 offset:4240
	s_wait_dscnt 0x0
	v_dual_mul_f32 v47, v5, v9 :: v_dual_mul_f32 v9, v4, v9
	s_delay_alu instid0(VALU_DEP_1) | instskip(SKIP_1) | instid1(VALU_DEP_2)
	v_dual_fma_f32 v47, v4, v8, -v47 :: v_dual_fmac_f32 v9, v5, v8
	v_mul_f32_e32 v8, v5, v11
	v_dual_add_f32 v14, v14, v47 :: v_dual_add_f32 v15, v15, v9
	s_delay_alu instid0(VALU_DEP_2) | instskip(NEXT) | instid1(VALU_DEP_1)
	v_dual_fma_f32 v8, v4, v10, -v8 :: v_dual_mul_f32 v4, v4, v11
	v_fmac_f32_e32 v4, v5, v10
	s_delay_alu instid0(VALU_DEP_1) | instskip(NEXT) | instid1(VALU_DEP_3)
	v_add_f32_e32 v4, v58, v4
	v_add_f32_e32 v5, v56, v8
	ds_load_2addr_b64 v[8:11], v66 offset0:96 offset1:112
	s_wait_dscnt 0x0
	v_dual_mul_f32 v47, v3, v9 :: v_dual_mul_f32 v54, v2, v9
	s_delay_alu instid0(VALU_DEP_1) | instskip(NEXT) | instid1(VALU_DEP_1)
	v_dual_fma_f32 v47, v2, v8, -v47 :: v_dual_fmac_f32 v54, v3, v8
	v_dual_add_f32 v12, v12, v47 :: v_dual_add_f32 v13, v13, v54
	v_mul_f32_e32 v47, v3, v11
	s_delay_alu instid0(VALU_DEP_1) | instskip(NEXT) | instid1(VALU_DEP_1)
	v_dual_fma_f32 v47, v2, v10, -v47 :: v_dual_mul_f32 v2, v2, v11
	v_dual_fmac_f32 v2, v3, v10 :: v_dual_add_f32 v47, v1, v47
	s_delay_alu instid0(VALU_DEP_1) | instskip(NEXT) | instid1(VALU_DEP_1)
	v_dual_mul_f32 v1, v6, v9 :: v_dual_add_f32 v54, v0, v2
	v_dual_mul_f32 v0, v7, v9 :: v_dual_fmac_f32 v1, v7, v8
	s_delay_alu instid0(VALU_DEP_1) | instskip(SKIP_1) | instid1(VALU_DEP_2)
	v_dual_fma_f32 v0, v6, v8, -v0 :: v_dual_add_f32 v15, v15, v1
	v_mul_f32_e32 v1, v6, v11
	v_dual_add_f32 v14, v14, v0 :: v_dual_mul_f32 v0, v7, v11
	s_delay_alu instid0(VALU_DEP_1) | instskip(NEXT) | instid1(VALU_DEP_1)
	v_dual_fmac_f32 v1, v7, v10 :: v_dual_fma_f32 v0, v6, v10, -v0
	v_dual_add_f32 v58, v4, v1 :: v_dual_add_f32 v56, v5, v0
	ds_load_b128 v[0:3], v59 offset:160
	ds_load_2addr_b64 v[4:7], v66 offset0:128 offset1:144
	s_wait_dscnt 0x0
	v_dual_mul_f32 v8, v1, v5 :: v_dual_mul_f32 v9, v0, v5
	s_delay_alu instid0(VALU_DEP_1) | instskip(NEXT) | instid1(VALU_DEP_1)
	v_dual_fma_f32 v8, v0, v4, -v8 :: v_dual_fmac_f32 v9, v1, v4
	v_dual_add_f32 v12, v12, v8 :: v_dual_add_f32 v13, v13, v9
	v_mul_f32_e32 v8, v1, v7
	s_delay_alu instid0(VALU_DEP_1) | instskip(NEXT) | instid1(VALU_DEP_1)
	v_dual_fma_f32 v8, v0, v6, -v8 :: v_dual_mul_f32 v0, v0, v7
	v_fmac_f32_e32 v0, v1, v6
	s_delay_alu instid0(VALU_DEP_1) | instskip(NEXT) | instid1(VALU_DEP_3)
	v_add_f32_e32 v0, v54, v0
	v_add_f32_e32 v1, v47, v8
	ds_load_b128 v[8:11], v59 offset:4256
	s_wait_dscnt 0x0
	v_dual_mul_f32 v47, v9, v5 :: v_dual_mul_f32 v5, v8, v5
	s_delay_alu instid0(VALU_DEP_1) | instskip(SKIP_1) | instid1(VALU_DEP_2)
	v_dual_fma_f32 v47, v8, v4, -v47 :: v_dual_fmac_f32 v5, v9, v4
	v_mul_f32_e32 v4, v9, v7
	v_dual_add_f32 v14, v14, v47 :: v_dual_add_f32 v15, v15, v5
	s_delay_alu instid0(VALU_DEP_2) | instskip(NEXT) | instid1(VALU_DEP_1)
	v_dual_mul_f32 v5, v8, v7 :: v_dual_fma_f32 v4, v8, v6, -v4
	v_dual_fmac_f32 v5, v9, v6 :: v_dual_add_f32 v8, v56, v4
	s_delay_alu instid0(VALU_DEP_1) | instskip(SKIP_3) | instid1(VALU_DEP_1)
	v_add_f32_e32 v9, v58, v5
	ds_load_2addr_b64 v[4:7], v66 offset0:160 offset1:176
	s_wait_dscnt 0x0
	v_dual_mul_f32 v47, v3, v5 :: v_dual_mul_f32 v54, v2, v5
	v_dual_fma_f32 v47, v2, v4, -v47 :: v_dual_fmac_f32 v54, v3, v4
	s_delay_alu instid0(VALU_DEP_1) | instskip(SKIP_1) | instid1(VALU_DEP_1)
	v_dual_add_f32 v12, v12, v47 :: v_dual_add_f32 v13, v13, v54
	v_mul_f32_e32 v47, v3, v7
	v_dual_fma_f32 v47, v2, v6, -v47 :: v_dual_mul_f32 v2, v2, v7
	s_delay_alu instid0(VALU_DEP_1) | instskip(NEXT) | instid1(VALU_DEP_1)
	v_dual_fmac_f32 v2, v3, v6 :: v_dual_add_f32 v47, v1, v47
	v_dual_mul_f32 v1, v10, v5 :: v_dual_add_f32 v54, v0, v2
	s_delay_alu instid0(VALU_DEP_1) | instskip(NEXT) | instid1(VALU_DEP_1)
	v_dual_mul_f32 v0, v11, v5 :: v_dual_fmac_f32 v1, v11, v4
	v_dual_fma_f32 v0, v10, v4, -v0 :: v_dual_add_f32 v15, v15, v1
	v_mul_f32_e32 v1, v10, v7
	s_delay_alu instid0(VALU_DEP_2) | instskip(NEXT) | instid1(VALU_DEP_1)
	v_dual_add_f32 v14, v14, v0 :: v_dual_mul_f32 v0, v11, v7
	v_dual_fmac_f32 v1, v11, v6 :: v_dual_fma_f32 v0, v10, v6, -v0
	s_delay_alu instid0(VALU_DEP_1) | instskip(SKIP_4) | instid1(VALU_DEP_1)
	v_dual_add_f32 v58, v9, v1 :: v_dual_add_f32 v56, v8, v0
	ds_load_b128 v[0:3], v59 offset:176
	ds_load_2addr_b64 v[8:11], v66 offset0:192 offset1:208
	s_wait_dscnt 0x0
	v_dual_mul_f32 v4, v1, v9 :: v_dual_mul_f32 v5, v0, v9
	v_dual_fma_f32 v4, v0, v8, -v4 :: v_dual_fmac_f32 v5, v1, v8
	s_delay_alu instid0(VALU_DEP_1) | instskip(SKIP_1) | instid1(VALU_DEP_1)
	v_dual_add_f32 v12, v12, v4 :: v_dual_add_f32 v13, v13, v5
	v_mul_f32_e32 v4, v1, v11
	v_dual_fma_f32 v4, v0, v10, -v4 :: v_dual_mul_f32 v0, v0, v11
	s_delay_alu instid0(VALU_DEP_1) | instskip(NEXT) | instid1(VALU_DEP_1)
	v_fmac_f32_e32 v0, v1, v10
	v_add_f32_e32 v0, v54, v0
	s_delay_alu instid0(VALU_DEP_3) | instskip(SKIP_3) | instid1(VALU_DEP_1)
	v_add_f32_e32 v1, v47, v4
	ds_load_b128 v[4:7], v59 offset:4272
	s_wait_dscnt 0x0
	v_dual_mul_f32 v47, v5, v9 :: v_dual_mul_f32 v9, v4, v9
	v_dual_fma_f32 v47, v4, v8, -v47 :: v_dual_fmac_f32 v9, v5, v8
	v_mul_f32_e32 v8, v5, v11
	s_delay_alu instid0(VALU_DEP_2) | instskip(NEXT) | instid1(VALU_DEP_2)
	v_dual_add_f32 v14, v14, v47 :: v_dual_add_f32 v15, v15, v9
	v_dual_fma_f32 v8, v4, v10, -v8 :: v_dual_mul_f32 v4, v4, v11
	s_delay_alu instid0(VALU_DEP_1) | instskip(NEXT) | instid1(VALU_DEP_1)
	v_fmac_f32_e32 v4, v5, v10
	v_add_f32_e32 v4, v58, v4
	s_delay_alu instid0(VALU_DEP_3) | instskip(SKIP_3) | instid1(VALU_DEP_1)
	v_add_f32_e32 v5, v56, v8
	ds_load_2addr_b64 v[8:11], v66 offset0:224 offset1:240
	s_wait_dscnt 0x0
	v_dual_mul_f32 v47, v3, v9 :: v_dual_mul_f32 v54, v2, v9
	v_dual_fma_f32 v47, v2, v8, -v47 :: v_dual_fmac_f32 v54, v3, v8
	s_delay_alu instid0(VALU_DEP_1) | instskip(SKIP_1) | instid1(VALU_DEP_1)
	v_dual_add_f32 v12, v12, v47 :: v_dual_add_f32 v13, v13, v54
	v_mul_f32_e32 v47, v3, v11
	v_dual_fma_f32 v47, v2, v10, -v47 :: v_dual_mul_f32 v2, v2, v11
	s_delay_alu instid0(VALU_DEP_1) | instskip(NEXT) | instid1(VALU_DEP_1)
	v_dual_fmac_f32 v2, v3, v10 :: v_dual_add_f32 v47, v1, v47
	v_dual_mul_f32 v1, v6, v9 :: v_dual_add_f32 v54, v0, v2
	s_delay_alu instid0(VALU_DEP_1) | instskip(NEXT) | instid1(VALU_DEP_1)
	v_dual_mul_f32 v0, v7, v9 :: v_dual_fmac_f32 v1, v7, v8
	v_dual_fma_f32 v0, v6, v8, -v0 :: v_dual_add_f32 v15, v15, v1
	v_mul_f32_e32 v1, v6, v11
	s_delay_alu instid0(VALU_DEP_2) | instskip(NEXT) | instid1(VALU_DEP_1)
	v_dual_add_f32 v14, v14, v0 :: v_dual_mul_f32 v0, v7, v11
	v_dual_fmac_f32 v1, v7, v10 :: v_dual_fma_f32 v0, v6, v10, -v0
	s_delay_alu instid0(VALU_DEP_1) | instskip(SKIP_4) | instid1(VALU_DEP_1)
	v_dual_add_f32 v58, v4, v1 :: v_dual_add_f32 v56, v5, v0
	ds_load_b128 v[0:3], v59 offset:192
	ds_load_2addr_b64 v[4:7], v67 offset1:16
	s_wait_dscnt 0x0
	v_dual_mul_f32 v8, v1, v5 :: v_dual_mul_f32 v9, v0, v5
	v_dual_fma_f32 v8, v0, v4, -v8 :: v_dual_fmac_f32 v9, v1, v4
	s_delay_alu instid0(VALU_DEP_1) | instskip(SKIP_1) | instid1(VALU_DEP_1)
	v_dual_add_f32 v12, v12, v8 :: v_dual_add_f32 v13, v13, v9
	v_mul_f32_e32 v8, v1, v7
	v_dual_fma_f32 v8, v0, v6, -v8 :: v_dual_mul_f32 v0, v0, v7
	s_delay_alu instid0(VALU_DEP_1) | instskip(NEXT) | instid1(VALU_DEP_1)
	v_fmac_f32_e32 v0, v1, v6
	v_add_f32_e32 v0, v54, v0
	s_delay_alu instid0(VALU_DEP_3) | instskip(SKIP_3) | instid1(VALU_DEP_1)
	v_add_f32_e32 v1, v47, v8
	ds_load_b128 v[8:11], v59 offset:4288
	s_wait_dscnt 0x0
	v_dual_mul_f32 v47, v9, v5 :: v_dual_mul_f32 v5, v8, v5
	v_dual_fma_f32 v47, v8, v4, -v47 :: v_dual_fmac_f32 v5, v9, v4
	v_mul_f32_e32 v4, v9, v7
	s_delay_alu instid0(VALU_DEP_2) | instskip(NEXT) | instid1(VALU_DEP_2)
	v_dual_add_f32 v14, v14, v47 :: v_dual_add_f32 v15, v15, v5
	v_dual_mul_f32 v5, v8, v7 :: v_dual_fma_f32 v4, v8, v6, -v4
	s_delay_alu instid0(VALU_DEP_1) | instskip(NEXT) | instid1(VALU_DEP_1)
	v_dual_fmac_f32 v5, v9, v6 :: v_dual_add_f32 v8, v56, v4
	v_add_f32_e32 v9, v58, v5
	ds_load_2addr_b64 v[4:7], v67 offset0:32 offset1:48
	s_wait_dscnt 0x0
	v_dual_mul_f32 v47, v3, v5 :: v_dual_mul_f32 v54, v2, v5
	s_delay_alu instid0(VALU_DEP_1) | instskip(NEXT) | instid1(VALU_DEP_1)
	v_dual_fma_f32 v47, v2, v4, -v47 :: v_dual_fmac_f32 v54, v3, v4
	v_dual_add_f32 v12, v12, v47 :: v_dual_add_f32 v13, v13, v54
	v_mul_f32_e32 v47, v3, v7
	s_delay_alu instid0(VALU_DEP_1) | instskip(NEXT) | instid1(VALU_DEP_1)
	v_dual_fma_f32 v47, v2, v6, -v47 :: v_dual_mul_f32 v2, v2, v7
	v_dual_fmac_f32 v2, v3, v6 :: v_dual_add_f32 v47, v1, v47
	s_delay_alu instid0(VALU_DEP_1) | instskip(NEXT) | instid1(VALU_DEP_1)
	v_dual_mul_f32 v1, v10, v5 :: v_dual_add_f32 v54, v0, v2
	v_dual_mul_f32 v0, v11, v5 :: v_dual_fmac_f32 v1, v11, v4
	s_delay_alu instid0(VALU_DEP_1) | instskip(SKIP_1) | instid1(VALU_DEP_2)
	v_dual_fma_f32 v0, v10, v4, -v0 :: v_dual_add_f32 v15, v15, v1
	v_mul_f32_e32 v1, v10, v7
	v_dual_add_f32 v14, v14, v0 :: v_dual_mul_f32 v0, v11, v7
	s_delay_alu instid0(VALU_DEP_1) | instskip(NEXT) | instid1(VALU_DEP_1)
	v_dual_fmac_f32 v1, v11, v6 :: v_dual_fma_f32 v0, v10, v6, -v0
	v_dual_add_f32 v58, v9, v1 :: v_dual_add_f32 v56, v8, v0
	ds_load_b128 v[0:3], v59 offset:208
	ds_load_2addr_b64 v[8:11], v67 offset0:64 offset1:80
	s_wait_dscnt 0x0
	v_dual_mul_f32 v4, v1, v9 :: v_dual_mul_f32 v5, v0, v9
	s_delay_alu instid0(VALU_DEP_1) | instskip(NEXT) | instid1(VALU_DEP_1)
	v_dual_fma_f32 v4, v0, v8, -v4 :: v_dual_fmac_f32 v5, v1, v8
	v_dual_add_f32 v12, v12, v4 :: v_dual_add_f32 v13, v13, v5
	v_mul_f32_e32 v4, v1, v11
	s_delay_alu instid0(VALU_DEP_1) | instskip(NEXT) | instid1(VALU_DEP_1)
	v_dual_fma_f32 v4, v0, v10, -v4 :: v_dual_mul_f32 v0, v0, v11
	v_fmac_f32_e32 v0, v1, v10
	s_delay_alu instid0(VALU_DEP_1) | instskip(NEXT) | instid1(VALU_DEP_3)
	v_add_f32_e32 v0, v54, v0
	v_add_f32_e32 v1, v47, v4
	ds_load_b128 v[4:7], v59 offset:4304
	s_wait_dscnt 0x0
	v_dual_mul_f32 v47, v5, v9 :: v_dual_mul_f32 v9, v4, v9
	s_delay_alu instid0(VALU_DEP_1) | instskip(SKIP_1) | instid1(VALU_DEP_2)
	v_dual_fma_f32 v47, v4, v8, -v47 :: v_dual_fmac_f32 v9, v5, v8
	v_mul_f32_e32 v8, v5, v11
	v_dual_add_f32 v14, v14, v47 :: v_dual_add_f32 v15, v15, v9
	s_delay_alu instid0(VALU_DEP_2) | instskip(NEXT) | instid1(VALU_DEP_1)
	v_dual_fma_f32 v8, v4, v10, -v8 :: v_dual_mul_f32 v4, v4, v11
	v_fmac_f32_e32 v4, v5, v10
	s_delay_alu instid0(VALU_DEP_1) | instskip(NEXT) | instid1(VALU_DEP_3)
	v_add_f32_e32 v4, v58, v4
	v_add_f32_e32 v5, v56, v8
	ds_load_2addr_b64 v[8:11], v67 offset0:96 offset1:112
	s_wait_dscnt 0x0
	v_dual_mul_f32 v47, v3, v9 :: v_dual_mul_f32 v54, v2, v9
	s_delay_alu instid0(VALU_DEP_1) | instskip(NEXT) | instid1(VALU_DEP_1)
	v_dual_fma_f32 v47, v2, v8, -v47 :: v_dual_fmac_f32 v54, v3, v8
	v_dual_add_f32 v12, v12, v47 :: v_dual_add_f32 v13, v13, v54
	v_mul_f32_e32 v47, v3, v11
	s_delay_alu instid0(VALU_DEP_1) | instskip(NEXT) | instid1(VALU_DEP_1)
	v_dual_fma_f32 v47, v2, v10, -v47 :: v_dual_mul_f32 v2, v2, v11
	v_dual_fmac_f32 v2, v3, v10 :: v_dual_add_f32 v47, v1, v47
	s_delay_alu instid0(VALU_DEP_1) | instskip(NEXT) | instid1(VALU_DEP_1)
	v_dual_mul_f32 v1, v6, v9 :: v_dual_add_f32 v54, v0, v2
	v_dual_mul_f32 v0, v7, v9 :: v_dual_fmac_f32 v1, v7, v8
	s_delay_alu instid0(VALU_DEP_1) | instskip(SKIP_1) | instid1(VALU_DEP_2)
	v_dual_fma_f32 v0, v6, v8, -v0 :: v_dual_add_f32 v15, v15, v1
	v_mul_f32_e32 v1, v6, v11
	v_dual_add_f32 v14, v14, v0 :: v_dual_mul_f32 v0, v7, v11
	s_delay_alu instid0(VALU_DEP_1) | instskip(NEXT) | instid1(VALU_DEP_1)
	v_dual_fmac_f32 v1, v7, v10 :: v_dual_fma_f32 v0, v6, v10, -v0
	v_dual_add_f32 v58, v4, v1 :: v_dual_add_f32 v56, v5, v0
	ds_load_b128 v[0:3], v59 offset:224
	ds_load_2addr_b64 v[4:7], v67 offset0:128 offset1:144
	s_wait_dscnt 0x0
	v_dual_mul_f32 v8, v1, v5 :: v_dual_mul_f32 v9, v0, v5
	s_delay_alu instid0(VALU_DEP_1) | instskip(NEXT) | instid1(VALU_DEP_1)
	v_dual_fma_f32 v8, v0, v4, -v8 :: v_dual_fmac_f32 v9, v1, v4
	v_dual_add_f32 v12, v12, v8 :: v_dual_add_f32 v13, v13, v9
	v_mul_f32_e32 v8, v1, v7
	s_delay_alu instid0(VALU_DEP_1) | instskip(NEXT) | instid1(VALU_DEP_1)
	v_dual_fma_f32 v8, v0, v6, -v8 :: v_dual_mul_f32 v0, v0, v7
	v_fmac_f32_e32 v0, v1, v6
	s_delay_alu instid0(VALU_DEP_1) | instskip(NEXT) | instid1(VALU_DEP_3)
	v_add_f32_e32 v0, v54, v0
	v_add_f32_e32 v1, v47, v8
	ds_load_b128 v[8:11], v59 offset:4320
	s_wait_dscnt 0x0
	v_dual_mul_f32 v47, v9, v5 :: v_dual_mul_f32 v5, v8, v5
	s_delay_alu instid0(VALU_DEP_1) | instskip(SKIP_1) | instid1(VALU_DEP_2)
	v_dual_fma_f32 v47, v8, v4, -v47 :: v_dual_fmac_f32 v5, v9, v4
	v_mul_f32_e32 v4, v9, v7
	v_dual_add_f32 v14, v14, v47 :: v_dual_add_f32 v15, v15, v5
	s_delay_alu instid0(VALU_DEP_2) | instskip(NEXT) | instid1(VALU_DEP_1)
	v_dual_mul_f32 v5, v8, v7 :: v_dual_fma_f32 v4, v8, v6, -v4
	v_dual_fmac_f32 v5, v9, v6 :: v_dual_add_f32 v8, v56, v4
	s_delay_alu instid0(VALU_DEP_1) | instskip(SKIP_3) | instid1(VALU_DEP_1)
	v_add_f32_e32 v9, v58, v5
	ds_load_2addr_b64 v[4:7], v67 offset0:160 offset1:176
	s_wait_dscnt 0x0
	v_dual_mul_f32 v47, v3, v5 :: v_dual_mul_f32 v54, v2, v5
	v_dual_fma_f32 v47, v2, v4, -v47 :: v_dual_fmac_f32 v54, v3, v4
	s_delay_alu instid0(VALU_DEP_1) | instskip(SKIP_1) | instid1(VALU_DEP_1)
	v_dual_add_f32 v12, v12, v47 :: v_dual_add_f32 v13, v13, v54
	v_mul_f32_e32 v47, v3, v7
	v_dual_fma_f32 v47, v2, v6, -v47 :: v_dual_mul_f32 v2, v2, v7
	s_delay_alu instid0(VALU_DEP_1) | instskip(NEXT) | instid1(VALU_DEP_1)
	v_dual_fmac_f32 v2, v3, v6 :: v_dual_add_f32 v47, v1, v47
	v_dual_mul_f32 v1, v10, v5 :: v_dual_add_f32 v54, v0, v2
	s_delay_alu instid0(VALU_DEP_1) | instskip(NEXT) | instid1(VALU_DEP_1)
	v_dual_mul_f32 v0, v11, v5 :: v_dual_fmac_f32 v1, v11, v4
	v_dual_fma_f32 v0, v10, v4, -v0 :: v_dual_add_f32 v15, v15, v1
	v_mul_f32_e32 v1, v10, v7
	s_delay_alu instid0(VALU_DEP_2) | instskip(NEXT) | instid1(VALU_DEP_1)
	v_dual_add_f32 v14, v14, v0 :: v_dual_mul_f32 v0, v11, v7
	v_dual_fmac_f32 v1, v11, v6 :: v_dual_fma_f32 v0, v10, v6, -v0
	s_delay_alu instid0(VALU_DEP_1) | instskip(SKIP_4) | instid1(VALU_DEP_1)
	v_dual_add_f32 v58, v9, v1 :: v_dual_add_f32 v56, v8, v0
	ds_load_b128 v[0:3], v59 offset:240
	ds_load_2addr_b64 v[8:11], v67 offset0:192 offset1:208
	s_wait_dscnt 0x0
	v_dual_mul_f32 v4, v1, v9 :: v_dual_mul_f32 v5, v0, v9
	v_dual_fma_f32 v4, v0, v8, -v4 :: v_dual_fmac_f32 v5, v1, v8
	s_delay_alu instid0(VALU_DEP_1) | instskip(SKIP_1) | instid1(VALU_DEP_1)
	v_dual_add_f32 v12, v12, v4 :: v_dual_add_f32 v13, v13, v5
	v_dual_mul_f32 v4, v1, v11 :: v_dual_mul_f32 v5, v0, v11
	v_dual_fma_f32 v4, v0, v10, -v4 :: v_dual_fmac_f32 v5, v1, v10
	s_delay_alu instid0(VALU_DEP_1) | instskip(SKIP_3) | instid1(VALU_DEP_1)
	v_dual_add_f32 v0, v47, v4 :: v_dual_add_f32 v1, v54, v5
	ds_load_b128 v[4:7], v59 offset:4336
	s_wait_dscnt 0x0
	v_dual_mul_f32 v47, v5, v9 :: v_dual_mul_f32 v9, v4, v9
	v_dual_fma_f32 v47, v4, v8, -v47 :: v_dual_fmac_f32 v9, v5, v8
	v_mul_f32_e32 v8, v5, v11
	s_delay_alu instid0(VALU_DEP_2) | instskip(NEXT) | instid1(VALU_DEP_2)
	v_dual_add_f32 v14, v14, v47 :: v_dual_add_f32 v15, v15, v9
	v_dual_fma_f32 v8, v4, v10, -v8 :: v_dual_mul_f32 v4, v4, v11
	s_delay_alu instid0(VALU_DEP_1) | instskip(NEXT) | instid1(VALU_DEP_1)
	v_fmac_f32_e32 v4, v5, v10
	v_add_f32_e32 v4, v58, v4
	s_delay_alu instid0(VALU_DEP_3)
	v_add_f32_e32 v5, v56, v8
	ds_load_2addr_b64 v[8:11], v67 offset0:224 offset1:240
	s_wait_dscnt 0x0
	s_barrier_signal -1
	s_barrier_wait -1
	v_dual_mul_f32 v47, v3, v9 :: v_dual_mul_f32 v54, v2, v9
	s_delay_alu instid0(VALU_DEP_1) | instskip(NEXT) | instid1(VALU_DEP_1)
	v_dual_fma_f32 v47, v2, v8, -v47 :: v_dual_fmac_f32 v54, v3, v8
	v_dual_add_f32 v62, v12, v47 :: v_dual_add_f32 v64, v13, v54
	v_mul_f32_e32 v12, v3, v11
	s_delay_alu instid0(VALU_DEP_1) | instskip(NEXT) | instid1(VALU_DEP_1)
	v_dual_fma_f32 v12, v2, v10, -v12 :: v_dual_mul_f32 v2, v2, v11
	v_dual_fmac_f32 v2, v3, v10 :: v_dual_add_f32 v58, v0, v12
	s_delay_alu instid0(VALU_DEP_1) | instskip(NEXT) | instid1(VALU_DEP_1)
	v_dual_mul_f32 v0, v7, v9 :: v_dual_add_f32 v60, v1, v2
	v_dual_mul_f32 v1, v6, v9 :: v_dual_fma_f32 v0, v6, v8, -v0
	s_delay_alu instid0(VALU_DEP_1) | instskip(NEXT) | instid1(VALU_DEP_2)
	v_fmac_f32_e32 v1, v7, v8
	v_dual_add_f32 v54, v14, v0 :: v_dual_mul_f32 v0, v7, v11
	s_delay_alu instid0(VALU_DEP_2) | instskip(NEXT) | instid1(VALU_DEP_1)
	v_dual_add_f32 v56, v15, v1 :: v_dual_mul_f32 v1, v6, v11
	v_dual_fma_f32 v0, v6, v10, -v0 :: v_dual_fmac_f32 v1, v7, v10
	s_delay_alu instid0(VALU_DEP_1)
	v_dual_add_f32 v14, v5, v0 :: v_dual_add_f32 v12, v4, v1
	s_cbranch_scc1 .LBB80_56
.LBB80_11:                              ;   Parent Loop BB80_4 Depth=1
                                        ;     Parent Loop BB80_8 Depth=2
                                        ; =>    This Inner Loop Header: Depth=3
	v_add_nc_u64_e32 v[4:5], s[46:47], v[22:23]
	v_cmp_eq_u64_e64 s7, s[46:47], v[28:29]
	v_add_nc_u64_e32 v[0:1], s[38:39], v[42:43]
	s_delay_alu instid0(VALU_DEP_3) | instskip(SKIP_3) | instid1(SALU_CYCLE_1)
	v_cmp_le_i64_e64 s6, s[42:43], v[4:5]
	v_cmp_lt_i64_e64 s5, v[4:5], v[16:17]
	s_and_b32 s56, s52, s7
	s_or_b32 s7, s6, s5
	s_or_b32 s7, s7, s56
	s_delay_alu instid0(SALU_CYCLE_1) | instskip(NEXT) | instid1(SALU_CYCLE_1)
	s_nor_b32 s7, s0, s7
	s_and_saveexec_b32 s8, s7
	s_delay_alu instid0(SALU_CYCLE_1)
	s_xor_b32 s7, exec_lo, s8
	s_cbranch_execz .LBB80_13
; %bb.12:                               ;   in Loop: Header=BB80_11 Depth=3
	global_load_b64 v[2:3], v[0:1], off
	s_wait_loadcnt 0x0
	v_xor_b32_e32 v3, 0x80000000, v3
	ds_store_b64 v61, v[2:3]
.LBB80_13:                              ;   in Loop: Header=BB80_11 Depth=3
	s_wait_xcnt 0x0
	s_or_saveexec_b32 s7, s7
	s_xor_b32 s55, s56, -1
	s_xor_b32 exec_lo, exec_lo, s7
	s_cbranch_execz .LBB80_19
; %bb.14:                               ;   in Loop: Header=BB80_11 Depth=3
	s_and_saveexec_b32 s8, s55
	s_delay_alu instid0(SALU_CYCLE_1)
	s_xor_b32 s8, exec_lo, s8
; %bb.15:                               ;   in Loop: Header=BB80_11 Depth=3
	ds_store_b64 v61, v[18:19]
; %bb.16:                               ;   in Loop: Header=BB80_11 Depth=3
	s_and_not1_saveexec_b32 s8, s8
; %bb.17:                               ;   in Loop: Header=BB80_11 Depth=3
	ds_store_b64 v61, v[20:21]
; %bb.18:                               ;   in Loop: Header=BB80_11 Depth=3
	s_or_b32 exec_lo, exec_lo, s8
.LBB80_19:                              ;   in Loop: Header=BB80_11 Depth=3
	s_delay_alu instid0(SALU_CYCLE_1) | instskip(SKIP_2) | instid1(VALU_DEP_2)
	s_or_b32 exec_lo, exec_lo, s7
	v_add_nc_u64_e32 v[2:3], 16, v[28:29]
	v_cmp_gt_i64_e64 s8, v[26:27], v[4:5]
	v_cmp_eq_u64_e64 s7, s[46:47], v[2:3]
	v_add_nc_u64_e32 v[2:3], s[38:39], v[40:41]
	s_or_b32 s6, s6, s8
	s_and_b32 s7, s52, s7
	s_delay_alu instid0(SALU_CYCLE_1) | instskip(NEXT) | instid1(SALU_CYCLE_1)
	s_or_b32 s6, s6, s7
	s_nor_b32 s6, s3, s6
	s_delay_alu instid0(SALU_CYCLE_1) | instskip(NEXT) | instid1(SALU_CYCLE_1)
	s_and_saveexec_b32 s8, s6
	s_xor_b32 s6, exec_lo, s8
	s_cbranch_execz .LBB80_21
; %bb.20:                               ;   in Loop: Header=BB80_11 Depth=3
	global_load_b64 v[6:7], v[2:3], off
	s_wait_loadcnt 0x0
	v_xor_b32_e32 v7, 0x80000000, v7
	ds_store_b64 v61, v[6:7] offset:128
.LBB80_21:                              ;   in Loop: Header=BB80_11 Depth=3
	s_wait_xcnt 0x0
	s_and_not1_saveexec_b32 s6, s6
	s_cbranch_execz .LBB80_27
; %bb.22:                               ;   in Loop: Header=BB80_11 Depth=3
	s_xor_b32 s7, s7, -1
	s_delay_alu instid0(SALU_CYCLE_1) | instskip(NEXT) | instid1(SALU_CYCLE_1)
	s_and_saveexec_b32 s8, s7
	s_xor_b32 s7, exec_lo, s8
; %bb.23:                               ;   in Loop: Header=BB80_11 Depth=3
	ds_store_b64 v61, v[18:19] offset:128
; %bb.24:                               ;   in Loop: Header=BB80_11 Depth=3
	s_and_not1_saveexec_b32 s7, s7
; %bb.25:                               ;   in Loop: Header=BB80_11 Depth=3
	ds_store_b64 v61, v[20:21] offset:128
; %bb.26:                               ;   in Loop: Header=BB80_11 Depth=3
	s_or_b32 exec_lo, exec_lo, s7
.LBB80_27:                              ;   in Loop: Header=BB80_11 Depth=3
	s_delay_alu instid0(SALU_CYCLE_1) | instskip(SKIP_2) | instid1(VALU_DEP_2)
	s_or_b32 exec_lo, exec_lo, s6
	v_add_nc_u64_e32 v[4:5], 16, v[4:5]
	v_add_nc_u64_e32 v[6:7], -16, v[28:29]
	v_cmp_le_i64_e64 s6, s[42:43], v[4:5]
	s_delay_alu instid0(VALU_DEP_2) | instskip(SKIP_3) | instid1(SALU_CYCLE_1)
	v_cmp_eq_u64_e64 s7, s[46:47], v[6:7]
	v_cmp_lt_i64_e64 s8, v[4:5], v[16:17]
	s_and_b32 s57, s52, s7
	s_or_b32 s7, s6, s8
	s_or_b32 s7, s7, s57
	s_delay_alu instid0(SALU_CYCLE_1) | instskip(NEXT) | instid1(SALU_CYCLE_1)
	s_nor_b32 s7, s0, s7
	s_and_saveexec_b32 s8, s7
	s_delay_alu instid0(SALU_CYCLE_1)
	s_xor_b32 s7, exec_lo, s8
	s_cbranch_execz .LBB80_29
; %bb.28:                               ;   in Loop: Header=BB80_11 Depth=3
	global_load_b64 v[0:1], v[0:1], off offset:128
	s_wait_loadcnt 0x0
	s_wait_xcnt 0x0
	v_xor_b32_e32 v1, 0x80000000, v1
	ds_store_b64 v61, v[0:1] offset:4096
.LBB80_29:                              ;   in Loop: Header=BB80_11 Depth=3
	s_and_not1_saveexec_b32 s7, s7
	s_cbranch_execz .LBB80_35
; %bb.30:                               ;   in Loop: Header=BB80_11 Depth=3
	s_xor_b32 s8, s57, -1
	s_delay_alu instid0(SALU_CYCLE_1) | instskip(NEXT) | instid1(SALU_CYCLE_1)
	s_and_saveexec_b32 s57, s8
	s_xor_b32 s8, exec_lo, s57
; %bb.31:                               ;   in Loop: Header=BB80_11 Depth=3
	ds_store_b64 v61, v[18:19] offset:4096
; %bb.32:                               ;   in Loop: Header=BB80_11 Depth=3
	s_and_not1_saveexec_b32 s8, s8
; %bb.33:                               ;   in Loop: Header=BB80_11 Depth=3
	ds_store_b64 v61, v[20:21] offset:4096
; %bb.34:                               ;   in Loop: Header=BB80_11 Depth=3
	s_or_b32 exec_lo, exec_lo, s8
.LBB80_35:                              ;   in Loop: Header=BB80_11 Depth=3
	s_delay_alu instid0(SALU_CYCLE_1) | instskip(SKIP_1) | instid1(SALU_CYCLE_1)
	s_or_b32 exec_lo, exec_lo, s7
	s_or_b32 s5, s6, s5
	s_or_b32 s5, s5, s56
	s_delay_alu instid0(SALU_CYCLE_1) | instskip(NEXT) | instid1(SALU_CYCLE_1)
	s_nor_b32 s5, s3, s5
	s_and_saveexec_b32 s6, s5
	s_delay_alu instid0(SALU_CYCLE_1)
	s_xor_b32 s5, exec_lo, s6
	s_cbranch_execz .LBB80_37
; %bb.36:                               ;   in Loop: Header=BB80_11 Depth=3
	global_load_b64 v[0:1], v[2:3], off offset:128
	s_wait_loadcnt 0x0
	v_xor_b32_e32 v1, 0x80000000, v1
	ds_store_b64 v61, v[0:1] offset:4224
.LBB80_37:                              ;   in Loop: Header=BB80_11 Depth=3
	s_wait_xcnt 0x0
	s_and_not1_saveexec_b32 s5, s5
	s_cbranch_execz .LBB80_43
; %bb.38:                               ;   in Loop: Header=BB80_11 Depth=3
	s_and_saveexec_b32 s6, s55
	s_delay_alu instid0(SALU_CYCLE_1)
	s_xor_b32 s6, exec_lo, s6
; %bb.39:                               ;   in Loop: Header=BB80_11 Depth=3
	ds_store_b64 v61, v[18:19] offset:4224
; %bb.40:                               ;   in Loop: Header=BB80_11 Depth=3
	s_and_not1_saveexec_b32 s6, s6
; %bb.41:                               ;   in Loop: Header=BB80_11 Depth=3
	ds_store_b64 v61, v[20:21] offset:4224
; %bb.42:                               ;   in Loop: Header=BB80_11 Depth=3
	s_or_b32 exec_lo, exec_lo, s6
.LBB80_43:                              ;   in Loop: Header=BB80_11 Depth=3
	s_delay_alu instid0(SALU_CYCLE_1) | instskip(SKIP_3) | instid1(VALU_DEP_3)
	s_or_b32 exec_lo, exec_lo, s5
	v_add_nc_u64_e32 v[2:3], s[46:47], v[16:17]
	v_add_nc_u64_e32 v[0:1], s[38:39], v[50:51]
	v_dual_mov_b32 v4, 0 :: v_dual_mov_b32 v5, 0
	v_cmp_gt_i64_e64 s5, s[42:43], v[2:3]
	s_and_b32 s7, vcc_lo, s5
	s_delay_alu instid0(SALU_CYCLE_1)
	s_and_saveexec_b32 s6, s7
	s_cbranch_execz .LBB80_45
; %bb.44:                               ;   in Loop: Header=BB80_11 Depth=3
	global_load_b64 v[4:5], v[0:1], off
.LBB80_45:                              ;   in Loop: Header=BB80_11 Depth=3
	s_wait_xcnt 0x0
	s_or_b32 exec_lo, exec_lo, s6
	v_cmp_gt_i64_e64 s6, s[20:21], v[2:3]
	s_wait_loadcnt 0x0
	ds_store_b64 v63, v[4:5]
	s_and_b32 s7, vcc_lo, s6
	s_delay_alu instid0(SALU_CYCLE_1) | instskip(NEXT) | instid1(SALU_CYCLE_1)
	s_xor_b32 s7, s7, -1
	s_and_saveexec_b32 s8, s7
	s_delay_alu instid0(SALU_CYCLE_1)
	s_xor_b32 s7, exec_lo, s8
; %bb.46:                               ;   in Loop: Header=BB80_11 Depth=3
	ds_store_b64 v63, v[18:19] offset:128
                                        ; implicit-def: $vgpr0_vgpr1
; %bb.47:                               ;   in Loop: Header=BB80_11 Depth=3
	s_and_not1_saveexec_b32 s7, s7
	s_cbranch_execz .LBB80_49
; %bb.48:                               ;   in Loop: Header=BB80_11 Depth=3
	global_load_b64 v[0:1], v[0:1], off offset:128
	s_wait_loadcnt 0x0
	ds_store_b64 v63, v[0:1] offset:128
.LBB80_49:                              ;   in Loop: Header=BB80_11 Depth=3
	s_wait_xcnt 0x0
	s_or_b32 exec_lo, exec_lo, s7
	v_add_nc_u64_e32 v[0:1], s[38:39], v[52:53]
	v_dual_mov_b32 v2, 0 :: v_dual_mov_b32 v3, 0
	s_and_b32 s7, s4, s5
	s_delay_alu instid0(SALU_CYCLE_1)
	s_and_saveexec_b32 s5, s7
	s_cbranch_execz .LBB80_51
; %bb.50:                               ;   in Loop: Header=BB80_11 Depth=3
	global_load_b64 v[2:3], v[0:1], off
.LBB80_51:                              ;   in Loop: Header=BB80_11 Depth=3
	s_wait_xcnt 0x0
	s_or_b32 exec_lo, exec_lo, s5
	s_and_b32 s5, s4, s6
	s_wait_loadcnt 0x0
	ds_store_b64 v63, v[2:3] offset:4096
	s_xor_b32 s5, s5, -1
	s_delay_alu instid0(SALU_CYCLE_1) | instskip(NEXT) | instid1(SALU_CYCLE_1)
	s_and_saveexec_b32 s6, s5
	s_xor_b32 s5, exec_lo, s6
; %bb.52:                               ;   in Loop: Header=BB80_11 Depth=3
	ds_store_b64 v63, v[18:19] offset:4224
                                        ; implicit-def: $vgpr0_vgpr1
; %bb.53:                               ;   in Loop: Header=BB80_11 Depth=3
	s_and_not1_saveexec_b32 s5, s5
	s_cbranch_execz .LBB80_10
; %bb.54:                               ;   in Loop: Header=BB80_11 Depth=3
	global_load_b64 v[0:1], v[0:1], off offset:128
	s_wait_loadcnt 0x0
	ds_store_b64 v63, v[0:1] offset:4224
	s_branch .LBB80_10
.LBB80_55:                              ;   in Loop: Header=BB80_8 Depth=2
	v_dual_mov_b32 v62, 0 :: v_dual_mov_b32 v64, 0
	v_dual_mov_b32 v58, 0 :: v_dual_mov_b32 v60, 0
	;; [unrolled: 1-line block ×4, first 2 shown]
.LBB80_56:                              ;   in Loop: Header=BB80_8 Depth=2
	v_mul_u64_e32 v[0:1], s[28:29], v[48:49]
	v_cmp_gt_i32_e32 vcc_lo, s10, v48
	s_and_b32 s5, s1, vcc_lo
	s_delay_alu instid0(VALU_DEP_2)
	v_lshl_add_u64 v[0:1], v[0:1], 3, s[26:27]
	s_and_saveexec_b32 s4, s5
	s_cbranch_execz .LBB80_58
; %bb.57:                               ;   in Loop: Header=BB80_8 Depth=2
	s_delay_alu instid0(VALU_DEP_1) | instskip(SKIP_4) | instid1(VALU_DEP_2)
	v_lshl_add_u64 v[2:3], v[16:17], 3, v[0:1]
	v_pk_mul_f32 v[6:7], v[64:65], v[44:45] op_sel_hi:[0,1]
	global_load_b64 v[4:5], v[2:3], off
	v_pk_fma_f32 v[8:9], v[62:63], v[36:37], v[6:7] op_sel_hi:[0,1,1]
	v_pk_fma_f32 v[6:7], v[62:63], v[36:37], v[6:7] neg_lo:[0,0,1] neg_hi:[0,0,1]
	v_mov_b32_e32 v7, v9
	s_wait_loadcnt 0x0
	s_delay_alu instid0(VALU_DEP_1)
	v_pk_add_f32 v[4:5], v[4:5], v[6:7]
	global_store_b64 v[2:3], v[4:5], off
.LBB80_58:                              ;   in Loop: Header=BB80_8 Depth=2
	s_wait_xcnt 0x0
	s_or_b32 exec_lo, exec_lo, s4
	s_and_b32 s5, s2, vcc_lo
	s_delay_alu instid0(SALU_CYCLE_1)
	s_and_saveexec_b32 s4, s5
	s_cbranch_execz .LBB80_60
; %bb.59:                               ;   in Loop: Header=BB80_8 Depth=2
	v_lshl_add_u64 v[0:1], v[24:25], 3, v[0:1]
	v_pk_mul_f32 v[4:5], v[60:61], v[44:45] op_sel_hi:[0,1]
	global_load_b64 v[2:3], v[0:1], off
	v_pk_fma_f32 v[6:7], v[58:59], v[36:37], v[4:5] op_sel_hi:[0,1,1]
	v_pk_fma_f32 v[4:5], v[58:59], v[36:37], v[4:5] neg_lo:[0,0,1] neg_hi:[0,0,1]
	s_delay_alu instid0(VALU_DEP_2) | instskip(SKIP_1) | instid1(VALU_DEP_1)
	v_mov_b32_e32 v5, v7
	s_wait_loadcnt 0x0
	v_pk_add_f32 v[2:3], v[2:3], v[4:5]
	global_store_b64 v[0:1], v[2:3], off
.LBB80_60:                              ;   in Loop: Header=BB80_8 Depth=2
	s_wait_xcnt 0x0
	s_or_b32 exec_lo, exec_lo, s4
	v_add_nc_u32_e32 v0, 16, v48
	s_delay_alu instid0(VALU_DEP_1) | instskip(SKIP_1) | instid1(VALU_DEP_2)
	v_ashrrev_i32_e32 v1, 31, v0
	v_cmp_gt_i32_e32 vcc_lo, s10, v0
	v_mul_u64_e32 v[2:3], s[28:29], v[0:1]
	s_and_b32 s5, s1, vcc_lo
	s_delay_alu instid0(VALU_DEP_1)
	v_lshl_add_u64 v[0:1], v[2:3], 3, s[26:27]
	s_and_saveexec_b32 s4, s5
	s_cbranch_execz .LBB80_62
; %bb.61:                               ;   in Loop: Header=BB80_8 Depth=2
	s_delay_alu instid0(VALU_DEP_1) | instskip(SKIP_4) | instid1(VALU_DEP_2)
	v_lshl_add_u64 v[2:3], v[16:17], 3, v[0:1]
	v_pk_mul_f32 v[6:7], v[56:57], v[44:45] op_sel_hi:[0,1]
	global_load_b64 v[4:5], v[2:3], off
	v_pk_fma_f32 v[8:9], v[54:55], v[36:37], v[6:7] op_sel_hi:[0,1,1]
	v_pk_fma_f32 v[6:7], v[54:55], v[36:37], v[6:7] neg_lo:[0,0,1] neg_hi:[0,0,1]
	v_mov_b32_e32 v7, v9
	s_wait_loadcnt 0x0
	s_delay_alu instid0(VALU_DEP_1)
	v_pk_add_f32 v[4:5], v[4:5], v[6:7]
	global_store_b64 v[2:3], v[4:5], off
.LBB80_62:                              ;   in Loop: Header=BB80_8 Depth=2
	s_wait_xcnt 0x0
	s_or_b32 exec_lo, exec_lo, s4
	s_and_b32 s5, s2, vcc_lo
	s_delay_alu instid0(SALU_CYCLE_1)
	s_and_saveexec_b32 s4, s5
	s_cbranch_execz .LBB80_7
; %bb.63:                               ;   in Loop: Header=BB80_8 Depth=2
	v_lshl_add_u64 v[0:1], v[24:25], 3, v[0:1]
	v_pk_mul_f32 v[4:5], v[12:13], v[44:45] op_sel_hi:[0,1]
	global_load_b64 v[2:3], v[0:1], off
	v_pk_fma_f32 v[6:7], v[14:15], v[36:37], v[4:5] op_sel_hi:[0,1,1]
	v_pk_fma_f32 v[4:5], v[14:15], v[36:37], v[4:5] neg_lo:[0,0,1] neg_hi:[0,0,1]
	s_delay_alu instid0(VALU_DEP_2) | instskip(SKIP_1) | instid1(VALU_DEP_1)
	v_mov_b32_e32 v5, v7
	s_wait_loadcnt 0x0
	v_pk_add_f32 v[2:3], v[2:3], v[4:5]
	global_store_b64 v[0:1], v[2:3], off
	s_branch .LBB80_7
.LBB80_64:
	s_sendmsg sendmsg(MSG_DEALLOC_VGPRS)
	s_endpgm
	.section	.rodata,"a",@progbits
	.p2align	6, 0x0
	.amdhsa_kernel _ZL30rocblas_trmm_outofplace_kernelI19rocblas_complex_numIfELi32ELi2ELb1ELb0ELb1ELb1EPKS1_S2_S1_Ev17rocblas_diagonal_iiT6_lPT7_lllS7_lllPT8_llli
		.amdhsa_group_segment_fixed_size 16384
		.amdhsa_private_segment_fixed_size 0
		.amdhsa_kernarg_size 392
		.amdhsa_user_sgpr_count 2
		.amdhsa_user_sgpr_dispatch_ptr 0
		.amdhsa_user_sgpr_queue_ptr 0
		.amdhsa_user_sgpr_kernarg_segment_ptr 1
		.amdhsa_user_sgpr_dispatch_id 0
		.amdhsa_user_sgpr_kernarg_preload_length 0
		.amdhsa_user_sgpr_kernarg_preload_offset 0
		.amdhsa_user_sgpr_private_segment_size 0
		.amdhsa_wavefront_size32 1
		.amdhsa_uses_dynamic_stack 0
		.amdhsa_enable_private_segment 0
		.amdhsa_system_sgpr_workgroup_id_x 1
		.amdhsa_system_sgpr_workgroup_id_y 1
		.amdhsa_system_sgpr_workgroup_id_z 1
		.amdhsa_system_sgpr_workgroup_info 0
		.amdhsa_system_vgpr_workitem_id 1
		.amdhsa_next_free_vgpr 80
		.amdhsa_next_free_sgpr 58
		.amdhsa_named_barrier_count 0
		.amdhsa_reserve_vcc 1
		.amdhsa_float_round_mode_32 0
		.amdhsa_float_round_mode_16_64 0
		.amdhsa_float_denorm_mode_32 3
		.amdhsa_float_denorm_mode_16_64 3
		.amdhsa_fp16_overflow 0
		.amdhsa_memory_ordered 1
		.amdhsa_forward_progress 1
		.amdhsa_inst_pref_size 60
		.amdhsa_round_robin_scheduling 0
		.amdhsa_exception_fp_ieee_invalid_op 0
		.amdhsa_exception_fp_denorm_src 0
		.amdhsa_exception_fp_ieee_div_zero 0
		.amdhsa_exception_fp_ieee_overflow 0
		.amdhsa_exception_fp_ieee_underflow 0
		.amdhsa_exception_fp_ieee_inexact 0
		.amdhsa_exception_int_div_zero 0
	.end_amdhsa_kernel
	.section	.text._ZL30rocblas_trmm_outofplace_kernelI19rocblas_complex_numIfELi32ELi2ELb1ELb0ELb1ELb1EPKS1_S2_S1_Ev17rocblas_diagonal_iiT6_lPT7_lllS7_lllPT8_llli,"axG",@progbits,_ZL30rocblas_trmm_outofplace_kernelI19rocblas_complex_numIfELi32ELi2ELb1ELb0ELb1ELb1EPKS1_S2_S1_Ev17rocblas_diagonal_iiT6_lPT7_lllS7_lllPT8_llli,comdat
.Lfunc_end80:
	.size	_ZL30rocblas_trmm_outofplace_kernelI19rocblas_complex_numIfELi32ELi2ELb1ELb0ELb1ELb1EPKS1_S2_S1_Ev17rocblas_diagonal_iiT6_lPT7_lllS7_lllPT8_llli, .Lfunc_end80-_ZL30rocblas_trmm_outofplace_kernelI19rocblas_complex_numIfELi32ELi2ELb1ELb0ELb1ELb1EPKS1_S2_S1_Ev17rocblas_diagonal_iiT6_lPT7_lllS7_lllPT8_llli
                                        ; -- End function
	.set _ZL30rocblas_trmm_outofplace_kernelI19rocblas_complex_numIfELi32ELi2ELb1ELb0ELb1ELb1EPKS1_S2_S1_Ev17rocblas_diagonal_iiT6_lPT7_lllS7_lllPT8_llli.num_vgpr, 80
	.set _ZL30rocblas_trmm_outofplace_kernelI19rocblas_complex_numIfELi32ELi2ELb1ELb0ELb1ELb1EPKS1_S2_S1_Ev17rocblas_diagonal_iiT6_lPT7_lllS7_lllPT8_llli.num_agpr, 0
	.set _ZL30rocblas_trmm_outofplace_kernelI19rocblas_complex_numIfELi32ELi2ELb1ELb0ELb1ELb1EPKS1_S2_S1_Ev17rocblas_diagonal_iiT6_lPT7_lllS7_lllPT8_llli.numbered_sgpr, 58
	.set _ZL30rocblas_trmm_outofplace_kernelI19rocblas_complex_numIfELi32ELi2ELb1ELb0ELb1ELb1EPKS1_S2_S1_Ev17rocblas_diagonal_iiT6_lPT7_lllS7_lllPT8_llli.num_named_barrier, 0
	.set _ZL30rocblas_trmm_outofplace_kernelI19rocblas_complex_numIfELi32ELi2ELb1ELb0ELb1ELb1EPKS1_S2_S1_Ev17rocblas_diagonal_iiT6_lPT7_lllS7_lllPT8_llli.private_seg_size, 0
	.set _ZL30rocblas_trmm_outofplace_kernelI19rocblas_complex_numIfELi32ELi2ELb1ELb0ELb1ELb1EPKS1_S2_S1_Ev17rocblas_diagonal_iiT6_lPT7_lllS7_lllPT8_llli.uses_vcc, 1
	.set _ZL30rocblas_trmm_outofplace_kernelI19rocblas_complex_numIfELi32ELi2ELb1ELb0ELb1ELb1EPKS1_S2_S1_Ev17rocblas_diagonal_iiT6_lPT7_lllS7_lllPT8_llli.uses_flat_scratch, 0
	.set _ZL30rocblas_trmm_outofplace_kernelI19rocblas_complex_numIfELi32ELi2ELb1ELb0ELb1ELb1EPKS1_S2_S1_Ev17rocblas_diagonal_iiT6_lPT7_lllS7_lllPT8_llli.has_dyn_sized_stack, 0
	.set _ZL30rocblas_trmm_outofplace_kernelI19rocblas_complex_numIfELi32ELi2ELb1ELb0ELb1ELb1EPKS1_S2_S1_Ev17rocblas_diagonal_iiT6_lPT7_lllS7_lllPT8_llli.has_recursion, 0
	.set _ZL30rocblas_trmm_outofplace_kernelI19rocblas_complex_numIfELi32ELi2ELb1ELb0ELb1ELb1EPKS1_S2_S1_Ev17rocblas_diagonal_iiT6_lPT7_lllS7_lllPT8_llli.has_indirect_call, 0
	.section	.AMDGPU.csdata,"",@progbits
; Kernel info:
; codeLenInByte = 7644
; TotalNumSgprs: 60
; NumVgprs: 80
; ScratchSize: 0
; MemoryBound: 0
; FloatMode: 240
; IeeeMode: 1
; LDSByteSize: 16384 bytes/workgroup (compile time only)
; SGPRBlocks: 0
; VGPRBlocks: 4
; NumSGPRsForWavesPerEU: 60
; NumVGPRsForWavesPerEU: 80
; NamedBarCnt: 0
; Occupancy: 12
; WaveLimiterHint : 0
; COMPUTE_PGM_RSRC2:SCRATCH_EN: 0
; COMPUTE_PGM_RSRC2:USER_SGPR: 2
; COMPUTE_PGM_RSRC2:TRAP_HANDLER: 0
; COMPUTE_PGM_RSRC2:TGID_X_EN: 1
; COMPUTE_PGM_RSRC2:TGID_Y_EN: 1
; COMPUTE_PGM_RSRC2:TGID_Z_EN: 1
; COMPUTE_PGM_RSRC2:TIDIG_COMP_CNT: 1
	.section	.text._ZL30rocblas_trmm_outofplace_kernelI19rocblas_complex_numIfELi32ELi2ELb1ELb0ELb1ELb1ES1_KS1_S1_Ev17rocblas_diagonal_iiT6_lPT7_lllS6_lllPT8_llli,"axG",@progbits,_ZL30rocblas_trmm_outofplace_kernelI19rocblas_complex_numIfELi32ELi2ELb1ELb0ELb1ELb1ES1_KS1_S1_Ev17rocblas_diagonal_iiT6_lPT7_lllS6_lllPT8_llli,comdat
	.globl	_ZL30rocblas_trmm_outofplace_kernelI19rocblas_complex_numIfELi32ELi2ELb1ELb0ELb1ELb1ES1_KS1_S1_Ev17rocblas_diagonal_iiT6_lPT7_lllS6_lllPT8_llli ; -- Begin function _ZL30rocblas_trmm_outofplace_kernelI19rocblas_complex_numIfELi32ELi2ELb1ELb0ELb1ELb1ES1_KS1_S1_Ev17rocblas_diagonal_iiT6_lPT7_lllS6_lllPT8_llli
	.p2align	8
	.type	_ZL30rocblas_trmm_outofplace_kernelI19rocblas_complex_numIfELi32ELi2ELb1ELb0ELb1ELb1ES1_KS1_S1_Ev17rocblas_diagonal_iiT6_lPT7_lllS6_lllPT8_llli,@function
_ZL30rocblas_trmm_outofplace_kernelI19rocblas_complex_numIfELi32ELi2ELb1ELb0ELb1ELb1ES1_KS1_S1_Ev17rocblas_diagonal_iiT6_lPT7_lllS6_lllPT8_llli: ; @_ZL30rocblas_trmm_outofplace_kernelI19rocblas_complex_numIfELi32ELi2ELb1ELb0ELb1ELb1ES1_KS1_S1_Ev17rocblas_diagonal_iiT6_lPT7_lllS6_lllPT8_llli
; %bb.0:
	s_load_b32 s31, s[0:1], 0x80
	s_bfe_u32 s2, ttmp6, 0x40014
	s_lshr_b32 s3, ttmp7, 16
	s_add_co_i32 s2, s2, 1
	s_bfe_u32 s5, ttmp6, 0x40008
	s_mul_i32 s4, s3, s2
	s_getreg_b32 s2, hwreg(HW_REG_IB_STS2, 6, 4)
	s_add_co_i32 s5, s5, s4
	s_cmp_eq_u32 s2, 0
	s_cselect_b32 s34, s3, s5
	s_wait_kmcnt 0x0
	s_cmp_ge_u32 s34, s31
	s_cbranch_scc1 .LBB81_63
; %bb.1:
	s_load_b64 s[36:37], s[0:1], 0xc
	s_wait_kmcnt 0x0
	s_or_b32 s3, s36, s37
	s_delay_alu instid0(SALU_CYCLE_1) | instskip(NEXT) | instid1(SALU_CYCLE_1)
	s_bitset0_b32 s3, 31
	s_cmp_eq_u32 s3, 0
	s_cbranch_scc1 .LBB81_63
; %bb.2:
	s_load_b96 s[28:30], s[0:1], 0x0
	s_bfe_u32 s4, ttmp6, 0x4000c
	s_bfe_u32 s6, ttmp6, 0x40010
	s_and_b32 s5, ttmp7, 0xffff
	s_add_co_i32 s4, s4, 1
	s_add_co_i32 s6, s6, 1
	s_and_b32 s3, ttmp6, 15
	s_bfe_u32 s7, ttmp6, 0x40004
	s_mul_i32 s4, ttmp9, s4
	s_mul_i32 s6, s5, s6
	s_add_co_i32 s3, s3, s4
	s_add_co_i32 s7, s7, s6
	v_and_b32_e32 v8, 0x3ff, v0
	v_bfe_u32 v59, v0, 10, 10
	s_load_b256 s[20:27], s[0:1], 0x60
	v_mov_b64_e32 v[22:23], 0
	v_mov_b64_e32 v[24:25], 0x3f800000
	s_add_nc_u64 s[38:39], s[0:1], 0x88
	s_mov_b32 s35, 0
	s_mov_b32 s40, s37
	s_wait_kmcnt 0x0
	s_add_co_i32 s8, s30, -1
	s_mov_b32 s42, s29
	s_ashr_i32 s9, s8, 31
	s_mov_b32 s41, s36
	s_lshr_b32 s9, s9, 27
	s_mov_b32 s44, s30
	s_add_co_i32 s8, s8, s9
	v_lshlrev_b32_e32 v9, 8, v59
	s_ashr_i32 s33, s8, 5
	s_cmp_eq_u32 s2, 0
	s_cselect_b32 s48, s5, s7
	s_cselect_b32 s2, ttmp9, s3
	s_cmp_le_i32 s48, s33
	s_load_b512 s[4:19], s[0:1], 0x20
	s_cselect_b32 s49, -1, 0
	s_lshl_b32 s43, s2, 5
	s_delay_alu instid0(SALU_CYCLE_1) | instskip(SKIP_3) | instid1(VALU_DEP_3)
	v_dual_lshlrev_b32 v61, 3, v8 :: v_dual_add_nc_u32 v26, s43, v59
	v_add_nc_u32_e32 v20, s43, v8
	s_sub_co_i32 s50, s29, s43
	v_lshl_add_u32 v69, s48, 5, v59
	v_add_nc_u32_e32 v65, v61, v9
	s_cmp_gt_i32 s50, 0
	v_ashrrev_i32_e32 v21, 31, v20
	s_cselect_b32 s51, -1, 0
	s_cmp_eq_u32 s28, 0x84
	v_add_nc_u32_e32 v63, 0x2000, v9
	s_cselect_b32 s52, -1, 0
	v_lshlrev_b64_e32 v[0:1], 3, v[20:21]
	v_ashrrev_i32_e32 v27, 31, v26
	v_add_nc_u64_e32 v[30:31], 16, v[20:21]
	v_dual_add_nc_u32 v67, v63, v61 :: v_dual_add_nc_u32 v28, 16, v20
	s_wait_kmcnt 0x0
	v_mul_u64_e32 v[4:5], s[8:9], v[20:21]
	s_lshl_b64 s[2:3], s[6:7], 3
	v_add_nc_u64_e32 v[2:3], 0x80, v[0:1]
	v_sub_nc_u64_e32 v[32:33], v[20:21], v[26:27]
	s_lshl_b64 s[6:7], s[22:23], 3
	s_ashr_i32 s43, s29, 31
	v_cmp_le_i32_e64 s0, s29, v20
	v_cmp_gt_i32_e64 s1, s29, v20
	v_ashrrev_i32_e32 v29, 31, v28
	v_mad_nc_u64_u32 v[6:7], s8, v2, s[2:3]
	v_add_nc_u64_e32 v[34:35], 16, v[32:33]
	v_add_nc_u64_e32 v[36:37], -16, v[32:33]
	v_add_nc_u32_e32 v70, 0x800, v61
	v_add_nc_u32_e32 v71, 0x1000, v61
	;; [unrolled: 1-line block ×3, first 2 shown]
	s_ashr_i32 s45, s30, 31
	s_lshl_b64 s[10:11], s[10:11], 3
	v_mad_u32 v2, s9, v2, v7
	s_delay_alu instid0(VALU_DEP_1)
	v_mad_u32 v7, s8, v3, v2
	v_lshlrev_b64_e32 v[2:3], 3, v[26:27]
	v_lshl_add_u64 v[4:5], v[4:5], 3, s[2:3]
	s_lshl_b64 s[8:9], s[14:15], 3
	s_add_nc_u64 s[14:15], s[20:21], s[6:7]
	s_add_nc_u64 s[6:7], s[12:13], s[8:9]
	v_cmp_le_i64_e64 s3, s[42:43], v[30:31]
	v_add_nc_u64_e32 v[38:39], s[6:7], v[0:1]
	v_add_nc_u64_e32 v[4:5], v[4:5], v[2:3]
	v_cmp_gt_i32_e64 s2, s29, v28
	s_add_nc_u64 s[20:21], s[42:43], -16
	v_add_nc_u64_e32 v[2:3], v[6:7], v[2:3]
	s_lshl_b64 s[12:13], s[18:19], 3
	s_lshl_b64 s[18:19], s[16:17], 3
	v_add_nc_u64_e32 v[40:41], s[4:5], v[4:5]
	s_delay_alu instid0(VALU_DEP_2)
	v_add_nc_u64_e32 v[42:43], s[4:5], v[2:3]
	s_branch .LBB81_4
.LBB81_3:                               ;   in Loop: Header=BB81_4 Depth=1
	s_add_co_i32 s34, s34, 0x10000
	s_delay_alu instid0(SALU_CYCLE_1)
	s_cmp_ge_u32 s34, s31
	s_cbranch_scc1 .LBB81_63
.LBB81_4:                               ; =>This Loop Header: Depth=1
                                        ;     Child Loop BB81_7 Depth 2
                                        ;       Child Loop BB81_10 Depth 3
	s_and_not1_b32 vcc_lo, exec_lo, s49
	s_cbranch_vccnz .LBB81_3
; %bb.5:                                ;   in Loop: Header=BB81_4 Depth=1
	s_load_b32 s9, s[38:39], 0x4
	v_mad_nc_u64_u32 v[44:45], s12, s34, v[38:39]
	s_delay_alu instid0(VALU_DEP_2)
	v_mad_nc_u64_u32 v[46:47], s10, s34, v[42:43]
	v_mad_nc_u64_u32 v[48:49], s10, s34, v[40:41]
	s_mul_i32 s6, s11, s34
	s_mul_u64 s[4:5], s[26:27], s[34:35]
	v_mov_b32_e32 v50, v69
	s_lshl_b64 s[4:5], s[4:5], 3
	s_mov_b32 s54, s48
	s_add_nc_u64 s[22:23], s[14:15], s[4:5]
	s_delay_alu instid0(VALU_DEP_4) | instskip(NEXT) | instid1(VALU_DEP_3)
	v_mad_u32 v45, s13, s34, v45
	v_dual_add_nc_u32 v47, s6, v47 :: v_dual_add_nc_u32 v49, s6, v49
	s_wait_kmcnt 0x0
	s_lshl_b32 s53, s9, 5
	s_branch .LBB81_7
.LBB81_6:                               ;   in Loop: Header=BB81_7 Depth=2
	s_wait_xcnt 0x0
	s_or_b32 exec_lo, exec_lo, s4
	v_add_nc_u32_e32 v50, s53, v50
	s_add_co_i32 s54, s9, s54
	s_delay_alu instid0(SALU_CYCLE_1)
	s_cmp_gt_i32 s54, s33
	s_cbranch_scc1 .LBB81_3
.LBB81_7:                               ;   Parent Loop BB81_4 Depth=1
                                        ; =>  This Loop Header: Depth=2
                                        ;       Child Loop BB81_10 Depth 3
	v_lshl_add_u32 v52, s54, 5, v59
	s_and_not1_b32 vcc_lo, exec_lo, s51
	s_delay_alu instid0(VALU_DEP_1)
	v_ashrrev_i32_e32 v53, 31, v52
	s_cbranch_vccnz .LBB81_54
; %bb.8:                                ;   in Loop: Header=BB81_7 Depth=2
	v_dual_mov_b32 v18, 0 :: v_dual_ashrrev_i32 v51, 31, v50
	v_mad_nc_u64_u32 v[54:55], s18, v50, v[44:45]
	s_delay_alu instid0(VALU_DEP_3) | instskip(SKIP_1) | instid1(VALU_DEP_4)
	v_sub_nc_u64_e32 v[2:3], s[44:45], v[52:53]
	v_dual_mov_b32 v60, 0 :: v_dual_mov_b32 v58, 0
	v_lshl_add_u64 v[0:1], v[50:51], 3, 0x80
	v_dual_mov_b32 v16, 0 :: v_dual_mov_b32 v64, 0
	v_dual_mov_b32 v62, 0 :: v_dual_mov_b32 v68, 0
	s_delay_alu instid0(VALU_DEP_3)
	v_mad_nc_u64_u32 v[56:57], s16, v0, v[44:45]
	v_cmp_lt_i64_e64 s4, 16, v[2:3]
	v_mad_u32 v4, s19, v50, v55
	v_mov_b32_e32 v66, 0
	s_mov_b64 s[28:29], 0
	s_mov_b64 s[46:47], 0
	v_cmp_lt_i64_e32 vcc_lo, 0, v[2:3]
	v_mad_u32 v0, s17, v0, v57
	s_delay_alu instid0(VALU_DEP_4) | instskip(NEXT) | instid1(VALU_DEP_2)
	v_mad_u32 v55, s18, v51, v4
	v_mad_u32 v57, s16, v1, v0
	s_branch .LBB81_10
.LBB81_9:                               ;   in Loop: Header=BB81_10 Depth=3
	s_wait_xcnt 0x0
	s_or_b32 exec_lo, exec_lo, s5
	s_wait_dscnt 0x0
	s_barrier_signal -1
	s_barrier_wait -1
	ds_load_b128 v[12:15], v63
	ds_load_b128 v[8:11], v63 offset:16
	ds_load_b128 v[4:7], v63 offset:32
	;; [unrolled: 1-line block ×3, first 2 shown]
	ds_load_2addr_b64 v[74:77], v61 offset1:16
	ds_load_b128 v[78:81], v63 offset:4096
	s_add_nc_u64 s[46:47], s[46:47], 32
	s_add_nc_u64 s[28:29], s[28:29], 0x100
	s_cmp_ge_i32 s46, s50
	s_wait_dscnt 0x1
	v_dual_mul_f32 v17, v13, v75 :: v_dual_mul_f32 v19, v12, v75
	s_delay_alu instid0(VALU_DEP_1) | instskip(NEXT) | instid1(VALU_DEP_1)
	v_dual_fma_f32 v17, v12, v74, -v17 :: v_dual_fmac_f32 v19, v13, v74
	v_dual_add_f32 v51, v66, v17 :: v_dual_add_f32 v66, v68, v19
	s_wait_dscnt 0x0
	v_dual_mul_f32 v17, v13, v77 :: v_dual_mul_f32 v19, v78, v75
	s_delay_alu instid0(VALU_DEP_1) | instskip(NEXT) | instid1(VALU_DEP_1)
	v_dual_fma_f32 v17, v12, v76, -v17 :: v_dual_mul_f32 v12, v12, v77
	v_dual_fmac_f32 v19, v79, v74 :: v_dual_fmac_f32 v12, v13, v76
	s_delay_alu instid0(VALU_DEP_2) | instskip(NEXT) | instid1(VALU_DEP_2)
	v_dual_add_f32 v13, v62, v17 :: v_dual_mul_f32 v17, v79, v75
	v_dual_add_f32 v58, v58, v19 :: v_dual_add_f32 v12, v64, v12
	s_delay_alu instid0(VALU_DEP_2) | instskip(NEXT) | instid1(VALU_DEP_1)
	v_fma_f32 v17, v78, v74, -v17
	v_add_f32_e32 v62, v16, v17
	v_dual_mul_f32 v16, v79, v77 :: v_dual_mul_f32 v17, v78, v77
	s_delay_alu instid0(VALU_DEP_1) | instskip(NEXT) | instid1(VALU_DEP_1)
	v_dual_fma_f32 v16, v78, v76, -v16 :: v_dual_fmac_f32 v17, v79, v76
	v_dual_add_f32 v60, v60, v16 :: v_dual_add_f32 v64, v18, v17
	ds_load_2addr_b64 v[16:19], v61 offset0:32 offset1:48
	s_wait_dscnt 0x0
	v_dual_mul_f32 v68, v15, v17 :: v_dual_mul_f32 v73, v14, v17
	s_delay_alu instid0(VALU_DEP_1) | instskip(NEXT) | instid1(VALU_DEP_1)
	v_dual_fma_f32 v68, v14, v16, -v68 :: v_dual_fmac_f32 v73, v15, v16
	v_dual_add_f32 v51, v51, v68 :: v_dual_add_f32 v66, v66, v73
	v_mul_f32_e32 v68, v15, v19
	s_delay_alu instid0(VALU_DEP_1) | instskip(NEXT) | instid1(VALU_DEP_1)
	v_dual_fma_f32 v68, v14, v18, -v68 :: v_dual_mul_f32 v14, v14, v19
	v_dual_fmac_f32 v14, v15, v18 :: v_dual_add_f32 v13, v13, v68
	v_mul_f32_e32 v15, v80, v17
	s_delay_alu instid0(VALU_DEP_2) | instskip(NEXT) | instid1(VALU_DEP_1)
	v_dual_add_f32 v12, v12, v14 :: v_dual_mul_f32 v14, v81, v17
	v_dual_fmac_f32 v15, v81, v16 :: v_dual_fma_f32 v14, v80, v16, -v14
	s_delay_alu instid0(VALU_DEP_1) | instskip(NEXT) | instid1(VALU_DEP_2)
	v_dual_add_f32 v62, v62, v14 :: v_dual_mul_f32 v14, v81, v19
	v_add_f32_e32 v68, v58, v15
	s_delay_alu instid0(VALU_DEP_2) | instskip(NEXT) | instid1(VALU_DEP_1)
	v_dual_mul_f32 v15, v80, v19 :: v_dual_fma_f32 v14, v80, v18, -v14
	v_fmac_f32_e32 v15, v81, v18
	ds_load_2addr_b64 v[16:19], v61 offset0:64 offset1:80
	s_wait_dscnt 0x0
	v_dual_add_f32 v60, v60, v14 :: v_dual_mul_f32 v14, v9, v17
	s_delay_alu instid0(VALU_DEP_1) | instskip(SKIP_1) | instid1(VALU_DEP_2)
	v_fma_f32 v14, v8, v16, -v14
	v_add_f32_e32 v64, v64, v15
	v_dual_mul_f32 v15, v8, v17 :: v_dual_add_f32 v51, v51, v14
	s_delay_alu instid0(VALU_DEP_1) | instskip(NEXT) | instid1(VALU_DEP_1)
	v_dual_mul_f32 v14, v9, v19 :: v_dual_fmac_f32 v15, v9, v16
	v_dual_fma_f32 v14, v8, v18, -v14 :: v_dual_add_f32 v58, v66, v15
	s_delay_alu instid0(VALU_DEP_1) | instskip(NEXT) | instid1(VALU_DEP_1)
	v_dual_mul_f32 v15, v8, v19 :: v_dual_add_f32 v8, v13, v14
	v_fmac_f32_e32 v15, v9, v18
	s_delay_alu instid0(VALU_DEP_1) | instskip(SKIP_3) | instid1(VALU_DEP_1)
	v_add_f32_e32 v9, v12, v15
	ds_load_b128 v[12:15], v63 offset:4112
	s_wait_dscnt 0x0
	v_mul_f32_e32 v66, v13, v17
	v_dual_fma_f32 v66, v12, v16, -v66 :: v_dual_mul_f32 v17, v12, v17
	s_delay_alu instid0(VALU_DEP_1) | instskip(SKIP_1) | instid1(VALU_DEP_1)
	v_dual_add_f32 v62, v62, v66 :: v_dual_fmac_f32 v17, v13, v16
	v_mul_f32_e32 v16, v13, v19
	v_dual_fma_f32 v16, v12, v18, -v16 :: v_dual_mul_f32 v12, v12, v19
	s_delay_alu instid0(VALU_DEP_1) | instskip(NEXT) | instid1(VALU_DEP_2)
	v_dual_add_f32 v66, v68, v17 :: v_dual_fmac_f32 v12, v13, v18
	v_add_f32_e32 v13, v60, v16
	ds_load_2addr_b64 v[16:19], v61 offset0:96 offset1:112
	s_wait_dscnt 0x0
	v_dual_add_f32 v12, v64, v12 :: v_dual_mul_f32 v64, v10, v17
	s_delay_alu instid0(VALU_DEP_1) | instskip(NEXT) | instid1(VALU_DEP_1)
	v_dual_mul_f32 v60, v11, v17 :: v_dual_fmac_f32 v64, v11, v16
	v_fma_f32 v60, v10, v16, -v60
	s_delay_alu instid0(VALU_DEP_1) | instskip(SKIP_1) | instid1(VALU_DEP_1)
	v_add_f32_e32 v51, v51, v60
	v_mul_f32_e32 v60, v11, v19
	v_dual_fma_f32 v60, v10, v18, -v60 :: v_dual_mul_f32 v10, v10, v19
	s_delay_alu instid0(VALU_DEP_1) | instskip(NEXT) | instid1(VALU_DEP_2)
	v_dual_add_f32 v58, v58, v64 :: v_dual_fmac_f32 v10, v11, v18
	v_dual_add_f32 v60, v8, v60 :: v_dual_mul_f32 v8, v15, v17
	s_delay_alu instid0(VALU_DEP_2) | instskip(NEXT) | instid1(VALU_DEP_1)
	v_dual_add_f32 v64, v9, v10 :: v_dual_mul_f32 v9, v14, v17
	v_dual_fma_f32 v8, v14, v16, -v8 :: v_dual_fmac_f32 v9, v15, v16
	s_delay_alu instid0(VALU_DEP_1) | instskip(NEXT) | instid1(VALU_DEP_2)
	v_dual_add_f32 v16, v62, v8 :: v_dual_mul_f32 v8, v15, v19
	v_add_f32_e32 v17, v66, v9
	s_delay_alu instid0(VALU_DEP_2) | instskip(NEXT) | instid1(VALU_DEP_1)
	v_dual_mul_f32 v9, v14, v19 :: v_dual_fma_f32 v8, v14, v18, -v8
	v_dual_fmac_f32 v9, v15, v18 :: v_dual_add_f32 v18, v13, v8
	s_delay_alu instid0(VALU_DEP_1) | instskip(SKIP_3) | instid1(VALU_DEP_1)
	v_add_f32_e32 v19, v12, v9
	ds_load_2addr_b64 v[8:11], v61 offset0:128 offset1:144
	s_wait_dscnt 0x0
	v_dual_mul_f32 v12, v5, v9 :: v_dual_mul_f32 v13, v4, v9
	v_dual_fma_f32 v12, v4, v8, -v12 :: v_dual_fmac_f32 v13, v5, v8
	s_delay_alu instid0(VALU_DEP_1) | instskip(SKIP_1) | instid1(VALU_DEP_1)
	v_dual_add_f32 v51, v51, v12 :: v_dual_add_f32 v58, v58, v13
	v_mul_f32_e32 v12, v5, v11
	v_dual_fma_f32 v12, v4, v10, -v12 :: v_dual_mul_f32 v4, v4, v11
	s_delay_alu instid0(VALU_DEP_1) | instskip(SKIP_3) | instid1(VALU_DEP_1)
	v_dual_fmac_f32 v4, v5, v10 :: v_dual_add_f32 v5, v60, v12
	ds_load_b128 v[12:15], v63 offset:4128
	s_wait_dscnt 0x0
	v_dual_mul_f32 v60, v13, v9 :: v_dual_mul_f32 v9, v12, v9
	v_dual_fma_f32 v60, v12, v8, -v60 :: v_dual_fmac_f32 v9, v13, v8
	v_dual_mul_f32 v8, v13, v11 :: v_dual_add_f32 v4, v64, v4
	s_delay_alu instid0(VALU_DEP_1) | instskip(SKIP_1) | instid1(VALU_DEP_1)
	v_dual_add_f32 v17, v17, v9 :: v_dual_fma_f32 v8, v12, v10, -v8
	v_mul_f32_e32 v9, v12, v11
	v_dual_add_f32 v16, v16, v60 :: v_dual_fmac_f32 v9, v13, v10
	s_delay_alu instid0(VALU_DEP_1) | instskip(SKIP_3) | instid1(VALU_DEP_1)
	v_dual_add_f32 v12, v18, v8 :: v_dual_add_f32 v13, v19, v9
	ds_load_2addr_b64 v[8:11], v61 offset0:160 offset1:176
	s_wait_dscnt 0x0
	v_dual_mul_f32 v18, v7, v9 :: v_dual_mul_f32 v19, v6, v9
	v_dual_fma_f32 v18, v6, v8, -v18 :: v_dual_fmac_f32 v19, v7, v8
	s_delay_alu instid0(VALU_DEP_1) | instskip(SKIP_1) | instid1(VALU_DEP_1)
	v_dual_add_f32 v18, v51, v18 :: v_dual_add_f32 v19, v58, v19
	v_mul_f32_e32 v51, v7, v11
	v_dual_fma_f32 v51, v6, v10, -v51 :: v_dual_mul_f32 v6, v6, v11
	s_delay_alu instid0(VALU_DEP_1) | instskip(NEXT) | instid1(VALU_DEP_1)
	v_dual_fmac_f32 v6, v7, v10 :: v_dual_add_f32 v5, v5, v51
	v_dual_mul_f32 v7, v14, v9 :: v_dual_add_f32 v4, v4, v6
	s_delay_alu instid0(VALU_DEP_1) | instskip(NEXT) | instid1(VALU_DEP_1)
	v_dual_mul_f32 v6, v15, v9 :: v_dual_fmac_f32 v7, v15, v8
	v_dual_fma_f32 v6, v14, v8, -v6 :: v_dual_add_f32 v17, v17, v7
	s_delay_alu instid0(VALU_DEP_1) | instskip(NEXT) | instid1(VALU_DEP_1)
	v_dual_mul_f32 v7, v14, v11 :: v_dual_add_f32 v16, v16, v6
	v_dual_mul_f32 v6, v15, v11 :: v_dual_fmac_f32 v7, v15, v10
	s_delay_alu instid0(VALU_DEP_1) | instskip(SKIP_4) | instid1(VALU_DEP_1)
	v_fma_f32 v6, v14, v10, -v6
	ds_load_2addr_b64 v[8:11], v61 offset0:192 offset1:208
	v_dual_add_f32 v15, v13, v7 :: v_dual_add_f32 v14, v12, v6
	s_wait_dscnt 0x0
	v_dual_mul_f32 v6, v1, v9 :: v_dual_mul_f32 v7, v0, v9
	v_dual_fma_f32 v6, v0, v8, -v6 :: v_dual_fmac_f32 v7, v1, v8
	s_delay_alu instid0(VALU_DEP_1) | instskip(SKIP_1) | instid1(VALU_DEP_1)
	v_dual_add_f32 v12, v18, v6 :: v_dual_add_f32 v13, v19, v7
	v_dual_mul_f32 v6, v1, v11 :: v_dual_mul_f32 v7, v0, v11
	v_dual_fma_f32 v6, v0, v10, -v6 :: v_dual_fmac_f32 v7, v1, v10
	s_delay_alu instid0(VALU_DEP_1) | instskip(SKIP_3) | instid1(VALU_DEP_1)
	v_dual_add_f32 v0, v5, v6 :: v_dual_add_f32 v1, v4, v7
	ds_load_b128 v[4:7], v63 offset:4144
	s_wait_dscnt 0x0
	v_dual_mul_f32 v18, v5, v9 :: v_dual_mul_f32 v9, v4, v9
	v_dual_fma_f32 v18, v4, v8, -v18 :: v_dual_fmac_f32 v9, v5, v8
	s_delay_alu instid0(VALU_DEP_1) | instskip(NEXT) | instid1(VALU_DEP_1)
	v_dual_mul_f32 v8, v5, v11 :: v_dual_add_f32 v16, v16, v18
	v_dual_add_f32 v17, v17, v9 :: v_dual_fma_f32 v8, v4, v10, -v8
	v_mul_f32_e32 v4, v4, v11
	s_delay_alu instid0(VALU_DEP_1) | instskip(NEXT) | instid1(VALU_DEP_1)
	v_fmac_f32_e32 v4, v5, v10
	v_add_f32_e32 v4, v15, v4
	s_delay_alu instid0(VALU_DEP_4) | instskip(SKIP_3) | instid1(VALU_DEP_1)
	v_add_f32_e32 v5, v14, v8
	ds_load_2addr_b64 v[8:11], v61 offset0:224 offset1:240
	s_wait_dscnt 0x0
	v_dual_mul_f32 v14, v3, v9 :: v_dual_mul_f32 v15, v2, v9
	v_dual_fma_f32 v14, v2, v8, -v14 :: v_dual_fmac_f32 v15, v3, v8
	s_delay_alu instid0(VALU_DEP_1) | instskip(SKIP_1) | instid1(VALU_DEP_1)
	v_dual_add_f32 v12, v12, v14 :: v_dual_add_f32 v13, v13, v15
	v_mul_f32_e32 v14, v3, v11
	v_dual_fma_f32 v14, v2, v10, -v14 :: v_dual_mul_f32 v2, v2, v11
	s_delay_alu instid0(VALU_DEP_1) | instskip(NEXT) | instid1(VALU_DEP_1)
	v_dual_add_f32 v14, v0, v14 :: v_dual_mul_f32 v0, v7, v9
	v_dual_fmac_f32 v2, v3, v10 :: v_dual_fma_f32 v0, v6, v8, -v0
	s_delay_alu instid0(VALU_DEP_1) | instskip(NEXT) | instid1(VALU_DEP_1)
	v_dual_add_f32 v15, v1, v2 :: v_dual_mul_f32 v1, v6, v9
	v_fmac_f32_e32 v1, v7, v8
	s_delay_alu instid0(VALU_DEP_3) | instskip(NEXT) | instid1(VALU_DEP_2)
	v_dual_add_f32 v8, v16, v0 :: v_dual_mul_f32 v0, v7, v11
	v_dual_add_f32 v9, v17, v1 :: v_dual_mul_f32 v1, v6, v11
	s_delay_alu instid0(VALU_DEP_1) | instskip(NEXT) | instid1(VALU_DEP_1)
	v_dual_fma_f32 v0, v6, v10, -v0 :: v_dual_fmac_f32 v1, v7, v10
	v_dual_add_f32 v16, v5, v0 :: v_dual_add_f32 v17, v4, v1
	ds_load_b128 v[0:3], v63 offset:64
	ds_load_2addr_b64 v[4:7], v70 offset1:16
	s_wait_dscnt 0x0
	v_dual_mul_f32 v10, v1, v5 :: v_dual_mul_f32 v11, v0, v5
	s_delay_alu instid0(VALU_DEP_1) | instskip(NEXT) | instid1(VALU_DEP_1)
	v_dual_fma_f32 v10, v0, v4, -v10 :: v_dual_fmac_f32 v11, v1, v4
	v_dual_add_f32 v18, v12, v10 :: v_dual_add_f32 v19, v13, v11
	v_mul_f32_e32 v10, v1, v7
	s_delay_alu instid0(VALU_DEP_1) | instskip(NEXT) | instid1(VALU_DEP_1)
	v_dual_fma_f32 v10, v0, v6, -v10 :: v_dual_mul_f32 v0, v0, v7
	v_fmac_f32_e32 v0, v1, v6
	s_delay_alu instid0(VALU_DEP_2) | instskip(SKIP_4) | instid1(VALU_DEP_1)
	v_add_f32_e32 v1, v14, v10
	ds_load_b128 v[10:13], v63 offset:4160
	v_add_f32_e32 v0, v15, v0
	s_wait_dscnt 0x0
	v_dual_mul_f32 v14, v11, v5 :: v_dual_mul_f32 v5, v10, v5
	v_dual_fma_f32 v14, v10, v4, -v14 :: v_dual_fmac_f32 v5, v11, v4
	s_delay_alu instid0(VALU_DEP_1) | instskip(NEXT) | instid1(VALU_DEP_2)
	v_dual_mul_f32 v4, v11, v7 :: v_dual_add_f32 v8, v8, v14
	v_dual_add_f32 v9, v9, v5 :: v_dual_mul_f32 v5, v10, v7
	s_delay_alu instid0(VALU_DEP_1) | instskip(NEXT) | instid1(VALU_DEP_1)
	v_dual_fma_f32 v4, v10, v6, -v4 :: v_dual_fmac_f32 v5, v11, v6
	v_dual_add_f32 v14, v16, v4 :: v_dual_add_f32 v15, v17, v5
	ds_load_2addr_b64 v[4:7], v70 offset0:32 offset1:48
	s_wait_dscnt 0x0
	v_dual_mul_f32 v10, v3, v5 :: v_dual_mul_f32 v11, v2, v5
	s_delay_alu instid0(VALU_DEP_1) | instskip(NEXT) | instid1(VALU_DEP_1)
	v_dual_fma_f32 v10, v2, v4, -v10 :: v_dual_fmac_f32 v11, v3, v4
	v_dual_add_f32 v18, v18, v10 :: v_dual_add_f32 v19, v19, v11
	v_mul_f32_e32 v10, v3, v7
	s_delay_alu instid0(VALU_DEP_1) | instskip(NEXT) | instid1(VALU_DEP_1)
	v_dual_fma_f32 v10, v2, v6, -v10 :: v_dual_mul_f32 v2, v2, v7
	v_fmac_f32_e32 v2, v3, v6
	s_delay_alu instid0(VALU_DEP_1) | instskip(NEXT) | instid1(VALU_DEP_3)
	v_dual_add_f32 v58, v0, v2 :: v_dual_mul_f32 v0, v13, v5
	v_dual_add_f32 v51, v1, v10 :: v_dual_mul_f32 v1, v12, v5
	s_delay_alu instid0(VALU_DEP_1) | instskip(NEXT) | instid1(VALU_DEP_1)
	v_dual_fma_f32 v0, v12, v4, -v0 :: v_dual_fmac_f32 v1, v13, v4
	v_dual_add_f32 v10, v8, v0 :: v_dual_mul_f32 v0, v13, v7
	s_delay_alu instid0(VALU_DEP_2) | instskip(NEXT) | instid1(VALU_DEP_1)
	v_dual_add_f32 v11, v9, v1 :: v_dual_mul_f32 v1, v12, v7
	v_dual_fma_f32 v0, v12, v6, -v0 :: v_dual_fmac_f32 v1, v13, v6
	s_delay_alu instid0(VALU_DEP_1) | instskip(SKIP_4) | instid1(VALU_DEP_1)
	v_dual_add_f32 v12, v14, v0 :: v_dual_add_f32 v13, v15, v1
	ds_load_b128 v[0:3], v63 offset:80
	ds_load_2addr_b64 v[14:17], v70 offset0:64 offset1:80
	s_wait_dscnt 0x0
	v_dual_mul_f32 v4, v1, v15 :: v_dual_mul_f32 v5, v0, v15
	v_dual_fma_f32 v4, v0, v14, -v4 :: v_dual_fmac_f32 v5, v1, v14
	s_delay_alu instid0(VALU_DEP_1) | instskip(SKIP_1) | instid1(VALU_DEP_1)
	v_dual_add_f32 v8, v18, v4 :: v_dual_add_f32 v9, v19, v5
	v_dual_mul_f32 v4, v1, v17 :: v_dual_mul_f32 v5, v0, v17
	v_dual_fma_f32 v4, v0, v16, -v4 :: v_dual_fmac_f32 v5, v1, v16
	s_delay_alu instid0(VALU_DEP_1) | instskip(SKIP_3) | instid1(VALU_DEP_1)
	v_dual_add_f32 v0, v51, v4 :: v_dual_add_f32 v1, v58, v5
	ds_load_b128 v[4:7], v63 offset:4176
	s_wait_dscnt 0x0
	v_dual_mul_f32 v18, v5, v15 :: v_dual_mul_f32 v15, v4, v15
	v_dual_fma_f32 v18, v4, v14, -v18 :: v_dual_fmac_f32 v15, v5, v14
	s_delay_alu instid0(VALU_DEP_1) | instskip(SKIP_1) | instid1(VALU_DEP_1)
	v_dual_add_f32 v14, v10, v18 :: v_dual_add_f32 v15, v11, v15
	v_mul_f32_e32 v10, v5, v17
	v_dual_fma_f32 v10, v4, v16, -v10 :: v_dual_mul_f32 v4, v4, v17
	s_delay_alu instid0(VALU_DEP_1) | instskip(NEXT) | instid1(VALU_DEP_1)
	v_dual_fmac_f32 v4, v5, v16 :: v_dual_add_f32 v5, v12, v10
	v_add_f32_e32 v4, v13, v4
	ds_load_2addr_b64 v[10:13], v70 offset0:96 offset1:112
	s_wait_dscnt 0x0
	v_dual_mul_f32 v16, v3, v11 :: v_dual_mul_f32 v17, v2, v11
	s_delay_alu instid0(VALU_DEP_1) | instskip(NEXT) | instid1(VALU_DEP_1)
	v_dual_fma_f32 v16, v2, v10, -v16 :: v_dual_fmac_f32 v17, v3, v10
	v_dual_add_f32 v8, v8, v16 :: v_dual_add_f32 v9, v9, v17
	v_mul_f32_e32 v16, v3, v13
	s_delay_alu instid0(VALU_DEP_1) | instskip(NEXT) | instid1(VALU_DEP_1)
	v_dual_fma_f32 v16, v2, v12, -v16 :: v_dual_mul_f32 v2, v2, v13
	v_fmac_f32_e32 v2, v3, v12
	s_delay_alu instid0(VALU_DEP_2) | instskip(NEXT) | instid1(VALU_DEP_2)
	v_dual_add_f32 v16, v0, v16 :: v_dual_mul_f32 v0, v7, v11
	v_dual_add_f32 v17, v1, v2 :: v_dual_mul_f32 v1, v6, v11
	s_delay_alu instid0(VALU_DEP_1) | instskip(NEXT) | instid1(VALU_DEP_1)
	v_dual_fma_f32 v0, v6, v10, -v0 :: v_dual_fmac_f32 v1, v7, v10
	v_dual_add_f32 v14, v14, v0 :: v_dual_mul_f32 v0, v7, v13
	s_delay_alu instid0(VALU_DEP_2) | instskip(NEXT) | instid1(VALU_DEP_2)
	v_add_f32_e32 v15, v15, v1
	v_dual_mul_f32 v1, v6, v13 :: v_dual_fma_f32 v0, v6, v12, -v0
	s_delay_alu instid0(VALU_DEP_1) | instskip(NEXT) | instid1(VALU_DEP_1)
	v_fmac_f32_e32 v1, v7, v12
	v_dual_add_f32 v18, v5, v0 :: v_dual_add_f32 v19, v4, v1
	ds_load_b128 v[0:3], v63 offset:96
	ds_load_2addr_b64 v[4:7], v70 offset0:128 offset1:144
	s_wait_dscnt 0x0
	v_dual_mul_f32 v10, v1, v5 :: v_dual_mul_f32 v11, v0, v5
	s_delay_alu instid0(VALU_DEP_1) | instskip(NEXT) | instid1(VALU_DEP_1)
	v_dual_fma_f32 v10, v0, v4, -v10 :: v_dual_fmac_f32 v11, v1, v4
	v_dual_add_f32 v8, v8, v10 :: v_dual_add_f32 v9, v9, v11
	v_mul_f32_e32 v10, v1, v7
	s_delay_alu instid0(VALU_DEP_1) | instskip(NEXT) | instid1(VALU_DEP_1)
	v_dual_fma_f32 v10, v0, v6, -v10 :: v_dual_mul_f32 v0, v0, v7
	v_fmac_f32_e32 v0, v1, v6
	s_delay_alu instid0(VALU_DEP_2) | instskip(SKIP_3) | instid1(VALU_DEP_1)
	v_add_f32_e32 v1, v16, v10
	ds_load_b128 v[10:13], v63 offset:4192
	s_wait_dscnt 0x0
	v_dual_add_f32 v0, v17, v0 :: v_dual_mul_f32 v16, v11, v5
	v_dual_mul_f32 v5, v10, v5 :: v_dual_fma_f32 v16, v10, v4, -v16
	s_delay_alu instid0(VALU_DEP_1) | instskip(NEXT) | instid1(VALU_DEP_1)
	v_dual_fmac_f32 v5, v11, v4 :: v_dual_mul_f32 v4, v11, v7
	v_dual_add_f32 v14, v14, v16 :: v_dual_add_f32 v15, v15, v5
	s_delay_alu instid0(VALU_DEP_2) | instskip(NEXT) | instid1(VALU_DEP_1)
	v_dual_mul_f32 v5, v10, v7 :: v_dual_fma_f32 v4, v10, v6, -v4
	v_dual_fmac_f32 v5, v11, v6 :: v_dual_add_f32 v16, v18, v4
	s_delay_alu instid0(VALU_DEP_1) | instskip(SKIP_3) | instid1(VALU_DEP_1)
	v_add_f32_e32 v17, v19, v5
	ds_load_2addr_b64 v[4:7], v70 offset0:160 offset1:176
	s_wait_dscnt 0x0
	v_dual_mul_f32 v10, v3, v5 :: v_dual_mul_f32 v11, v2, v5
	v_dual_fma_f32 v10, v2, v4, -v10 :: v_dual_fmac_f32 v11, v3, v4
	s_delay_alu instid0(VALU_DEP_1) | instskip(SKIP_1) | instid1(VALU_DEP_1)
	v_dual_add_f32 v8, v8, v10 :: v_dual_add_f32 v9, v9, v11
	v_mul_f32_e32 v10, v3, v7
	v_dual_fma_f32 v10, v2, v6, -v10 :: v_dual_mul_f32 v2, v2, v7
	s_delay_alu instid0(VALU_DEP_1) | instskip(NEXT) | instid1(VALU_DEP_1)
	v_fmac_f32_e32 v2, v3, v6
	v_dual_add_f32 v19, v0, v2 :: v_dual_mul_f32 v0, v13, v5
	s_delay_alu instid0(VALU_DEP_3) | instskip(NEXT) | instid1(VALU_DEP_1)
	v_dual_add_f32 v18, v1, v10 :: v_dual_mul_f32 v1, v12, v5
	v_dual_fma_f32 v0, v12, v4, -v0 :: v_dual_fmac_f32 v1, v13, v4
	s_delay_alu instid0(VALU_DEP_1) | instskip(NEXT) | instid1(VALU_DEP_2)
	v_dual_add_f32 v10, v14, v0 :: v_dual_mul_f32 v0, v13, v7
	v_dual_add_f32 v11, v15, v1 :: v_dual_mul_f32 v1, v12, v7
	s_delay_alu instid0(VALU_DEP_1) | instskip(NEXT) | instid1(VALU_DEP_1)
	v_dual_fma_f32 v0, v12, v6, -v0 :: v_dual_fmac_f32 v1, v13, v6
	v_dual_add_f32 v12, v16, v0 :: v_dual_add_f32 v13, v17, v1
	ds_load_b128 v[0:3], v63 offset:112
	ds_load_2addr_b64 v[14:17], v70 offset0:192 offset1:208
	s_wait_dscnt 0x0
	v_dual_mul_f32 v4, v1, v15 :: v_dual_mul_f32 v5, v0, v15
	s_delay_alu instid0(VALU_DEP_1) | instskip(NEXT) | instid1(VALU_DEP_1)
	v_dual_fma_f32 v4, v0, v14, -v4 :: v_dual_fmac_f32 v5, v1, v14
	v_dual_add_f32 v8, v8, v4 :: v_dual_add_f32 v9, v9, v5
	v_dual_mul_f32 v4, v1, v17 :: v_dual_mul_f32 v5, v0, v17
	s_delay_alu instid0(VALU_DEP_1) | instskip(NEXT) | instid1(VALU_DEP_1)
	v_dual_fma_f32 v4, v0, v16, -v4 :: v_dual_fmac_f32 v5, v1, v16
	v_dual_add_f32 v0, v18, v4 :: v_dual_add_f32 v1, v19, v5
	ds_load_b128 v[4:7], v63 offset:4208
	s_wait_dscnt 0x0
	v_dual_mul_f32 v18, v5, v15 :: v_dual_mul_f32 v15, v4, v15
	s_delay_alu instid0(VALU_DEP_1) | instskip(NEXT) | instid1(VALU_DEP_1)
	v_dual_fma_f32 v18, v4, v14, -v18 :: v_dual_fmac_f32 v15, v5, v14
	v_dual_add_f32 v14, v10, v18 :: v_dual_add_f32 v15, v11, v15
	v_mul_f32_e32 v10, v5, v17
	s_delay_alu instid0(VALU_DEP_1) | instskip(NEXT) | instid1(VALU_DEP_1)
	v_dual_fma_f32 v10, v4, v16, -v10 :: v_dual_mul_f32 v4, v4, v17
	v_dual_fmac_f32 v4, v5, v16 :: v_dual_add_f32 v5, v12, v10
	s_delay_alu instid0(VALU_DEP_1) | instskip(SKIP_3) | instid1(VALU_DEP_1)
	v_add_f32_e32 v4, v13, v4
	ds_load_2addr_b64 v[10:13], v70 offset0:224 offset1:240
	s_wait_dscnt 0x0
	v_dual_mul_f32 v16, v3, v11 :: v_dual_mul_f32 v17, v2, v11
	v_dual_fma_f32 v16, v2, v10, -v16 :: v_dual_fmac_f32 v17, v3, v10
	s_delay_alu instid0(VALU_DEP_1) | instskip(SKIP_1) | instid1(VALU_DEP_1)
	v_dual_add_f32 v8, v8, v16 :: v_dual_add_f32 v9, v9, v17
	v_mul_f32_e32 v16, v3, v13
	v_dual_fma_f32 v16, v2, v12, -v16 :: v_dual_mul_f32 v2, v2, v13
	s_delay_alu instid0(VALU_DEP_1) | instskip(NEXT) | instid1(VALU_DEP_2)
	v_fmac_f32_e32 v2, v3, v12
	v_dual_add_f32 v16, v0, v16 :: v_dual_mul_f32 v0, v7, v11
	s_delay_alu instid0(VALU_DEP_2) | instskip(NEXT) | instid1(VALU_DEP_1)
	v_dual_add_f32 v17, v1, v2 :: v_dual_mul_f32 v1, v6, v11
	v_dual_fma_f32 v0, v6, v10, -v0 :: v_dual_fmac_f32 v1, v7, v10
	s_delay_alu instid0(VALU_DEP_1) | instskip(NEXT) | instid1(VALU_DEP_2)
	v_dual_add_f32 v14, v14, v0 :: v_dual_mul_f32 v0, v7, v13
	v_add_f32_e32 v15, v15, v1
	s_delay_alu instid0(VALU_DEP_2) | instskip(NEXT) | instid1(VALU_DEP_1)
	v_dual_mul_f32 v1, v6, v13 :: v_dual_fma_f32 v0, v6, v12, -v0
	v_fmac_f32_e32 v1, v7, v12
	s_delay_alu instid0(VALU_DEP_1) | instskip(SKIP_4) | instid1(VALU_DEP_1)
	v_dual_add_f32 v18, v5, v0 :: v_dual_add_f32 v19, v4, v1
	ds_load_b128 v[0:3], v63 offset:128
	ds_load_2addr_b64 v[4:7], v71 offset1:16
	s_wait_dscnt 0x0
	v_dual_mul_f32 v10, v1, v5 :: v_dual_mul_f32 v11, v0, v5
	v_dual_fma_f32 v10, v0, v4, -v10 :: v_dual_fmac_f32 v11, v1, v4
	s_delay_alu instid0(VALU_DEP_1) | instskip(SKIP_1) | instid1(VALU_DEP_1)
	v_dual_add_f32 v8, v8, v10 :: v_dual_add_f32 v9, v9, v11
	v_mul_f32_e32 v10, v1, v7
	v_dual_fma_f32 v10, v0, v6, -v10 :: v_dual_mul_f32 v0, v0, v7
	s_delay_alu instid0(VALU_DEP_1) | instskip(NEXT) | instid1(VALU_DEP_2)
	v_fmac_f32_e32 v0, v1, v6
	v_add_f32_e32 v1, v16, v10
	ds_load_b128 v[10:13], v63 offset:4224
	s_wait_dscnt 0x0
	v_dual_add_f32 v0, v17, v0 :: v_dual_mul_f32 v16, v11, v5
	s_delay_alu instid0(VALU_DEP_1) | instskip(NEXT) | instid1(VALU_DEP_1)
	v_dual_mul_f32 v5, v10, v5 :: v_dual_fma_f32 v16, v10, v4, -v16
	v_dual_fmac_f32 v5, v11, v4 :: v_dual_mul_f32 v4, v11, v7
	s_delay_alu instid0(VALU_DEP_1) | instskip(NEXT) | instid1(VALU_DEP_2)
	v_dual_add_f32 v14, v14, v16 :: v_dual_add_f32 v15, v15, v5
	v_dual_mul_f32 v5, v10, v7 :: v_dual_fma_f32 v4, v10, v6, -v4
	s_delay_alu instid0(VALU_DEP_1) | instskip(NEXT) | instid1(VALU_DEP_1)
	v_dual_fmac_f32 v5, v11, v6 :: v_dual_add_f32 v16, v18, v4
	v_add_f32_e32 v17, v19, v5
	ds_load_2addr_b64 v[4:7], v71 offset0:32 offset1:48
	s_wait_dscnt 0x0
	v_dual_mul_f32 v10, v3, v5 :: v_dual_mul_f32 v11, v2, v5
	s_delay_alu instid0(VALU_DEP_1) | instskip(NEXT) | instid1(VALU_DEP_1)
	v_dual_fma_f32 v10, v2, v4, -v10 :: v_dual_fmac_f32 v11, v3, v4
	v_dual_add_f32 v8, v8, v10 :: v_dual_add_f32 v9, v9, v11
	v_mul_f32_e32 v10, v3, v7
	s_delay_alu instid0(VALU_DEP_1) | instskip(NEXT) | instid1(VALU_DEP_1)
	v_dual_fma_f32 v10, v2, v6, -v10 :: v_dual_mul_f32 v2, v2, v7
	v_fmac_f32_e32 v2, v3, v6
	s_delay_alu instid0(VALU_DEP_1) | instskip(NEXT) | instid1(VALU_DEP_3)
	v_dual_add_f32 v19, v0, v2 :: v_dual_mul_f32 v0, v13, v5
	v_dual_add_f32 v18, v1, v10 :: v_dual_mul_f32 v1, v12, v5
	s_delay_alu instid0(VALU_DEP_1) | instskip(NEXT) | instid1(VALU_DEP_1)
	v_dual_fma_f32 v0, v12, v4, -v0 :: v_dual_fmac_f32 v1, v13, v4
	v_dual_add_f32 v10, v14, v0 :: v_dual_mul_f32 v0, v13, v7
	s_delay_alu instid0(VALU_DEP_2) | instskip(NEXT) | instid1(VALU_DEP_1)
	v_dual_add_f32 v11, v15, v1 :: v_dual_mul_f32 v1, v12, v7
	v_dual_fma_f32 v0, v12, v6, -v0 :: v_dual_fmac_f32 v1, v13, v6
	s_delay_alu instid0(VALU_DEP_1) | instskip(SKIP_4) | instid1(VALU_DEP_1)
	v_dual_add_f32 v12, v16, v0 :: v_dual_add_f32 v13, v17, v1
	ds_load_b128 v[0:3], v63 offset:144
	ds_load_2addr_b64 v[14:17], v71 offset0:64 offset1:80
	s_wait_dscnt 0x0
	v_dual_mul_f32 v4, v1, v15 :: v_dual_mul_f32 v5, v0, v15
	v_dual_fma_f32 v4, v0, v14, -v4 :: v_dual_fmac_f32 v5, v1, v14
	s_delay_alu instid0(VALU_DEP_1) | instskip(SKIP_1) | instid1(VALU_DEP_1)
	v_dual_add_f32 v8, v8, v4 :: v_dual_add_f32 v9, v9, v5
	v_dual_mul_f32 v4, v1, v17 :: v_dual_mul_f32 v5, v0, v17
	v_dual_fma_f32 v4, v0, v16, -v4 :: v_dual_fmac_f32 v5, v1, v16
	s_delay_alu instid0(VALU_DEP_1) | instskip(SKIP_3) | instid1(VALU_DEP_1)
	v_dual_add_f32 v0, v18, v4 :: v_dual_add_f32 v1, v19, v5
	ds_load_b128 v[4:7], v63 offset:4240
	s_wait_dscnt 0x0
	v_dual_mul_f32 v18, v5, v15 :: v_dual_mul_f32 v15, v4, v15
	v_dual_fma_f32 v18, v4, v14, -v18 :: v_dual_fmac_f32 v15, v5, v14
	s_delay_alu instid0(VALU_DEP_1) | instskip(SKIP_1) | instid1(VALU_DEP_1)
	v_dual_add_f32 v14, v10, v18 :: v_dual_add_f32 v15, v11, v15
	v_mul_f32_e32 v10, v5, v17
	v_dual_fma_f32 v10, v4, v16, -v10 :: v_dual_mul_f32 v4, v4, v17
	s_delay_alu instid0(VALU_DEP_1) | instskip(NEXT) | instid1(VALU_DEP_1)
	v_dual_fmac_f32 v4, v5, v16 :: v_dual_add_f32 v5, v12, v10
	v_add_f32_e32 v4, v13, v4
	ds_load_2addr_b64 v[10:13], v71 offset0:96 offset1:112
	s_wait_dscnt 0x0
	v_dual_mul_f32 v16, v3, v11 :: v_dual_mul_f32 v17, v2, v11
	s_delay_alu instid0(VALU_DEP_1) | instskip(NEXT) | instid1(VALU_DEP_1)
	v_dual_fma_f32 v16, v2, v10, -v16 :: v_dual_fmac_f32 v17, v3, v10
	v_dual_add_f32 v8, v8, v16 :: v_dual_add_f32 v9, v9, v17
	v_mul_f32_e32 v16, v3, v13
	s_delay_alu instid0(VALU_DEP_1) | instskip(NEXT) | instid1(VALU_DEP_1)
	v_dual_fma_f32 v16, v2, v12, -v16 :: v_dual_mul_f32 v2, v2, v13
	v_fmac_f32_e32 v2, v3, v12
	s_delay_alu instid0(VALU_DEP_2) | instskip(NEXT) | instid1(VALU_DEP_2)
	v_dual_add_f32 v16, v0, v16 :: v_dual_mul_f32 v0, v7, v11
	v_dual_add_f32 v17, v1, v2 :: v_dual_mul_f32 v1, v6, v11
	s_delay_alu instid0(VALU_DEP_1) | instskip(NEXT) | instid1(VALU_DEP_1)
	v_dual_fma_f32 v0, v6, v10, -v0 :: v_dual_fmac_f32 v1, v7, v10
	v_dual_add_f32 v14, v14, v0 :: v_dual_mul_f32 v0, v7, v13
	s_delay_alu instid0(VALU_DEP_2) | instskip(NEXT) | instid1(VALU_DEP_2)
	v_add_f32_e32 v15, v15, v1
	v_dual_mul_f32 v1, v6, v13 :: v_dual_fma_f32 v0, v6, v12, -v0
	s_delay_alu instid0(VALU_DEP_1) | instskip(NEXT) | instid1(VALU_DEP_1)
	v_fmac_f32_e32 v1, v7, v12
	v_dual_add_f32 v18, v5, v0 :: v_dual_add_f32 v19, v4, v1
	ds_load_b128 v[0:3], v63 offset:160
	ds_load_2addr_b64 v[4:7], v71 offset0:128 offset1:144
	s_wait_dscnt 0x0
	v_dual_mul_f32 v10, v1, v5 :: v_dual_mul_f32 v11, v0, v5
	s_delay_alu instid0(VALU_DEP_1) | instskip(NEXT) | instid1(VALU_DEP_1)
	v_dual_fma_f32 v10, v0, v4, -v10 :: v_dual_fmac_f32 v11, v1, v4
	v_dual_add_f32 v8, v8, v10 :: v_dual_add_f32 v9, v9, v11
	v_mul_f32_e32 v10, v1, v7
	s_delay_alu instid0(VALU_DEP_1) | instskip(NEXT) | instid1(VALU_DEP_1)
	v_dual_fma_f32 v10, v0, v6, -v10 :: v_dual_mul_f32 v0, v0, v7
	v_fmac_f32_e32 v0, v1, v6
	s_delay_alu instid0(VALU_DEP_2) | instskip(SKIP_3) | instid1(VALU_DEP_1)
	v_add_f32_e32 v1, v16, v10
	ds_load_b128 v[10:13], v63 offset:4256
	s_wait_dscnt 0x0
	v_dual_add_f32 v0, v17, v0 :: v_dual_mul_f32 v16, v11, v5
	v_dual_mul_f32 v5, v10, v5 :: v_dual_fma_f32 v16, v10, v4, -v16
	s_delay_alu instid0(VALU_DEP_1) | instskip(NEXT) | instid1(VALU_DEP_1)
	v_dual_fmac_f32 v5, v11, v4 :: v_dual_mul_f32 v4, v11, v7
	v_dual_add_f32 v14, v14, v16 :: v_dual_add_f32 v15, v15, v5
	s_delay_alu instid0(VALU_DEP_2) | instskip(NEXT) | instid1(VALU_DEP_1)
	v_dual_mul_f32 v5, v10, v7 :: v_dual_fma_f32 v4, v10, v6, -v4
	v_dual_fmac_f32 v5, v11, v6 :: v_dual_add_f32 v16, v18, v4
	s_delay_alu instid0(VALU_DEP_1) | instskip(SKIP_3) | instid1(VALU_DEP_1)
	v_add_f32_e32 v17, v19, v5
	ds_load_2addr_b64 v[4:7], v71 offset0:160 offset1:176
	s_wait_dscnt 0x0
	v_dual_mul_f32 v10, v3, v5 :: v_dual_mul_f32 v11, v2, v5
	v_dual_fma_f32 v10, v2, v4, -v10 :: v_dual_fmac_f32 v11, v3, v4
	s_delay_alu instid0(VALU_DEP_1) | instskip(SKIP_1) | instid1(VALU_DEP_1)
	v_dual_add_f32 v8, v8, v10 :: v_dual_add_f32 v9, v9, v11
	v_mul_f32_e32 v10, v3, v7
	v_dual_fma_f32 v10, v2, v6, -v10 :: v_dual_mul_f32 v2, v2, v7
	s_delay_alu instid0(VALU_DEP_1) | instskip(NEXT) | instid1(VALU_DEP_1)
	v_fmac_f32_e32 v2, v3, v6
	v_dual_add_f32 v19, v0, v2 :: v_dual_mul_f32 v0, v13, v5
	s_delay_alu instid0(VALU_DEP_3) | instskip(NEXT) | instid1(VALU_DEP_1)
	v_dual_add_f32 v18, v1, v10 :: v_dual_mul_f32 v1, v12, v5
	v_dual_fma_f32 v0, v12, v4, -v0 :: v_dual_fmac_f32 v1, v13, v4
	s_delay_alu instid0(VALU_DEP_1) | instskip(NEXT) | instid1(VALU_DEP_2)
	v_dual_add_f32 v10, v14, v0 :: v_dual_mul_f32 v0, v13, v7
	v_dual_add_f32 v11, v15, v1 :: v_dual_mul_f32 v1, v12, v7
	s_delay_alu instid0(VALU_DEP_1) | instskip(NEXT) | instid1(VALU_DEP_1)
	v_dual_fma_f32 v0, v12, v6, -v0 :: v_dual_fmac_f32 v1, v13, v6
	v_dual_add_f32 v12, v16, v0 :: v_dual_add_f32 v13, v17, v1
	ds_load_b128 v[0:3], v63 offset:176
	ds_load_2addr_b64 v[14:17], v71 offset0:192 offset1:208
	s_wait_dscnt 0x0
	v_dual_mul_f32 v4, v1, v15 :: v_dual_mul_f32 v5, v0, v15
	s_delay_alu instid0(VALU_DEP_1) | instskip(NEXT) | instid1(VALU_DEP_1)
	v_dual_fma_f32 v4, v0, v14, -v4 :: v_dual_fmac_f32 v5, v1, v14
	v_dual_add_f32 v8, v8, v4 :: v_dual_add_f32 v9, v9, v5
	v_dual_mul_f32 v4, v1, v17 :: v_dual_mul_f32 v5, v0, v17
	s_delay_alu instid0(VALU_DEP_1) | instskip(NEXT) | instid1(VALU_DEP_1)
	v_dual_fma_f32 v4, v0, v16, -v4 :: v_dual_fmac_f32 v5, v1, v16
	v_dual_add_f32 v0, v18, v4 :: v_dual_add_f32 v1, v19, v5
	ds_load_b128 v[4:7], v63 offset:4272
	s_wait_dscnt 0x0
	v_dual_mul_f32 v18, v5, v15 :: v_dual_mul_f32 v15, v4, v15
	s_delay_alu instid0(VALU_DEP_1) | instskip(NEXT) | instid1(VALU_DEP_1)
	v_dual_fma_f32 v18, v4, v14, -v18 :: v_dual_fmac_f32 v15, v5, v14
	v_dual_add_f32 v14, v10, v18 :: v_dual_add_f32 v15, v11, v15
	v_mul_f32_e32 v10, v5, v17
	s_delay_alu instid0(VALU_DEP_1) | instskip(NEXT) | instid1(VALU_DEP_1)
	v_dual_fma_f32 v10, v4, v16, -v10 :: v_dual_mul_f32 v4, v4, v17
	v_dual_fmac_f32 v4, v5, v16 :: v_dual_add_f32 v5, v12, v10
	s_delay_alu instid0(VALU_DEP_1) | instskip(SKIP_3) | instid1(VALU_DEP_1)
	v_add_f32_e32 v4, v13, v4
	ds_load_2addr_b64 v[10:13], v71 offset0:224 offset1:240
	s_wait_dscnt 0x0
	v_dual_mul_f32 v16, v3, v11 :: v_dual_mul_f32 v17, v2, v11
	v_dual_fma_f32 v16, v2, v10, -v16 :: v_dual_fmac_f32 v17, v3, v10
	s_delay_alu instid0(VALU_DEP_1) | instskip(SKIP_1) | instid1(VALU_DEP_1)
	v_dual_add_f32 v8, v8, v16 :: v_dual_add_f32 v9, v9, v17
	v_mul_f32_e32 v16, v3, v13
	v_dual_fma_f32 v16, v2, v12, -v16 :: v_dual_mul_f32 v2, v2, v13
	s_delay_alu instid0(VALU_DEP_1) | instskip(NEXT) | instid1(VALU_DEP_2)
	v_fmac_f32_e32 v2, v3, v12
	v_dual_add_f32 v16, v0, v16 :: v_dual_mul_f32 v0, v7, v11
	s_delay_alu instid0(VALU_DEP_2) | instskip(NEXT) | instid1(VALU_DEP_1)
	v_dual_add_f32 v17, v1, v2 :: v_dual_mul_f32 v1, v6, v11
	v_dual_fma_f32 v0, v6, v10, -v0 :: v_dual_fmac_f32 v1, v7, v10
	s_delay_alu instid0(VALU_DEP_1) | instskip(NEXT) | instid1(VALU_DEP_2)
	v_dual_add_f32 v14, v14, v0 :: v_dual_mul_f32 v0, v7, v13
	v_add_f32_e32 v15, v15, v1
	s_delay_alu instid0(VALU_DEP_2) | instskip(NEXT) | instid1(VALU_DEP_1)
	v_dual_mul_f32 v1, v6, v13 :: v_dual_fma_f32 v0, v6, v12, -v0
	v_fmac_f32_e32 v1, v7, v12
	s_delay_alu instid0(VALU_DEP_1) | instskip(SKIP_4) | instid1(VALU_DEP_1)
	v_dual_add_f32 v18, v5, v0 :: v_dual_add_f32 v19, v4, v1
	ds_load_b128 v[0:3], v63 offset:192
	ds_load_2addr_b64 v[4:7], v72 offset1:16
	s_wait_dscnt 0x0
	v_dual_mul_f32 v10, v1, v5 :: v_dual_mul_f32 v11, v0, v5
	v_dual_fma_f32 v10, v0, v4, -v10 :: v_dual_fmac_f32 v11, v1, v4
	s_delay_alu instid0(VALU_DEP_1) | instskip(SKIP_1) | instid1(VALU_DEP_1)
	v_dual_add_f32 v8, v8, v10 :: v_dual_add_f32 v9, v9, v11
	v_mul_f32_e32 v10, v1, v7
	v_dual_fma_f32 v10, v0, v6, -v10 :: v_dual_mul_f32 v0, v0, v7
	s_delay_alu instid0(VALU_DEP_1) | instskip(NEXT) | instid1(VALU_DEP_2)
	v_fmac_f32_e32 v0, v1, v6
	v_add_f32_e32 v1, v16, v10
	ds_load_b128 v[10:13], v63 offset:4288
	s_wait_dscnt 0x0
	v_dual_add_f32 v0, v17, v0 :: v_dual_mul_f32 v16, v11, v5
	s_delay_alu instid0(VALU_DEP_1) | instskip(NEXT) | instid1(VALU_DEP_1)
	v_dual_mul_f32 v5, v10, v5 :: v_dual_fma_f32 v16, v10, v4, -v16
	v_dual_fmac_f32 v5, v11, v4 :: v_dual_mul_f32 v4, v11, v7
	s_delay_alu instid0(VALU_DEP_1) | instskip(NEXT) | instid1(VALU_DEP_2)
	v_dual_add_f32 v14, v14, v16 :: v_dual_add_f32 v15, v15, v5
	v_dual_mul_f32 v5, v10, v7 :: v_dual_fma_f32 v4, v10, v6, -v4
	s_delay_alu instid0(VALU_DEP_1) | instskip(NEXT) | instid1(VALU_DEP_1)
	v_dual_fmac_f32 v5, v11, v6 :: v_dual_add_f32 v16, v18, v4
	v_add_f32_e32 v17, v19, v5
	ds_load_2addr_b64 v[4:7], v72 offset0:32 offset1:48
	s_wait_dscnt 0x0
	v_dual_mul_f32 v10, v3, v5 :: v_dual_mul_f32 v11, v2, v5
	s_delay_alu instid0(VALU_DEP_1) | instskip(NEXT) | instid1(VALU_DEP_1)
	v_dual_fma_f32 v10, v2, v4, -v10 :: v_dual_fmac_f32 v11, v3, v4
	v_dual_add_f32 v8, v8, v10 :: v_dual_add_f32 v9, v9, v11
	v_mul_f32_e32 v10, v3, v7
	s_delay_alu instid0(VALU_DEP_1) | instskip(NEXT) | instid1(VALU_DEP_1)
	v_dual_fma_f32 v10, v2, v6, -v10 :: v_dual_mul_f32 v2, v2, v7
	v_fmac_f32_e32 v2, v3, v6
	s_delay_alu instid0(VALU_DEP_1) | instskip(NEXT) | instid1(VALU_DEP_3)
	v_dual_add_f32 v19, v0, v2 :: v_dual_mul_f32 v0, v13, v5
	v_dual_add_f32 v18, v1, v10 :: v_dual_mul_f32 v1, v12, v5
	s_delay_alu instid0(VALU_DEP_1) | instskip(NEXT) | instid1(VALU_DEP_1)
	v_dual_fma_f32 v0, v12, v4, -v0 :: v_dual_fmac_f32 v1, v13, v4
	v_dual_add_f32 v10, v14, v0 :: v_dual_mul_f32 v0, v13, v7
	s_delay_alu instid0(VALU_DEP_2) | instskip(NEXT) | instid1(VALU_DEP_1)
	v_dual_add_f32 v11, v15, v1 :: v_dual_mul_f32 v1, v12, v7
	v_dual_fma_f32 v0, v12, v6, -v0 :: v_dual_fmac_f32 v1, v13, v6
	s_delay_alu instid0(VALU_DEP_1) | instskip(SKIP_4) | instid1(VALU_DEP_1)
	v_dual_add_f32 v12, v16, v0 :: v_dual_add_f32 v13, v17, v1
	ds_load_b128 v[0:3], v63 offset:208
	ds_load_2addr_b64 v[14:17], v72 offset0:64 offset1:80
	s_wait_dscnt 0x0
	v_dual_mul_f32 v4, v1, v15 :: v_dual_mul_f32 v5, v0, v15
	v_dual_fma_f32 v4, v0, v14, -v4 :: v_dual_fmac_f32 v5, v1, v14
	s_delay_alu instid0(VALU_DEP_1) | instskip(SKIP_1) | instid1(VALU_DEP_1)
	v_dual_add_f32 v8, v8, v4 :: v_dual_add_f32 v9, v9, v5
	v_dual_mul_f32 v4, v1, v17 :: v_dual_mul_f32 v5, v0, v17
	v_dual_fma_f32 v4, v0, v16, -v4 :: v_dual_fmac_f32 v5, v1, v16
	s_delay_alu instid0(VALU_DEP_1) | instskip(SKIP_3) | instid1(VALU_DEP_1)
	v_dual_add_f32 v0, v18, v4 :: v_dual_add_f32 v1, v19, v5
	ds_load_b128 v[4:7], v63 offset:4304
	s_wait_dscnt 0x0
	v_dual_mul_f32 v18, v5, v15 :: v_dual_mul_f32 v15, v4, v15
	v_dual_fma_f32 v18, v4, v14, -v18 :: v_dual_fmac_f32 v15, v5, v14
	s_delay_alu instid0(VALU_DEP_1) | instskip(SKIP_1) | instid1(VALU_DEP_1)
	v_dual_add_f32 v14, v10, v18 :: v_dual_add_f32 v15, v11, v15
	v_mul_f32_e32 v10, v5, v17
	v_dual_fma_f32 v10, v4, v16, -v10 :: v_dual_mul_f32 v4, v4, v17
	s_delay_alu instid0(VALU_DEP_1) | instskip(NEXT) | instid1(VALU_DEP_1)
	v_dual_fmac_f32 v4, v5, v16 :: v_dual_add_f32 v5, v12, v10
	v_add_f32_e32 v4, v13, v4
	ds_load_2addr_b64 v[10:13], v72 offset0:96 offset1:112
	s_wait_dscnt 0x0
	v_dual_mul_f32 v16, v3, v11 :: v_dual_mul_f32 v17, v2, v11
	s_delay_alu instid0(VALU_DEP_1) | instskip(NEXT) | instid1(VALU_DEP_1)
	v_dual_fma_f32 v16, v2, v10, -v16 :: v_dual_fmac_f32 v17, v3, v10
	v_dual_add_f32 v8, v8, v16 :: v_dual_add_f32 v9, v9, v17
	v_mul_f32_e32 v16, v3, v13
	s_delay_alu instid0(VALU_DEP_1) | instskip(NEXT) | instid1(VALU_DEP_1)
	v_dual_fma_f32 v16, v2, v12, -v16 :: v_dual_mul_f32 v2, v2, v13
	v_fmac_f32_e32 v2, v3, v12
	s_delay_alu instid0(VALU_DEP_2) | instskip(NEXT) | instid1(VALU_DEP_2)
	v_dual_add_f32 v16, v0, v16 :: v_dual_mul_f32 v0, v7, v11
	v_dual_add_f32 v17, v1, v2 :: v_dual_mul_f32 v1, v6, v11
	s_delay_alu instid0(VALU_DEP_1) | instskip(NEXT) | instid1(VALU_DEP_1)
	v_dual_fma_f32 v0, v6, v10, -v0 :: v_dual_fmac_f32 v1, v7, v10
	v_dual_add_f32 v14, v14, v0 :: v_dual_mul_f32 v0, v7, v13
	s_delay_alu instid0(VALU_DEP_2) | instskip(NEXT) | instid1(VALU_DEP_2)
	v_add_f32_e32 v15, v15, v1
	v_dual_mul_f32 v1, v6, v13 :: v_dual_fma_f32 v0, v6, v12, -v0
	s_delay_alu instid0(VALU_DEP_1) | instskip(NEXT) | instid1(VALU_DEP_1)
	v_fmac_f32_e32 v1, v7, v12
	v_dual_add_f32 v12, v5, v0 :: v_dual_add_f32 v13, v4, v1
	ds_load_b128 v[0:3], v63 offset:224
	ds_load_2addr_b64 v[4:7], v72 offset0:128 offset1:144
	s_wait_dscnt 0x0
	v_dual_mul_f32 v10, v1, v5 :: v_dual_mul_f32 v11, v0, v5
	s_delay_alu instid0(VALU_DEP_1) | instskip(NEXT) | instid1(VALU_DEP_1)
	v_dual_fma_f32 v10, v0, v4, -v10 :: v_dual_fmac_f32 v11, v1, v4
	v_dual_add_f32 v18, v8, v10 :: v_dual_add_f32 v19, v9, v11
	v_mul_f32_e32 v8, v1, v7
	s_delay_alu instid0(VALU_DEP_1) | instskip(NEXT) | instid1(VALU_DEP_1)
	v_dual_fma_f32 v8, v0, v6, -v8 :: v_dual_mul_f32 v0, v0, v7
	v_fmac_f32_e32 v0, v1, v6
	s_delay_alu instid0(VALU_DEP_1) | instskip(NEXT) | instid1(VALU_DEP_3)
	v_add_f32_e32 v0, v17, v0
	v_add_f32_e32 v1, v16, v8
	ds_load_b128 v[8:11], v63 offset:4320
	s_wait_dscnt 0x0
	v_dual_mul_f32 v16, v9, v5 :: v_dual_mul_f32 v5, v8, v5
	s_delay_alu instid0(VALU_DEP_1) | instskip(NEXT) | instid1(VALU_DEP_1)
	v_dual_fma_f32 v16, v8, v4, -v16 :: v_dual_fmac_f32 v5, v9, v4
	v_dual_mul_f32 v4, v9, v7 :: v_dual_add_f32 v14, v14, v16
	s_delay_alu instid0(VALU_DEP_2) | instskip(NEXT) | instid1(VALU_DEP_1)
	v_dual_add_f32 v15, v15, v5 :: v_dual_mul_f32 v5, v8, v7
	v_dual_fma_f32 v4, v8, v6, -v4 :: v_dual_fmac_f32 v5, v9, v6
	s_delay_alu instid0(VALU_DEP_1) | instskip(SKIP_3) | instid1(VALU_DEP_1)
	v_dual_add_f32 v12, v12, v4 :: v_dual_add_f32 v13, v13, v5
	ds_load_2addr_b64 v[4:7], v72 offset0:160 offset1:176
	s_wait_dscnt 0x0
	v_dual_mul_f32 v8, v3, v5 :: v_dual_mul_f32 v9, v2, v5
	v_dual_fma_f32 v8, v2, v4, -v8 :: v_dual_fmac_f32 v9, v3, v4
	s_delay_alu instid0(VALU_DEP_1) | instskip(SKIP_1) | instid1(VALU_DEP_1)
	v_dual_add_f32 v18, v18, v8 :: v_dual_add_f32 v19, v19, v9
	v_mul_f32_e32 v8, v3, v7
	v_dual_fma_f32 v8, v2, v6, -v8 :: v_dual_mul_f32 v2, v2, v7
	s_delay_alu instid0(VALU_DEP_1) | instskip(NEXT) | instid1(VALU_DEP_1)
	v_dual_fmac_f32 v2, v3, v6 :: v_dual_add_f32 v51, v1, v8
	v_dual_mul_f32 v1, v10, v5 :: v_dual_add_f32 v58, v0, v2
	s_delay_alu instid0(VALU_DEP_1) | instskip(NEXT) | instid1(VALU_DEP_1)
	v_dual_mul_f32 v0, v11, v5 :: v_dual_fmac_f32 v1, v11, v4
	v_dual_fma_f32 v0, v10, v4, -v0 :: v_dual_add_f32 v9, v15, v1
	v_mul_f32_e32 v1, v10, v7
	s_delay_alu instid0(VALU_DEP_2) | instskip(NEXT) | instid1(VALU_DEP_1)
	v_dual_add_f32 v8, v14, v0 :: v_dual_mul_f32 v0, v11, v7
	v_dual_fmac_f32 v1, v11, v6 :: v_dual_fma_f32 v0, v10, v6, -v0
	s_delay_alu instid0(VALU_DEP_1) | instskip(SKIP_4) | instid1(VALU_DEP_1)
	v_dual_add_f32 v11, v13, v1 :: v_dual_add_f32 v10, v12, v0
	ds_load_b128 v[0:3], v63 offset:240
	ds_load_2addr_b64 v[14:17], v72 offset0:192 offset1:208
	s_wait_dscnt 0x0
	v_dual_mul_f32 v4, v1, v15 :: v_dual_mul_f32 v5, v0, v15
	v_dual_fma_f32 v4, v0, v14, -v4 :: v_dual_fmac_f32 v5, v1, v14
	s_delay_alu instid0(VALU_DEP_1) | instskip(SKIP_1) | instid1(VALU_DEP_1)
	v_dual_add_f32 v12, v18, v4 :: v_dual_add_f32 v13, v19, v5
	v_dual_mul_f32 v4, v1, v17 :: v_dual_mul_f32 v5, v0, v17
	v_dual_fma_f32 v4, v0, v16, -v4 :: v_dual_fmac_f32 v5, v1, v16
	s_delay_alu instid0(VALU_DEP_1) | instskip(SKIP_3) | instid1(VALU_DEP_1)
	v_dual_add_f32 v0, v51, v4 :: v_dual_add_f32 v1, v58, v5
	ds_load_b128 v[4:7], v63 offset:4336
	s_wait_dscnt 0x0
	v_dual_mul_f32 v18, v5, v15 :: v_dual_mul_f32 v15, v4, v15
	v_dual_fma_f32 v18, v4, v14, -v18 :: v_dual_fmac_f32 v15, v5, v14
	s_delay_alu instid0(VALU_DEP_1) | instskip(SKIP_1) | instid1(VALU_DEP_1)
	v_dual_add_f32 v14, v8, v18 :: v_dual_add_f32 v15, v9, v15
	v_dual_mul_f32 v8, v5, v17 :: v_dual_mul_f32 v9, v4, v17
	v_dual_fma_f32 v8, v4, v16, -v8 :: v_dual_fmac_f32 v9, v5, v16
	s_delay_alu instid0(VALU_DEP_1)
	v_dual_add_f32 v4, v10, v8 :: v_dual_add_f32 v5, v11, v9
	ds_load_2addr_b64 v[8:11], v72 offset0:224 offset1:240
	s_wait_dscnt 0x0
	s_barrier_signal -1
	s_barrier_wait -1
	v_dual_mul_f32 v16, v3, v9 :: v_dual_mul_f32 v17, v2, v9
	s_delay_alu instid0(VALU_DEP_1) | instskip(NEXT) | instid1(VALU_DEP_1)
	v_dual_fma_f32 v16, v2, v8, -v16 :: v_dual_fmac_f32 v17, v3, v8
	v_dual_add_f32 v66, v12, v16 :: v_dual_add_f32 v68, v13, v17
	v_mul_f32_e32 v12, v3, v11
	s_delay_alu instid0(VALU_DEP_1) | instskip(NEXT) | instid1(VALU_DEP_1)
	v_dual_fma_f32 v12, v2, v10, -v12 :: v_dual_mul_f32 v2, v2, v11
	v_dual_fmac_f32 v2, v3, v10 :: v_dual_add_f32 v62, v0, v12
	s_delay_alu instid0(VALU_DEP_1) | instskip(NEXT) | instid1(VALU_DEP_1)
	v_dual_mul_f32 v0, v7, v9 :: v_dual_add_f32 v64, v1, v2
	v_dual_mul_f32 v1, v6, v9 :: v_dual_fma_f32 v0, v6, v8, -v0
	s_delay_alu instid0(VALU_DEP_1) | instskip(NEXT) | instid1(VALU_DEP_2)
	v_fmac_f32_e32 v1, v7, v8
	v_dual_add_f32 v16, v14, v0 :: v_dual_mul_f32 v0, v7, v11
	s_delay_alu instid0(VALU_DEP_2) | instskip(NEXT) | instid1(VALU_DEP_1)
	v_dual_add_f32 v58, v15, v1 :: v_dual_mul_f32 v1, v6, v11
	v_dual_fma_f32 v0, v6, v10, -v0 :: v_dual_fmac_f32 v1, v7, v10
	s_delay_alu instid0(VALU_DEP_1)
	v_dual_add_f32 v60, v4, v0 :: v_dual_add_f32 v18, v5, v1
	s_cbranch_scc1 .LBB81_55
.LBB81_10:                              ;   Parent Loop BB81_4 Depth=1
                                        ;     Parent Loop BB81_7 Depth=2
                                        ; =>    This Inner Loop Header: Depth=3
	v_add_nc_u64_e32 v[2:3], s[46:47], v[26:27]
	v_cmp_eq_u64_e64 s7, s[46:47], v[32:33]
	v_add_nc_u64_e32 v[0:1], s[28:29], v[48:49]
	s_delay_alu instid0(VALU_DEP_3) | instskip(SKIP_3) | instid1(SALU_CYCLE_1)
	v_cmp_le_i64_e64 s6, s[42:43], v[2:3]
	v_cmp_lt_i64_e64 s5, v[2:3], v[20:21]
	s_and_b32 s56, s52, s7
	s_or_b32 s7, s6, s5
	s_or_b32 s7, s7, s56
	s_delay_alu instid0(SALU_CYCLE_1) | instskip(NEXT) | instid1(SALU_CYCLE_1)
	s_nor_b32 s7, s0, s7
	s_and_saveexec_b32 s8, s7
	s_delay_alu instid0(SALU_CYCLE_1)
	s_xor_b32 s7, exec_lo, s8
	s_cbranch_execz .LBB81_12
; %bb.11:                               ;   in Loop: Header=BB81_10 Depth=3
	global_load_b64 v[4:5], v[0:1], off
	s_wait_loadcnt 0x0
	v_xor_b32_e32 v5, 0x80000000, v5
	ds_store_b64 v65, v[4:5]
.LBB81_12:                              ;   in Loop: Header=BB81_10 Depth=3
	s_wait_xcnt 0x0
	s_or_saveexec_b32 s7, s7
	s_xor_b32 s55, s56, -1
	s_xor_b32 exec_lo, exec_lo, s7
	s_cbranch_execz .LBB81_18
; %bb.13:                               ;   in Loop: Header=BB81_10 Depth=3
	s_and_saveexec_b32 s8, s55
	s_delay_alu instid0(SALU_CYCLE_1)
	s_xor_b32 s8, exec_lo, s8
; %bb.14:                               ;   in Loop: Header=BB81_10 Depth=3
	ds_store_b64 v65, v[22:23]
; %bb.15:                               ;   in Loop: Header=BB81_10 Depth=3
	s_and_not1_saveexec_b32 s8, s8
; %bb.16:                               ;   in Loop: Header=BB81_10 Depth=3
	ds_store_b64 v65, v[24:25]
; %bb.17:                               ;   in Loop: Header=BB81_10 Depth=3
	s_or_b32 exec_lo, exec_lo, s8
.LBB81_18:                              ;   in Loop: Header=BB81_10 Depth=3
	s_delay_alu instid0(SALU_CYCLE_1)
	s_or_b32 exec_lo, exec_lo, s7
	v_cmp_eq_u64_e64 s7, s[46:47], v[34:35]
	v_cmp_gt_i64_e64 s8, v[30:31], v[2:3]
	v_add_nc_u64_e32 v[4:5], s[28:29], v[46:47]
	s_and_b32 s7, s52, s7
	s_or_b32 s6, s6, s8
	s_delay_alu instid0(SALU_CYCLE_1) | instskip(NEXT) | instid1(SALU_CYCLE_1)
	s_or_b32 s6, s6, s7
	s_nor_b32 s6, s3, s6
	s_delay_alu instid0(SALU_CYCLE_1) | instskip(NEXT) | instid1(SALU_CYCLE_1)
	s_and_saveexec_b32 s8, s6
	s_xor_b32 s6, exec_lo, s8
	s_cbranch_execz .LBB81_20
; %bb.19:                               ;   in Loop: Header=BB81_10 Depth=3
	global_load_b64 v[6:7], v[4:5], off
	s_wait_loadcnt 0x0
	v_xor_b32_e32 v7, 0x80000000, v7
	ds_store_b64 v65, v[6:7] offset:128
.LBB81_20:                              ;   in Loop: Header=BB81_10 Depth=3
	s_wait_xcnt 0x0
	s_and_not1_saveexec_b32 s6, s6
	s_cbranch_execz .LBB81_26
; %bb.21:                               ;   in Loop: Header=BB81_10 Depth=3
	s_xor_b32 s7, s7, -1
	s_delay_alu instid0(SALU_CYCLE_1) | instskip(NEXT) | instid1(SALU_CYCLE_1)
	s_and_saveexec_b32 s8, s7
	s_xor_b32 s7, exec_lo, s8
; %bb.22:                               ;   in Loop: Header=BB81_10 Depth=3
	ds_store_b64 v65, v[22:23] offset:128
; %bb.23:                               ;   in Loop: Header=BB81_10 Depth=3
	s_and_not1_saveexec_b32 s7, s7
; %bb.24:                               ;   in Loop: Header=BB81_10 Depth=3
	ds_store_b64 v65, v[24:25] offset:128
; %bb.25:                               ;   in Loop: Header=BB81_10 Depth=3
	s_or_b32 exec_lo, exec_lo, s7
.LBB81_26:                              ;   in Loop: Header=BB81_10 Depth=3
	s_delay_alu instid0(SALU_CYCLE_1) | instskip(SKIP_2) | instid1(VALU_DEP_2)
	s_or_b32 exec_lo, exec_lo, s6
	v_add_nc_u64_e32 v[2:3], 16, v[2:3]
	v_cmp_eq_u64_e64 s7, s[46:47], v[36:37]
	v_cmp_le_i64_e64 s6, s[42:43], v[2:3]
	v_cmp_lt_i64_e64 s8, v[2:3], v[20:21]
	s_and_b32 s57, s52, s7
	s_or_b32 s7, s6, s8
	s_delay_alu instid0(SALU_CYCLE_1) | instskip(NEXT) | instid1(SALU_CYCLE_1)
	s_or_b32 s7, s7, s57
	s_nor_b32 s7, s0, s7
	s_delay_alu instid0(SALU_CYCLE_1) | instskip(NEXT) | instid1(SALU_CYCLE_1)
	s_and_saveexec_b32 s8, s7
	s_xor_b32 s7, exec_lo, s8
	s_cbranch_execz .LBB81_28
; %bb.27:                               ;   in Loop: Header=BB81_10 Depth=3
	global_load_b64 v[0:1], v[0:1], off offset:128
	s_wait_loadcnt 0x0
	s_wait_xcnt 0x0
	v_xor_b32_e32 v1, 0x80000000, v1
	ds_store_b64 v65, v[0:1] offset:4096
.LBB81_28:                              ;   in Loop: Header=BB81_10 Depth=3
	s_and_not1_saveexec_b32 s7, s7
	s_cbranch_execz .LBB81_34
; %bb.29:                               ;   in Loop: Header=BB81_10 Depth=3
	s_xor_b32 s8, s57, -1
	s_delay_alu instid0(SALU_CYCLE_1) | instskip(NEXT) | instid1(SALU_CYCLE_1)
	s_and_saveexec_b32 s57, s8
	s_xor_b32 s8, exec_lo, s57
; %bb.30:                               ;   in Loop: Header=BB81_10 Depth=3
	ds_store_b64 v65, v[22:23] offset:4096
; %bb.31:                               ;   in Loop: Header=BB81_10 Depth=3
	s_and_not1_saveexec_b32 s8, s8
; %bb.32:                               ;   in Loop: Header=BB81_10 Depth=3
	ds_store_b64 v65, v[24:25] offset:4096
; %bb.33:                               ;   in Loop: Header=BB81_10 Depth=3
	s_or_b32 exec_lo, exec_lo, s8
.LBB81_34:                              ;   in Loop: Header=BB81_10 Depth=3
	s_delay_alu instid0(SALU_CYCLE_1) | instskip(SKIP_1) | instid1(SALU_CYCLE_1)
	s_or_b32 exec_lo, exec_lo, s7
	s_or_b32 s5, s6, s5
	s_or_b32 s5, s5, s56
	s_delay_alu instid0(SALU_CYCLE_1) | instskip(NEXT) | instid1(SALU_CYCLE_1)
	s_nor_b32 s5, s3, s5
	s_and_saveexec_b32 s6, s5
	s_delay_alu instid0(SALU_CYCLE_1)
	s_xor_b32 s5, exec_lo, s6
	s_cbranch_execz .LBB81_36
; %bb.35:                               ;   in Loop: Header=BB81_10 Depth=3
	global_load_b64 v[0:1], v[4:5], off offset:128
	s_wait_loadcnt 0x0
	v_xor_b32_e32 v1, 0x80000000, v1
	ds_store_b64 v65, v[0:1] offset:4224
.LBB81_36:                              ;   in Loop: Header=BB81_10 Depth=3
	s_wait_xcnt 0x0
	s_and_not1_saveexec_b32 s5, s5
	s_cbranch_execz .LBB81_42
; %bb.37:                               ;   in Loop: Header=BB81_10 Depth=3
	s_and_saveexec_b32 s6, s55
	s_delay_alu instid0(SALU_CYCLE_1)
	s_xor_b32 s6, exec_lo, s6
; %bb.38:                               ;   in Loop: Header=BB81_10 Depth=3
	ds_store_b64 v65, v[22:23] offset:4224
; %bb.39:                               ;   in Loop: Header=BB81_10 Depth=3
	s_and_not1_saveexec_b32 s6, s6
; %bb.40:                               ;   in Loop: Header=BB81_10 Depth=3
	ds_store_b64 v65, v[24:25] offset:4224
; %bb.41:                               ;   in Loop: Header=BB81_10 Depth=3
	s_or_b32 exec_lo, exec_lo, s6
.LBB81_42:                              ;   in Loop: Header=BB81_10 Depth=3
	s_delay_alu instid0(SALU_CYCLE_1) | instskip(SKIP_3) | instid1(VALU_DEP_3)
	s_or_b32 exec_lo, exec_lo, s5
	v_add_nc_u64_e32 v[2:3], s[46:47], v[20:21]
	v_add_nc_u64_e32 v[0:1], s[28:29], v[54:55]
	v_dual_mov_b32 v4, 0 :: v_dual_mov_b32 v5, 0
	v_cmp_gt_i64_e64 s5, s[42:43], v[2:3]
	s_and_b32 s7, vcc_lo, s5
	s_delay_alu instid0(SALU_CYCLE_1)
	s_and_saveexec_b32 s6, s7
	s_cbranch_execz .LBB81_44
; %bb.43:                               ;   in Loop: Header=BB81_10 Depth=3
	global_load_b64 v[4:5], v[0:1], off
.LBB81_44:                              ;   in Loop: Header=BB81_10 Depth=3
	s_wait_xcnt 0x0
	s_or_b32 exec_lo, exec_lo, s6
	v_cmp_gt_i64_e64 s6, s[20:21], v[2:3]
	s_wait_loadcnt 0x0
	ds_store_b64 v67, v[4:5]
	s_and_b32 s7, vcc_lo, s6
	s_delay_alu instid0(SALU_CYCLE_1) | instskip(NEXT) | instid1(SALU_CYCLE_1)
	s_xor_b32 s7, s7, -1
	s_and_saveexec_b32 s8, s7
	s_delay_alu instid0(SALU_CYCLE_1)
	s_xor_b32 s7, exec_lo, s8
; %bb.45:                               ;   in Loop: Header=BB81_10 Depth=3
	ds_store_b64 v67, v[22:23] offset:128
                                        ; implicit-def: $vgpr0_vgpr1
; %bb.46:                               ;   in Loop: Header=BB81_10 Depth=3
	s_and_not1_saveexec_b32 s7, s7
	s_cbranch_execz .LBB81_48
; %bb.47:                               ;   in Loop: Header=BB81_10 Depth=3
	global_load_b64 v[0:1], v[0:1], off offset:128
	s_wait_loadcnt 0x0
	ds_store_b64 v67, v[0:1] offset:128
.LBB81_48:                              ;   in Loop: Header=BB81_10 Depth=3
	s_wait_xcnt 0x0
	s_or_b32 exec_lo, exec_lo, s7
	v_add_nc_u64_e32 v[0:1], s[28:29], v[56:57]
	v_dual_mov_b32 v2, 0 :: v_dual_mov_b32 v3, 0
	s_and_b32 s7, s4, s5
	s_delay_alu instid0(SALU_CYCLE_1)
	s_and_saveexec_b32 s5, s7
	s_cbranch_execz .LBB81_50
; %bb.49:                               ;   in Loop: Header=BB81_10 Depth=3
	global_load_b64 v[2:3], v[0:1], off
.LBB81_50:                              ;   in Loop: Header=BB81_10 Depth=3
	s_wait_xcnt 0x0
	s_or_b32 exec_lo, exec_lo, s5
	s_and_b32 s5, s4, s6
	s_wait_loadcnt 0x0
	ds_store_b64 v67, v[2:3] offset:4096
	s_xor_b32 s5, s5, -1
	s_delay_alu instid0(SALU_CYCLE_1) | instskip(NEXT) | instid1(SALU_CYCLE_1)
	s_and_saveexec_b32 s6, s5
	s_xor_b32 s5, exec_lo, s6
; %bb.51:                               ;   in Loop: Header=BB81_10 Depth=3
	ds_store_b64 v67, v[22:23] offset:4224
                                        ; implicit-def: $vgpr0_vgpr1
; %bb.52:                               ;   in Loop: Header=BB81_10 Depth=3
	s_and_not1_saveexec_b32 s5, s5
	s_cbranch_execz .LBB81_9
; %bb.53:                               ;   in Loop: Header=BB81_10 Depth=3
	global_load_b64 v[0:1], v[0:1], off offset:128
	s_wait_loadcnt 0x0
	ds_store_b64 v67, v[0:1] offset:4224
	s_branch .LBB81_9
.LBB81_54:                              ;   in Loop: Header=BB81_7 Depth=2
	v_dual_mov_b32 v66, 0 :: v_dual_mov_b32 v68, 0
	v_dual_mov_b32 v62, 0 :: v_dual_mov_b32 v64, 0
	;; [unrolled: 1-line block ×4, first 2 shown]
.LBB81_55:                              ;   in Loop: Header=BB81_7 Depth=2
	v_mul_u64_e32 v[0:1], s[24:25], v[52:53]
	v_cmp_gt_i32_e32 vcc_lo, s30, v52
	s_and_b32 s5, s1, vcc_lo
	s_delay_alu instid0(VALU_DEP_2)
	v_lshl_add_u64 v[0:1], v[0:1], 3, s[22:23]
	s_and_saveexec_b32 s4, s5
	s_cbranch_execz .LBB81_57
; %bb.56:                               ;   in Loop: Header=BB81_7 Depth=2
	s_delay_alu instid0(VALU_DEP_1) | instskip(SKIP_4) | instid1(VALU_DEP_1)
	v_lshl_add_u64 v[2:3], v[20:21], 3, v[0:1]
	v_mov_b64_e32 v[6:7], s[40:41]
	v_mov_b64_e32 v[8:9], s[36:37]
	global_load_b64 v[4:5], v[2:3], off
	v_pk_mul_f32 v[6:7], v[68:69], v[6:7] op_sel_hi:[0,1]
	v_pk_fma_f32 v[10:11], v[66:67], v[8:9], v[6:7] op_sel_hi:[0,1,1]
	v_pk_fma_f32 v[6:7], v[66:67], v[8:9], v[6:7] neg_lo:[0,0,1] neg_hi:[0,0,1]
	s_delay_alu instid0(VALU_DEP_2) | instskip(SKIP_1) | instid1(VALU_DEP_1)
	v_mov_b32_e32 v7, v11
	s_wait_loadcnt 0x0
	v_pk_add_f32 v[4:5], v[4:5], v[6:7]
	global_store_b64 v[2:3], v[4:5], off
.LBB81_57:                              ;   in Loop: Header=BB81_7 Depth=2
	s_wait_xcnt 0x0
	s_or_b32 exec_lo, exec_lo, s4
	s_and_b32 s5, s2, vcc_lo
	s_delay_alu instid0(SALU_CYCLE_1)
	s_and_saveexec_b32 s4, s5
	s_cbranch_execz .LBB81_59
; %bb.58:                               ;   in Loop: Header=BB81_7 Depth=2
	v_lshl_add_u64 v[0:1], v[28:29], 3, v[0:1]
	v_mov_b64_e32 v[4:5], s[40:41]
	v_mov_b64_e32 v[6:7], s[36:37]
	global_load_b64 v[2:3], v[0:1], off
	v_pk_mul_f32 v[4:5], v[64:65], v[4:5] op_sel_hi:[0,1]
	s_delay_alu instid0(VALU_DEP_1) | instskip(SKIP_1) | instid1(VALU_DEP_2)
	v_pk_fma_f32 v[8:9], v[62:63], v[6:7], v[4:5] op_sel_hi:[0,1,1]
	v_pk_fma_f32 v[4:5], v[62:63], v[6:7], v[4:5] neg_lo:[0,0,1] neg_hi:[0,0,1]
	v_mov_b32_e32 v5, v9
	s_wait_loadcnt 0x0
	s_delay_alu instid0(VALU_DEP_1)
	v_pk_add_f32 v[2:3], v[2:3], v[4:5]
	global_store_b64 v[0:1], v[2:3], off
.LBB81_59:                              ;   in Loop: Header=BB81_7 Depth=2
	s_wait_xcnt 0x0
	s_or_b32 exec_lo, exec_lo, s4
	v_add_nc_u32_e32 v0, 16, v52
	s_delay_alu instid0(VALU_DEP_1) | instskip(SKIP_1) | instid1(VALU_DEP_2)
	v_ashrrev_i32_e32 v1, 31, v0
	v_cmp_gt_i32_e32 vcc_lo, s30, v0
	v_mul_u64_e32 v[2:3], s[24:25], v[0:1]
	s_and_b32 s5, s1, vcc_lo
	s_delay_alu instid0(VALU_DEP_1)
	v_lshl_add_u64 v[0:1], v[2:3], 3, s[22:23]
	s_and_saveexec_b32 s4, s5
	s_cbranch_execz .LBB81_61
; %bb.60:                               ;   in Loop: Header=BB81_7 Depth=2
	s_delay_alu instid0(VALU_DEP_1) | instskip(SKIP_4) | instid1(VALU_DEP_1)
	v_lshl_add_u64 v[2:3], v[20:21], 3, v[0:1]
	v_mov_b64_e32 v[6:7], s[40:41]
	v_mov_b64_e32 v[8:9], s[36:37]
	global_load_b64 v[4:5], v[2:3], off
	v_pk_mul_f32 v[6:7], v[58:59], v[6:7] op_sel_hi:[0,1]
	v_pk_fma_f32 v[10:11], v[16:17], v[8:9], v[6:7] op_sel_hi:[0,1,1]
	v_pk_fma_f32 v[6:7], v[16:17], v[8:9], v[6:7] neg_lo:[0,0,1] neg_hi:[0,0,1]
	s_delay_alu instid0(VALU_DEP_2) | instskip(SKIP_1) | instid1(VALU_DEP_1)
	v_mov_b32_e32 v7, v11
	s_wait_loadcnt 0x0
	v_pk_add_f32 v[4:5], v[4:5], v[6:7]
	global_store_b64 v[2:3], v[4:5], off
.LBB81_61:                              ;   in Loop: Header=BB81_7 Depth=2
	s_wait_xcnt 0x0
	s_or_b32 exec_lo, exec_lo, s4
	s_and_b32 s5, s2, vcc_lo
	s_delay_alu instid0(SALU_CYCLE_1)
	s_and_saveexec_b32 s4, s5
	s_cbranch_execz .LBB81_6
; %bb.62:                               ;   in Loop: Header=BB81_7 Depth=2
	v_lshl_add_u64 v[0:1], v[28:29], 3, v[0:1]
	v_mov_b64_e32 v[4:5], s[40:41]
	v_mov_b64_e32 v[6:7], s[36:37]
	global_load_b64 v[2:3], v[0:1], off
	v_pk_mul_f32 v[4:5], v[18:19], v[4:5] op_sel_hi:[0,1]
	s_delay_alu instid0(VALU_DEP_1) | instskip(SKIP_1) | instid1(VALU_DEP_2)
	v_pk_fma_f32 v[8:9], v[60:61], v[6:7], v[4:5] op_sel_hi:[0,1,1]
	v_pk_fma_f32 v[4:5], v[60:61], v[6:7], v[4:5] neg_lo:[0,0,1] neg_hi:[0,0,1]
	v_mov_b32_e32 v5, v9
	s_wait_loadcnt 0x0
	s_delay_alu instid0(VALU_DEP_1)
	v_pk_add_f32 v[2:3], v[2:3], v[4:5]
	global_store_b64 v[0:1], v[2:3], off
	s_branch .LBB81_6
.LBB81_63:
	s_sendmsg sendmsg(MSG_DEALLOC_VGPRS)
	s_endpgm
	.section	.rodata,"a",@progbits
	.p2align	6, 0x0
	.amdhsa_kernel _ZL30rocblas_trmm_outofplace_kernelI19rocblas_complex_numIfELi32ELi2ELb1ELb0ELb1ELb1ES1_KS1_S1_Ev17rocblas_diagonal_iiT6_lPT7_lllS6_lllPT8_llli
		.amdhsa_group_segment_fixed_size 16384
		.amdhsa_private_segment_fixed_size 0
		.amdhsa_kernarg_size 392
		.amdhsa_user_sgpr_count 2
		.amdhsa_user_sgpr_dispatch_ptr 0
		.amdhsa_user_sgpr_queue_ptr 0
		.amdhsa_user_sgpr_kernarg_segment_ptr 1
		.amdhsa_user_sgpr_dispatch_id 0
		.amdhsa_user_sgpr_kernarg_preload_length 0
		.amdhsa_user_sgpr_kernarg_preload_offset 0
		.amdhsa_user_sgpr_private_segment_size 0
		.amdhsa_wavefront_size32 1
		.amdhsa_uses_dynamic_stack 0
		.amdhsa_enable_private_segment 0
		.amdhsa_system_sgpr_workgroup_id_x 1
		.amdhsa_system_sgpr_workgroup_id_y 1
		.amdhsa_system_sgpr_workgroup_id_z 1
		.amdhsa_system_sgpr_workgroup_info 0
		.amdhsa_system_vgpr_workitem_id 1
		.amdhsa_next_free_vgpr 82
		.amdhsa_next_free_sgpr 58
		.amdhsa_named_barrier_count 0
		.amdhsa_reserve_vcc 1
		.amdhsa_float_round_mode_32 0
		.amdhsa_float_round_mode_16_64 0
		.amdhsa_float_denorm_mode_32 3
		.amdhsa_float_denorm_mode_16_64 3
		.amdhsa_fp16_overflow 0
		.amdhsa_memory_ordered 1
		.amdhsa_forward_progress 1
		.amdhsa_inst_pref_size 60
		.amdhsa_round_robin_scheduling 0
		.amdhsa_exception_fp_ieee_invalid_op 0
		.amdhsa_exception_fp_denorm_src 0
		.amdhsa_exception_fp_ieee_div_zero 0
		.amdhsa_exception_fp_ieee_overflow 0
		.amdhsa_exception_fp_ieee_underflow 0
		.amdhsa_exception_fp_ieee_inexact 0
		.amdhsa_exception_int_div_zero 0
	.end_amdhsa_kernel
	.section	.text._ZL30rocblas_trmm_outofplace_kernelI19rocblas_complex_numIfELi32ELi2ELb1ELb0ELb1ELb1ES1_KS1_S1_Ev17rocblas_diagonal_iiT6_lPT7_lllS6_lllPT8_llli,"axG",@progbits,_ZL30rocblas_trmm_outofplace_kernelI19rocblas_complex_numIfELi32ELi2ELb1ELb0ELb1ELb1ES1_KS1_S1_Ev17rocblas_diagonal_iiT6_lPT7_lllS6_lllPT8_llli,comdat
.Lfunc_end81:
	.size	_ZL30rocblas_trmm_outofplace_kernelI19rocblas_complex_numIfELi32ELi2ELb1ELb0ELb1ELb1ES1_KS1_S1_Ev17rocblas_diagonal_iiT6_lPT7_lllS6_lllPT8_llli, .Lfunc_end81-_ZL30rocblas_trmm_outofplace_kernelI19rocblas_complex_numIfELi32ELi2ELb1ELb0ELb1ELb1ES1_KS1_S1_Ev17rocblas_diagonal_iiT6_lPT7_lllS6_lllPT8_llli
                                        ; -- End function
	.set _ZL30rocblas_trmm_outofplace_kernelI19rocblas_complex_numIfELi32ELi2ELb1ELb0ELb1ELb1ES1_KS1_S1_Ev17rocblas_diagonal_iiT6_lPT7_lllS6_lllPT8_llli.num_vgpr, 82
	.set _ZL30rocblas_trmm_outofplace_kernelI19rocblas_complex_numIfELi32ELi2ELb1ELb0ELb1ELb1ES1_KS1_S1_Ev17rocblas_diagonal_iiT6_lPT7_lllS6_lllPT8_llli.num_agpr, 0
	.set _ZL30rocblas_trmm_outofplace_kernelI19rocblas_complex_numIfELi32ELi2ELb1ELb0ELb1ELb1ES1_KS1_S1_Ev17rocblas_diagonal_iiT6_lPT7_lllS6_lllPT8_llli.numbered_sgpr, 58
	.set _ZL30rocblas_trmm_outofplace_kernelI19rocblas_complex_numIfELi32ELi2ELb1ELb0ELb1ELb1ES1_KS1_S1_Ev17rocblas_diagonal_iiT6_lPT7_lllS6_lllPT8_llli.num_named_barrier, 0
	.set _ZL30rocblas_trmm_outofplace_kernelI19rocblas_complex_numIfELi32ELi2ELb1ELb0ELb1ELb1ES1_KS1_S1_Ev17rocblas_diagonal_iiT6_lPT7_lllS6_lllPT8_llli.private_seg_size, 0
	.set _ZL30rocblas_trmm_outofplace_kernelI19rocblas_complex_numIfELi32ELi2ELb1ELb0ELb1ELb1ES1_KS1_S1_Ev17rocblas_diagonal_iiT6_lPT7_lllS6_lllPT8_llli.uses_vcc, 1
	.set _ZL30rocblas_trmm_outofplace_kernelI19rocblas_complex_numIfELi32ELi2ELb1ELb0ELb1ELb1ES1_KS1_S1_Ev17rocblas_diagonal_iiT6_lPT7_lllS6_lllPT8_llli.uses_flat_scratch, 0
	.set _ZL30rocblas_trmm_outofplace_kernelI19rocblas_complex_numIfELi32ELi2ELb1ELb0ELb1ELb1ES1_KS1_S1_Ev17rocblas_diagonal_iiT6_lPT7_lllS6_lllPT8_llli.has_dyn_sized_stack, 0
	.set _ZL30rocblas_trmm_outofplace_kernelI19rocblas_complex_numIfELi32ELi2ELb1ELb0ELb1ELb1ES1_KS1_S1_Ev17rocblas_diagonal_iiT6_lPT7_lllS6_lllPT8_llli.has_recursion, 0
	.set _ZL30rocblas_trmm_outofplace_kernelI19rocblas_complex_numIfELi32ELi2ELb1ELb0ELb1ELb1ES1_KS1_S1_Ev17rocblas_diagonal_iiT6_lPT7_lllS6_lllPT8_llli.has_indirect_call, 0
	.section	.AMDGPU.csdata,"",@progbits
; Kernel info:
; codeLenInByte = 7580
; TotalNumSgprs: 60
; NumVgprs: 82
; ScratchSize: 0
; MemoryBound: 0
; FloatMode: 240
; IeeeMode: 1
; LDSByteSize: 16384 bytes/workgroup (compile time only)
; SGPRBlocks: 0
; VGPRBlocks: 5
; NumSGPRsForWavesPerEU: 60
; NumVGPRsForWavesPerEU: 82
; NamedBarCnt: 0
; Occupancy: 10
; WaveLimiterHint : 0
; COMPUTE_PGM_RSRC2:SCRATCH_EN: 0
; COMPUTE_PGM_RSRC2:USER_SGPR: 2
; COMPUTE_PGM_RSRC2:TRAP_HANDLER: 0
; COMPUTE_PGM_RSRC2:TGID_X_EN: 1
; COMPUTE_PGM_RSRC2:TGID_Y_EN: 1
; COMPUTE_PGM_RSRC2:TGID_Z_EN: 1
; COMPUTE_PGM_RSRC2:TIDIG_COMP_CNT: 1
	.section	.text._ZL30rocblas_trmm_outofplace_kernelI19rocblas_complex_numIfELi32ELi2ELb1ELb1ELb1ELb1EPKS1_S2_S1_Ev17rocblas_diagonal_iiT6_lPT7_lllS7_lllPT8_llli,"axG",@progbits,_ZL30rocblas_trmm_outofplace_kernelI19rocblas_complex_numIfELi32ELi2ELb1ELb1ELb1ELb1EPKS1_S2_S1_Ev17rocblas_diagonal_iiT6_lPT7_lllS7_lllPT8_llli,comdat
	.globl	_ZL30rocblas_trmm_outofplace_kernelI19rocblas_complex_numIfELi32ELi2ELb1ELb1ELb1ELb1EPKS1_S2_S1_Ev17rocblas_diagonal_iiT6_lPT7_lllS7_lllPT8_llli ; -- Begin function _ZL30rocblas_trmm_outofplace_kernelI19rocblas_complex_numIfELi32ELi2ELb1ELb1ELb1ELb1EPKS1_S2_S1_Ev17rocblas_diagonal_iiT6_lPT7_lllS7_lllPT8_llli
	.p2align	8
	.type	_ZL30rocblas_trmm_outofplace_kernelI19rocblas_complex_numIfELi32ELi2ELb1ELb1ELb1ELb1EPKS1_S2_S1_Ev17rocblas_diagonal_iiT6_lPT7_lllS7_lllPT8_llli,@function
_ZL30rocblas_trmm_outofplace_kernelI19rocblas_complex_numIfELi32ELi2ELb1ELb1ELb1ELb1EPKS1_S2_S1_Ev17rocblas_diagonal_iiT6_lPT7_lllS7_lllPT8_llli: ; @_ZL30rocblas_trmm_outofplace_kernelI19rocblas_complex_numIfELi32ELi2ELb1ELb1ELb1ELb1EPKS1_S2_S1_Ev17rocblas_diagonal_iiT6_lPT7_lllS7_lllPT8_llli
; %bb.0:
	s_load_b32 s11, s[0:1], 0x80
	s_bfe_u32 s2, ttmp6, 0x40014
	s_lshr_b32 s3, ttmp7, 16
	s_add_co_i32 s2, s2, 1
	s_bfe_u32 s5, ttmp6, 0x40008
	s_mul_i32 s2, s3, s2
	s_getreg_b32 s4, hwreg(HW_REG_IB_STS2, 6, 4)
	s_add_co_i32 s5, s5, s2
	s_cmp_eq_u32 s4, 0
	s_mov_b32 s35, 0
	s_cselect_b32 s34, s3, s5
	s_wait_kmcnt 0x0
	s_cmp_ge_u32 s34, s11
	s_cbranch_scc1 .LBB82_63
; %bb.1:
	s_clause 0x2
	s_load_b96 s[8:10], s[0:1], 0x0
	s_load_b256 s[36:43], s[0:1], 0x50
	s_load_b512 s[12:27], s[0:1], 0x10
	s_bfe_u32 s3, ttmp6, 0x4000c
	s_and_b32 s2, ttmp6, 15
	s_add_co_i32 s3, s3, 1
	s_bfe_u32 s6, ttmp6, 0x40010
	s_mul_i32 s3, ttmp9, s3
	s_and_b32 s5, ttmp7, 0xffff
	s_add_co_i32 s6, s6, 1
	s_add_co_i32 s30, s2, s3
	s_bfe_u32 s7, ttmp6, 0x40004
	s_mul_i32 s6, s5, s6
	v_and_b32_e32 v16, 0x3ff, v0
	s_add_co_i32 s7, s7, s6
	v_bfe_u32 v20, v0, 10, 10
	v_mov_b64_e32 v[22:23], 0
	v_mov_b64_e32 v[24:25], 0x3f800000
	v_dual_mov_b32 v21, 0 :: v_dual_lshlrev_b32 v26, 3, v16
	s_wait_kmcnt 0x0
	s_add_co_i32 s28, s10, -1
	v_lshlrev_b32_e32 v8, 8, v20
	s_ashr_i32 s29, s28, 31
	v_dual_mov_b32 v7, v21 :: v_dual_lshlrev_b32 v6, 3, v20
	s_lshr_b32 s2, s29, 27
	v_mov_b32_e32 v17, v21
	s_add_co_i32 s28, s28, s2
	s_lshl_b64 s[2:3], s[42:43], 3
	s_ashr_i32 s33, s28, 5
	s_cmp_eq_u32 s4, 0
	v_dual_mov_b32 v27, v21 :: v_dual_add_nc_u32 v61, v26, v8
	s_cselect_b32 s48, s5, s7
	s_cselect_b32 s4, ttmp9, s30
	s_cmp_le_i32 s48, s33
	s_load_b128 s[28:31], s[0:1], 0x70
	s_cselect_b32 s49, -1, 0
	s_lshl_b32 s50, s4, 5
	s_cmp_gt_i32 s4, -1
	v_add_nc_u32_e32 v18, s50, v16
	s_cselect_b32 s51, -1, 0
	s_cmp_eq_u32 s8, 0x84
	s_add_nc_u64 s[40:41], s[40:41], s[2:3]
	s_cselect_b32 s52, -1, 0
	v_ashrrev_i32_e32 v19, 31, v18
	s_lshl_b64 s[4:5], s[18:19], 3
	s_lshl_b64 s[2:3], s[26:27], 3
	v_add_nc_u32_e32 v59, 0x2000, v8
	v_add_nc_u32_e32 v28, 16, v18
	v_lshl_add_u64 v[2:3], v[18:19], 3, 0x80
	v_mul_u64_e32 v[4:5], s[20:21], v[18:19]
	v_add_nc_u64_e32 v[30:31], 16, v[18:19]
	s_mov_b32 s42, s9
	s_ashr_i32 s43, s9, 31
	v_mad_nc_u64_u32 v[0:1], s20, v2, s[4:5]
	s_add_nc_u64 s[2:3], s[24:25], s[2:3]
	v_sub_nc_u64_e32 v[34:35], v[18:19], v[20:21]
	v_add_nc_u64_e32 v[32:33], s[2:3], v[26:27]
	v_cmp_le_i64_e64 s3, s[42:43], v[30:31]
	s_add_nc_u64 s[18:19], s[0:1], 0x88
	v_dual_add_nc_u32 v63, v59, v26 :: v_dual_ashrrev_i32 v29, 31, v28
	s_wait_xcnt 0x0
	v_cmp_le_i32_e64 s0, s9, v18
	v_cmp_gt_i32_e64 s1, s9, v18
	v_cmp_gt_i32_e64 s2, s9, v28
	v_mad_u32 v1, s21, v2, v1
	v_add_nc_u32_e32 v27, 0x800, v26
	v_add_nc_u32_e32 v65, 0x1000, v26
	;; [unrolled: 1-line block ×3, first 2 shown]
	s_mov_b32 s44, s10
	s_ashr_i32 s45, s10, 31
	s_lshl_b64 s[24:25], s[36:37], 3
	s_delay_alu instid0(VALU_DEP_4) | instskip(SKIP_2) | instid1(VALU_DEP_1)
	v_mad_u32 v1, s20, v3, v1
	s_add_nc_u64 s[20:21], s[42:43], -16
	v_lshl_add_u64 v[2:3], v[4:5], 3, s[4:5]
	v_add_nc_u64_e32 v[2:3], v[2:3], v[6:7]
	s_delay_alu instid0(VALU_DEP_3) | instskip(NEXT) | instid1(VALU_DEP_2)
	v_add_nc_u64_e32 v[0:1], v[0:1], v[6:7]
	v_add_nc_u64_e32 v[36:37], s[16:17], v[2:3]
	s_delay_alu instid0(VALU_DEP_2)
	v_add_nc_u64_e32 v[38:39], s[16:17], v[0:1]
	s_lshl_b64 s[16:17], s[22:23], 3
	s_lshl_b64 s[22:23], s[38:39], 3
	s_branch .LBB82_4
.LBB82_2:                               ;   in Loop: Header=BB82_4 Depth=1
	s_add_co_i32 s34, s34, 0x10000
	s_delay_alu instid0(SALU_CYCLE_1)
	s_cmp_ge_u32 s34, s11
	s_cselect_b32 s4, -1, 0
.LBB82_3:                               ;   in Loop: Header=BB82_4 Depth=1
	s_delay_alu instid0(SALU_CYCLE_1)
	s_and_b32 vcc_lo, exec_lo, s4
	s_cbranch_vccnz .LBB82_63
.LBB82_4:                               ; =>This Loop Header: Depth=1
                                        ;     Child Loop BB82_8 Depth 2
                                        ;       Child Loop BB82_11 Depth 3
	s_mul_u64 s[4:5], s[14:15], s[34:35]
	s_delay_alu instid0(SALU_CYCLE_1) | instskip(NEXT) | instid1(SALU_CYCLE_1)
	s_lshl_b64 s[4:5], s[4:5], 3
	s_add_nc_u64 s[4:5], s[12:13], s[4:5]
	global_load_b64 v[40:41], v21, s[4:5]
	s_wait_xcnt 0x0
	s_mov_b32 s4, -1
	s_wait_loadcnt 0x0
	v_or_b32_e32 v0, v40, v41
	s_delay_alu instid0(VALU_DEP_1) | instskip(NEXT) | instid1(VALU_DEP_1)
	v_and_b32_e32 v0, 0x7fffffff, v0
	v_cmp_eq_u32_e32 vcc_lo, 0, v0
	s_cbranch_vccnz .LBB82_3
; %bb.5:                                ;   in Loop: Header=BB82_4 Depth=1
	s_and_not1_b32 vcc_lo, exec_lo, s49
	s_cbranch_vccnz .LBB82_2
; %bb.6:                                ;   in Loop: Header=BB82_4 Depth=1
	s_load_b32 s9, s[18:19], 0x4
	v_mad_nc_u64_u32 v[42:43], s22, s34, v[32:33]
	v_mad_nc_u64_u32 v[44:45], s16, s34, v[38:39]
	;; [unrolled: 1-line block ×3, first 2 shown]
	s_mul_i32 s6, s17, s34
	s_wait_kmcnt 0x0
	s_mul_u64 s[4:5], s[30:31], s[34:35]
	v_lshl_add_u32 v50, s48, 5, v20
	v_dual_mov_b32 v48, v41 :: v_dual_mov_b32 v49, v40
	s_lshl_b64 s[4:5], s[4:5], 3
	s_mov_b32 s54, s48
	s_add_nc_u64 s[26:27], s[40:41], s[4:5]
	v_mad_u32 v43, s23, s34, v43
	s_delay_alu instid0(VALU_DEP_4)
	v_dual_add_nc_u32 v45, s6, v45 :: v_dual_add_nc_u32 v47, s6, v47
	s_lshl_b32 s53, s9, 5
	s_branch .LBB82_8
.LBB82_7:                               ;   in Loop: Header=BB82_8 Depth=2
	s_wait_xcnt 0x0
	s_or_b32 exec_lo, exec_lo, s4
	v_add_nc_u32_e32 v50, s53, v50
	s_add_co_i32 s54, s9, s54
	s_delay_alu instid0(SALU_CYCLE_1)
	s_cmp_gt_i32 s54, s33
	s_cbranch_scc1 .LBB82_2
.LBB82_8:                               ;   Parent Loop BB82_4 Depth=1
                                        ; =>  This Loop Header: Depth=2
                                        ;       Child Loop BB82_11 Depth 3
	v_lshl_add_u32 v52, s54, 5, v20
	v_dual_mov_b32 v66, 0 :: v_dual_mov_b32 v68, 0
	v_dual_mov_b32 v62, 0 :: v_dual_mov_b32 v64, 0
	s_delay_alu instid0(VALU_DEP_3)
	v_dual_mov_b32 v58, 0 :: v_dual_ashrrev_i32 v53, 31, v52
	v_dual_mov_b32 v60, 0 :: v_dual_mov_b32 v14, 0
	v_mov_b32_e32 v12, 0
	s_and_not1_b32 vcc_lo, exec_lo, s51
	s_cbranch_vccnz .LBB82_55
; %bb.9:                                ;   in Loop: Header=BB82_8 Depth=2
	v_dual_mov_b32 v12, 0 :: v_dual_ashrrev_i32 v51, 31, v50
	v_mad_nc_u64_u32 v[54:55], s24, v50, v[42:43]
	v_sub_nc_u64_e32 v[2:3], s[44:45], v[52:53]
	v_dual_mov_b32 v14, 0 :: v_dual_mov_b32 v60, 0
	s_delay_alu instid0(VALU_DEP_4) | instskip(SKIP_2) | instid1(VALU_DEP_3)
	v_lshl_add_u64 v[0:1], v[50:51], 3, 0x80
	v_dual_mov_b32 v58, 0 :: v_dual_mov_b32 v64, 0
	v_dual_mov_b32 v62, 0 :: v_dual_mov_b32 v68, 0
	v_mad_nc_u64_u32 v[56:57], s36, v0, v[42:43]
	v_cmp_lt_i64_e64 s4, 16, v[2:3]
	v_mad_u32 v4, s25, v50, v55
	v_mov_b32_e32 v66, 0
	s_mov_b64 s[38:39], 0
	s_mov_b64 s[46:47], 0
	v_cmp_lt_i64_e32 vcc_lo, 0, v[2:3]
	v_mad_u32 v0, s37, v0, v57
	s_delay_alu instid0(VALU_DEP_4) | instskip(NEXT) | instid1(VALU_DEP_2)
	v_mad_u32 v55, s24, v51, v4
	v_mad_u32 v57, s36, v1, v0
	s_branch .LBB82_11
.LBB82_10:                              ;   in Loop: Header=BB82_11 Depth=3
	s_wait_xcnt 0x0
	s_or_b32 exec_lo, exec_lo, s5
	s_wait_dscnt 0x0
	s_barrier_signal -1
	s_barrier_wait -1
	ds_load_b128 v[70:73], v59
	ds_load_b128 v[8:11], v59 offset:16
	ds_load_b128 v[4:7], v59 offset:32
	;; [unrolled: 1-line block ×3, first 2 shown]
	ds_load_2addr_b64 v[74:77], v26 offset1:16
	s_add_nc_u64 s[46:47], s[46:47], 32
	s_add_nc_u64 s[38:39], s[38:39], 0x100
	s_sub_co_i32 s5, s46, 32
	s_delay_alu instid0(SALU_CYCLE_1) | instskip(SKIP_2) | instid1(VALU_DEP_1)
	s_cmp_ge_i32 s5, s50
	s_wait_dscnt 0x0
	v_dual_mul_f32 v13, v71, v75 :: v_dual_mul_f32 v15, v70, v75
	v_dual_fma_f32 v13, v70, v74, -v13 :: v_dual_fmac_f32 v15, v71, v74
	s_delay_alu instid0(VALU_DEP_1) | instskip(SKIP_1) | instid1(VALU_DEP_1)
	v_dual_add_f32 v51, v66, v13 :: v_dual_add_f32 v66, v68, v15
	v_dual_mul_f32 v13, v71, v77 :: v_dual_mul_f32 v15, v70, v77
	v_dual_fma_f32 v13, v70, v76, -v13 :: v_dual_fmac_f32 v15, v71, v76
	ds_load_b128 v[68:71], v59 offset:4096
	v_dual_add_f32 v62, v62, v13 :: v_dual_add_f32 v64, v64, v15
	s_wait_dscnt 0x0
	v_dual_mul_f32 v13, v69, v75 :: v_dual_mul_f32 v15, v68, v75
	s_delay_alu instid0(VALU_DEP_1) | instskip(NEXT) | instid1(VALU_DEP_1)
	v_dual_fma_f32 v13, v68, v74, -v13 :: v_dual_fmac_f32 v15, v69, v74
	v_dual_add_f32 v58, v58, v13 :: v_dual_add_f32 v60, v60, v15
	v_dual_mul_f32 v13, v69, v77 :: v_dual_mul_f32 v15, v68, v77
	s_delay_alu instid0(VALU_DEP_1) | instskip(NEXT) | instid1(VALU_DEP_1)
	v_dual_fma_f32 v13, v68, v76, -v13 :: v_dual_fmac_f32 v15, v69, v76
	v_dual_add_f32 v68, v14, v13 :: v_dual_add_f32 v69, v12, v15
	ds_load_2addr_b64 v[12:15], v26 offset0:32 offset1:48
	s_wait_dscnt 0x0
	v_dual_mul_f32 v74, v73, v13 :: v_dual_mul_f32 v75, v72, v13
	s_delay_alu instid0(VALU_DEP_1) | instskip(NEXT) | instid1(VALU_DEP_1)
	v_dual_fma_f32 v74, v72, v12, -v74 :: v_dual_fmac_f32 v75, v73, v12
	v_dual_add_f32 v51, v51, v74 :: v_dual_add_f32 v66, v66, v75
	v_mul_f32_e32 v74, v73, v15
	s_delay_alu instid0(VALU_DEP_1) | instskip(NEXT) | instid1(VALU_DEP_1)
	v_dual_fma_f32 v74, v72, v14, -v74 :: v_dual_mul_f32 v72, v72, v15
	v_fmac_f32_e32 v72, v73, v14
	s_delay_alu instid0(VALU_DEP_1) | instskip(SKIP_1) | instid1(VALU_DEP_1)
	v_dual_add_f32 v62, v62, v74 :: v_dual_add_f32 v64, v64, v72
	v_dual_mul_f32 v72, v71, v13 :: v_dual_mul_f32 v13, v70, v13
	v_dual_fma_f32 v72, v70, v12, -v72 :: v_dual_fmac_f32 v13, v71, v12
	s_delay_alu instid0(VALU_DEP_1) | instskip(NEXT) | instid1(VALU_DEP_2)
	v_dual_mul_f32 v12, v71, v15 :: v_dual_add_f32 v72, v58, v72
	v_dual_add_f32 v60, v60, v13 :: v_dual_mul_f32 v13, v70, v15
	s_delay_alu instid0(VALU_DEP_1) | instskip(NEXT) | instid1(VALU_DEP_1)
	v_dual_fma_f32 v12, v70, v14, -v12 :: v_dual_fmac_f32 v13, v71, v14
	v_dual_add_f32 v73, v68, v12 :: v_dual_add_f32 v74, v69, v13
	ds_load_2addr_b64 v[68:71], v26 offset0:64 offset1:80
	s_wait_dscnt 0x0
	v_dual_mul_f32 v12, v9, v69 :: v_dual_mul_f32 v13, v8, v69
	s_delay_alu instid0(VALU_DEP_1) | instskip(NEXT) | instid1(VALU_DEP_1)
	v_dual_fma_f32 v12, v8, v68, -v12 :: v_dual_fmac_f32 v13, v9, v68
	v_dual_add_f32 v51, v51, v12 :: v_dual_add_f32 v58, v66, v13
	v_dual_mul_f32 v12, v9, v71 :: v_dual_mul_f32 v13, v8, v71
	s_delay_alu instid0(VALU_DEP_1) | instskip(NEXT) | instid1(VALU_DEP_1)
	v_dual_fma_f32 v12, v8, v70, -v12 :: v_dual_fmac_f32 v13, v9, v70
	v_dual_add_f32 v8, v62, v12 :: v_dual_add_f32 v9, v64, v13
	ds_load_b128 v[12:15], v59 offset:4112
	s_wait_dscnt 0x0
	v_dual_mul_f32 v62, v13, v69 :: v_dual_mul_f32 v64, v12, v69
	s_delay_alu instid0(VALU_DEP_1) | instskip(NEXT) | instid1(VALU_DEP_1)
	v_dual_fma_f32 v62, v12, v68, -v62 :: v_dual_fmac_f32 v64, v13, v68
	v_add_f32_e32 v62, v72, v62
	s_delay_alu instid0(VALU_DEP_2) | instskip(NEXT) | instid1(VALU_DEP_1)
	v_dual_add_f32 v60, v60, v64 :: v_dual_mul_f32 v64, v13, v71
	v_dual_fma_f32 v64, v12, v70, -v64 :: v_dual_mul_f32 v12, v12, v71
	s_delay_alu instid0(VALU_DEP_1) | instskip(SKIP_4) | instid1(VALU_DEP_1)
	v_fmac_f32_e32 v12, v13, v70
	ds_load_2addr_b64 v[68:71], v26 offset0:96 offset1:112
	v_add_f32_e32 v13, v73, v64
	s_wait_dscnt 0x0
	v_dual_add_f32 v12, v74, v12 :: v_dual_mul_f32 v64, v11, v69
	v_dual_mul_f32 v66, v10, v69 :: v_dual_fma_f32 v64, v10, v68, -v64
	s_delay_alu instid0(VALU_DEP_1) | instskip(NEXT) | instid1(VALU_DEP_2)
	v_add_f32_e32 v51, v51, v64
	v_dual_mul_f32 v64, v11, v71 :: v_dual_fmac_f32 v66, v11, v68
	s_delay_alu instid0(VALU_DEP_1) | instskip(NEXT) | instid1(VALU_DEP_1)
	v_dual_fma_f32 v64, v10, v70, -v64 :: v_dual_mul_f32 v10, v10, v71
	v_dual_add_f32 v58, v58, v66 :: v_dual_add_f32 v64, v8, v64
	v_mul_f32_e32 v8, v15, v69
	s_delay_alu instid0(VALU_DEP_1) | instskip(NEXT) | instid1(VALU_DEP_1)
	v_dual_fmac_f32 v10, v11, v70 :: v_dual_fma_f32 v8, v14, v68, -v8
	v_dual_add_f32 v66, v9, v10 :: v_dual_mul_f32 v9, v14, v69
	s_delay_alu instid0(VALU_DEP_1) | instskip(NEXT) | instid1(VALU_DEP_3)
	v_fmac_f32_e32 v9, v15, v68
	v_dual_add_f32 v62, v62, v8 :: v_dual_mul_f32 v8, v15, v71
	s_delay_alu instid0(VALU_DEP_2) | instskip(NEXT) | instid1(VALU_DEP_1)
	v_dual_add_f32 v60, v60, v9 :: v_dual_mul_f32 v9, v14, v71
	v_dual_fma_f32 v8, v14, v70, -v8 :: v_dual_fmac_f32 v9, v15, v70
	s_delay_alu instid0(VALU_DEP_1) | instskip(SKIP_3) | instid1(VALU_DEP_1)
	v_dual_add_f32 v68, v13, v8 :: v_dual_add_f32 v69, v12, v9
	ds_load_2addr_b64 v[8:11], v26 offset0:128 offset1:144
	s_wait_dscnt 0x0
	v_dual_mul_f32 v12, v5, v9 :: v_dual_mul_f32 v13, v4, v9
	v_dual_fma_f32 v12, v4, v8, -v12 :: v_dual_fmac_f32 v13, v5, v8
	s_delay_alu instid0(VALU_DEP_1) | instskip(SKIP_1) | instid1(VALU_DEP_1)
	v_dual_add_f32 v51, v51, v12 :: v_dual_add_f32 v58, v58, v13
	v_mul_f32_e32 v12, v5, v11
	v_dual_fma_f32 v12, v4, v10, -v12 :: v_dual_mul_f32 v4, v4, v11
	s_delay_alu instid0(VALU_DEP_1) | instskip(NEXT) | instid1(VALU_DEP_1)
	v_fmac_f32_e32 v4, v5, v10
	v_add_f32_e32 v4, v66, v4
	s_delay_alu instid0(VALU_DEP_3) | instskip(SKIP_3) | instid1(VALU_DEP_1)
	v_add_f32_e32 v5, v64, v12
	ds_load_b128 v[12:15], v59 offset:4128
	s_wait_dscnt 0x0
	v_dual_mul_f32 v64, v13, v9 :: v_dual_mul_f32 v9, v12, v9
	v_dual_fma_f32 v64, v12, v8, -v64 :: v_dual_fmac_f32 v9, v13, v8
	s_delay_alu instid0(VALU_DEP_1) | instskip(NEXT) | instid1(VALU_DEP_2)
	v_dual_mul_f32 v8, v13, v11 :: v_dual_add_f32 v62, v62, v64
	v_add_f32_e32 v60, v60, v9
	s_delay_alu instid0(VALU_DEP_2) | instskip(NEXT) | instid1(VALU_DEP_1)
	v_dual_mul_f32 v9, v12, v11 :: v_dual_fma_f32 v8, v12, v10, -v8
	v_dual_fmac_f32 v9, v13, v10 :: v_dual_add_f32 v12, v68, v8
	s_delay_alu instid0(VALU_DEP_1) | instskip(SKIP_3) | instid1(VALU_DEP_1)
	v_add_f32_e32 v13, v69, v9
	ds_load_2addr_b64 v[8:11], v26 offset0:160 offset1:176
	s_wait_dscnt 0x0
	v_dual_mul_f32 v64, v7, v9 :: v_dual_mul_f32 v66, v6, v9
	v_dual_fma_f32 v64, v6, v8, -v64 :: v_dual_fmac_f32 v66, v7, v8
	s_delay_alu instid0(VALU_DEP_1) | instskip(SKIP_1) | instid1(VALU_DEP_1)
	v_dual_add_f32 v51, v51, v64 :: v_dual_add_f32 v58, v58, v66
	v_mul_f32_e32 v64, v7, v11
	v_dual_fma_f32 v64, v6, v10, -v64 :: v_dual_mul_f32 v6, v6, v11
	s_delay_alu instid0(VALU_DEP_1) | instskip(NEXT) | instid1(VALU_DEP_1)
	v_dual_fmac_f32 v6, v7, v10 :: v_dual_add_f32 v5, v5, v64
	v_dual_mul_f32 v7, v14, v9 :: v_dual_add_f32 v4, v4, v6
	s_delay_alu instid0(VALU_DEP_1) | instskip(NEXT) | instid1(VALU_DEP_1)
	v_dual_mul_f32 v6, v15, v9 :: v_dual_fmac_f32 v7, v15, v8
	v_dual_fma_f32 v6, v14, v8, -v6 :: v_dual_add_f32 v60, v60, v7
	v_mul_f32_e32 v7, v14, v11
	s_delay_alu instid0(VALU_DEP_2) | instskip(NEXT) | instid1(VALU_DEP_1)
	v_dual_add_f32 v62, v62, v6 :: v_dual_mul_f32 v6, v15, v11
	v_dual_fmac_f32 v7, v15, v10 :: v_dual_fma_f32 v6, v14, v10, -v6
	s_delay_alu instid0(VALU_DEP_1) | instskip(SKIP_3) | instid1(VALU_DEP_1)
	v_dual_add_f32 v15, v13, v7 :: v_dual_add_f32 v14, v12, v6
	ds_load_2addr_b64 v[10:13], v26 offset0:192 offset1:208
	s_wait_dscnt 0x0
	v_dual_mul_f32 v6, v1, v11 :: v_dual_mul_f32 v7, v0, v11
	v_dual_fma_f32 v6, v0, v10, -v6 :: v_dual_fmac_f32 v7, v1, v10
	s_delay_alu instid0(VALU_DEP_1) | instskip(SKIP_1) | instid1(VALU_DEP_1)
	v_dual_add_f32 v8, v51, v6 :: v_dual_add_f32 v9, v58, v7
	v_dual_mul_f32 v6, v1, v13 :: v_dual_mul_f32 v7, v0, v13
	v_dual_fma_f32 v6, v0, v12, -v6 :: v_dual_fmac_f32 v7, v1, v12
	s_delay_alu instid0(VALU_DEP_1) | instskip(SKIP_3) | instid1(VALU_DEP_1)
	v_dual_add_f32 v0, v5, v6 :: v_dual_add_f32 v1, v4, v7
	ds_load_b128 v[4:7], v59 offset:4144
	s_wait_dscnt 0x0
	v_dual_mul_f32 v51, v5, v11 :: v_dual_mul_f32 v11, v4, v11
	v_fma_f32 v51, v4, v10, -v51
	s_delay_alu instid0(VALU_DEP_2) | instskip(NEXT) | instid1(VALU_DEP_1)
	v_dual_fmac_f32 v11, v5, v10 :: v_dual_mul_f32 v10, v5, v13
	v_dual_add_f32 v51, v62, v51 :: v_dual_fma_f32 v10, v4, v12, -v10
	v_mul_f32_e32 v4, v4, v13
	s_delay_alu instid0(VALU_DEP_1) | instskip(NEXT) | instid1(VALU_DEP_3)
	v_dual_add_f32 v58, v60, v11 :: v_dual_fmac_f32 v4, v5, v12
	v_add_f32_e32 v5, v14, v10
	ds_load_2addr_b64 v[10:13], v26 offset0:224 offset1:240
	v_add_f32_e32 v4, v15, v4
	s_wait_dscnt 0x0
	v_dual_mul_f32 v14, v3, v11 :: v_dual_mul_f32 v15, v2, v11
	s_delay_alu instid0(VALU_DEP_1) | instskip(NEXT) | instid1(VALU_DEP_1)
	v_dual_fma_f32 v14, v2, v10, -v14 :: v_dual_fmac_f32 v15, v3, v10
	v_dual_add_f32 v8, v8, v14 :: v_dual_add_f32 v9, v9, v15
	v_mul_f32_e32 v14, v3, v13
	s_delay_alu instid0(VALU_DEP_1) | instskip(NEXT) | instid1(VALU_DEP_1)
	v_dual_fma_f32 v14, v2, v12, -v14 :: v_dual_mul_f32 v2, v2, v13
	v_fmac_f32_e32 v2, v3, v12
	s_delay_alu instid0(VALU_DEP_1) | instskip(NEXT) | instid1(VALU_DEP_3)
	v_add_f32_e32 v15, v1, v2
	v_dual_add_f32 v14, v0, v14 :: v_dual_mul_f32 v0, v7, v11
	s_delay_alu instid0(VALU_DEP_1) | instskip(NEXT) | instid1(VALU_DEP_1)
	v_dual_mul_f32 v1, v6, v11 :: v_dual_fma_f32 v0, v6, v10, -v0
	v_fmac_f32_e32 v1, v7, v10
	s_delay_alu instid0(VALU_DEP_1) | instskip(SKIP_1) | instid1(VALU_DEP_1)
	v_dual_add_f32 v51, v51, v0 :: v_dual_add_f32 v58, v58, v1
	v_dual_mul_f32 v0, v7, v13 :: v_dual_mul_f32 v1, v6, v13
	v_dual_fma_f32 v0, v6, v12, -v0 :: v_dual_fmac_f32 v1, v7, v12
	s_delay_alu instid0(VALU_DEP_1) | instskip(SKIP_4) | instid1(VALU_DEP_1)
	v_dual_add_f32 v12, v5, v0 :: v_dual_add_f32 v13, v4, v1
	ds_load_b128 v[0:3], v59 offset:64
	ds_load_2addr_b64 v[4:7], v27 offset1:16
	s_wait_dscnt 0x0
	v_dual_mul_f32 v10, v1, v5 :: v_dual_mul_f32 v11, v0, v5
	v_dual_fma_f32 v10, v0, v4, -v10 :: v_dual_fmac_f32 v11, v1, v4
	s_delay_alu instid0(VALU_DEP_1) | instskip(SKIP_1) | instid1(VALU_DEP_1)
	v_dual_add_f32 v60, v8, v10 :: v_dual_add_f32 v62, v9, v11
	v_mul_f32_e32 v8, v1, v7
	v_dual_fma_f32 v8, v0, v6, -v8 :: v_dual_mul_f32 v0, v0, v7
	s_delay_alu instid0(VALU_DEP_1) | instskip(NEXT) | instid1(VALU_DEP_1)
	v_fmac_f32_e32 v0, v1, v6
	v_add_f32_e32 v0, v15, v0
	s_delay_alu instid0(VALU_DEP_3) | instskip(SKIP_3) | instid1(VALU_DEP_1)
	v_add_f32_e32 v1, v14, v8
	ds_load_b128 v[8:11], v59 offset:4160
	s_wait_dscnt 0x0
	v_dual_mul_f32 v14, v9, v5 :: v_dual_mul_f32 v5, v8, v5
	v_dual_fma_f32 v14, v8, v4, -v14 :: v_dual_fmac_f32 v5, v9, v4
	s_delay_alu instid0(VALU_DEP_1) | instskip(NEXT) | instid1(VALU_DEP_2)
	v_dual_mul_f32 v4, v9, v7 :: v_dual_add_f32 v14, v51, v14
	v_dual_add_f32 v15, v58, v5 :: v_dual_mul_f32 v5, v8, v7
	s_delay_alu instid0(VALU_DEP_1) | instskip(NEXT) | instid1(VALU_DEP_1)
	v_dual_fma_f32 v4, v8, v6, -v4 :: v_dual_fmac_f32 v5, v9, v6
	v_dual_add_f32 v8, v12, v4 :: v_dual_add_f32 v9, v13, v5
	ds_load_2addr_b64 v[4:7], v27 offset0:32 offset1:48
	s_wait_dscnt 0x0
	v_dual_mul_f32 v12, v3, v5 :: v_dual_mul_f32 v13, v2, v5
	s_delay_alu instid0(VALU_DEP_1) | instskip(NEXT) | instid1(VALU_DEP_1)
	v_dual_mul_f32 v51, v3, v7 :: v_dual_fma_f32 v12, v2, v4, -v12
	v_dual_fmac_f32 v13, v3, v4 :: v_dual_fma_f32 v51, v2, v6, -v51
	s_delay_alu instid0(VALU_DEP_2) | instskip(NEXT) | instid1(VALU_DEP_1)
	v_dual_mul_f32 v2, v2, v7 :: v_dual_add_f32 v12, v60, v12
	v_dual_add_f32 v13, v62, v13 :: v_dual_fmac_f32 v2, v3, v6
	s_delay_alu instid0(VALU_DEP_3) | instskip(NEXT) | instid1(VALU_DEP_2)
	v_dual_add_f32 v51, v1, v51 :: v_dual_mul_f32 v1, v10, v5
	v_dual_add_f32 v58, v0, v2 :: v_dual_mul_f32 v0, v11, v5
	s_delay_alu instid0(VALU_DEP_1) | instskip(NEXT) | instid1(VALU_DEP_1)
	v_dual_fmac_f32 v1, v11, v4 :: v_dual_fma_f32 v0, v10, v4, -v0
	v_dual_add_f32 v15, v15, v1 :: v_dual_mul_f32 v1, v10, v7
	s_delay_alu instid0(VALU_DEP_2) | instskip(NEXT) | instid1(VALU_DEP_1)
	v_dual_add_f32 v14, v14, v0 :: v_dual_mul_f32 v0, v11, v7
	v_dual_fmac_f32 v1, v11, v6 :: v_dual_fma_f32 v0, v10, v6, -v0
	s_delay_alu instid0(VALU_DEP_1) | instskip(SKIP_4) | instid1(VALU_DEP_1)
	v_dual_add_f32 v62, v9, v1 :: v_dual_add_f32 v60, v8, v0
	ds_load_b128 v[0:3], v59 offset:80
	ds_load_2addr_b64 v[8:11], v27 offset0:64 offset1:80
	s_wait_dscnt 0x0
	v_dual_mul_f32 v4, v1, v9 :: v_dual_mul_f32 v5, v0, v9
	v_dual_fma_f32 v4, v0, v8, -v4 :: v_dual_fmac_f32 v5, v1, v8
	s_delay_alu instid0(VALU_DEP_1) | instskip(SKIP_1) | instid1(VALU_DEP_1)
	v_dual_add_f32 v12, v12, v4 :: v_dual_add_f32 v13, v13, v5
	v_mul_f32_e32 v4, v1, v11
	v_dual_fma_f32 v4, v0, v10, -v4 :: v_dual_mul_f32 v0, v0, v11
	s_delay_alu instid0(VALU_DEP_1) | instskip(NEXT) | instid1(VALU_DEP_1)
	v_fmac_f32_e32 v0, v1, v10
	v_add_f32_e32 v0, v58, v0
	s_delay_alu instid0(VALU_DEP_3) | instskip(SKIP_3) | instid1(VALU_DEP_1)
	v_add_f32_e32 v1, v51, v4
	ds_load_b128 v[4:7], v59 offset:4176
	s_wait_dscnt 0x0
	v_dual_mul_f32 v51, v5, v9 :: v_dual_mul_f32 v9, v4, v9
	v_dual_fma_f32 v51, v4, v8, -v51 :: v_dual_fmac_f32 v9, v5, v8
	v_mul_f32_e32 v8, v5, v11
	s_delay_alu instid0(VALU_DEP_2) | instskip(NEXT) | instid1(VALU_DEP_2)
	v_dual_add_f32 v14, v14, v51 :: v_dual_add_f32 v15, v15, v9
	v_dual_fma_f32 v8, v4, v10, -v8 :: v_dual_mul_f32 v4, v4, v11
	s_delay_alu instid0(VALU_DEP_1) | instskip(NEXT) | instid1(VALU_DEP_1)
	v_fmac_f32_e32 v4, v5, v10
	v_add_f32_e32 v4, v62, v4
	s_delay_alu instid0(VALU_DEP_3) | instskip(SKIP_3) | instid1(VALU_DEP_1)
	v_add_f32_e32 v5, v60, v8
	ds_load_2addr_b64 v[8:11], v27 offset0:96 offset1:112
	s_wait_dscnt 0x0
	v_dual_mul_f32 v51, v3, v9 :: v_dual_mul_f32 v58, v2, v9
	v_dual_fma_f32 v51, v2, v8, -v51 :: v_dual_fmac_f32 v58, v3, v8
	s_delay_alu instid0(VALU_DEP_1) | instskip(SKIP_1) | instid1(VALU_DEP_1)
	v_dual_add_f32 v12, v12, v51 :: v_dual_add_f32 v13, v13, v58
	v_mul_f32_e32 v51, v3, v11
	v_dual_fma_f32 v51, v2, v10, -v51 :: v_dual_mul_f32 v2, v2, v11
	s_delay_alu instid0(VALU_DEP_1) | instskip(NEXT) | instid1(VALU_DEP_1)
	v_dual_fmac_f32 v2, v3, v10 :: v_dual_add_f32 v51, v1, v51
	v_dual_mul_f32 v1, v6, v9 :: v_dual_add_f32 v58, v0, v2
	s_delay_alu instid0(VALU_DEP_1) | instskip(NEXT) | instid1(VALU_DEP_1)
	v_dual_mul_f32 v0, v7, v9 :: v_dual_fmac_f32 v1, v7, v8
	v_dual_fma_f32 v0, v6, v8, -v0 :: v_dual_add_f32 v15, v15, v1
	v_mul_f32_e32 v1, v6, v11
	s_delay_alu instid0(VALU_DEP_2) | instskip(NEXT) | instid1(VALU_DEP_1)
	v_dual_add_f32 v14, v14, v0 :: v_dual_mul_f32 v0, v7, v11
	v_dual_fmac_f32 v1, v7, v10 :: v_dual_fma_f32 v0, v6, v10, -v0
	s_delay_alu instid0(VALU_DEP_1) | instskip(SKIP_4) | instid1(VALU_DEP_1)
	v_dual_add_f32 v62, v4, v1 :: v_dual_add_f32 v60, v5, v0
	ds_load_b128 v[0:3], v59 offset:96
	ds_load_2addr_b64 v[4:7], v27 offset0:128 offset1:144
	s_wait_dscnt 0x0
	v_dual_mul_f32 v8, v1, v5 :: v_dual_mul_f32 v9, v0, v5
	v_dual_fma_f32 v8, v0, v4, -v8 :: v_dual_fmac_f32 v9, v1, v4
	s_delay_alu instid0(VALU_DEP_1) | instskip(SKIP_1) | instid1(VALU_DEP_1)
	v_dual_add_f32 v12, v12, v8 :: v_dual_add_f32 v13, v13, v9
	v_mul_f32_e32 v8, v1, v7
	v_dual_fma_f32 v8, v0, v6, -v8 :: v_dual_mul_f32 v0, v0, v7
	s_delay_alu instid0(VALU_DEP_1) | instskip(NEXT) | instid1(VALU_DEP_1)
	v_fmac_f32_e32 v0, v1, v6
	v_add_f32_e32 v0, v58, v0
	s_delay_alu instid0(VALU_DEP_3) | instskip(SKIP_3) | instid1(VALU_DEP_1)
	v_add_f32_e32 v1, v51, v8
	ds_load_b128 v[8:11], v59 offset:4192
	s_wait_dscnt 0x0
	v_dual_mul_f32 v51, v9, v5 :: v_dual_mul_f32 v5, v8, v5
	v_dual_fma_f32 v51, v8, v4, -v51 :: v_dual_fmac_f32 v5, v9, v4
	v_mul_f32_e32 v4, v9, v7
	s_delay_alu instid0(VALU_DEP_2) | instskip(NEXT) | instid1(VALU_DEP_2)
	v_dual_add_f32 v14, v14, v51 :: v_dual_add_f32 v15, v15, v5
	v_dual_mul_f32 v5, v8, v7 :: v_dual_fma_f32 v4, v8, v6, -v4
	s_delay_alu instid0(VALU_DEP_1) | instskip(NEXT) | instid1(VALU_DEP_1)
	v_dual_fmac_f32 v5, v9, v6 :: v_dual_add_f32 v8, v60, v4
	v_add_f32_e32 v9, v62, v5
	ds_load_2addr_b64 v[4:7], v27 offset0:160 offset1:176
	s_wait_dscnt 0x0
	v_dual_mul_f32 v51, v3, v5 :: v_dual_mul_f32 v58, v2, v5
	s_delay_alu instid0(VALU_DEP_1) | instskip(NEXT) | instid1(VALU_DEP_1)
	v_dual_fma_f32 v51, v2, v4, -v51 :: v_dual_fmac_f32 v58, v3, v4
	v_dual_add_f32 v12, v12, v51 :: v_dual_add_f32 v13, v13, v58
	v_mul_f32_e32 v51, v3, v7
	s_delay_alu instid0(VALU_DEP_1) | instskip(NEXT) | instid1(VALU_DEP_1)
	v_dual_fma_f32 v51, v2, v6, -v51 :: v_dual_mul_f32 v2, v2, v7
	v_dual_fmac_f32 v2, v3, v6 :: v_dual_add_f32 v51, v1, v51
	s_delay_alu instid0(VALU_DEP_1) | instskip(NEXT) | instid1(VALU_DEP_1)
	v_dual_mul_f32 v1, v10, v5 :: v_dual_add_f32 v58, v0, v2
	v_dual_mul_f32 v0, v11, v5 :: v_dual_fmac_f32 v1, v11, v4
	s_delay_alu instid0(VALU_DEP_1) | instskip(SKIP_1) | instid1(VALU_DEP_2)
	v_dual_fma_f32 v0, v10, v4, -v0 :: v_dual_add_f32 v15, v15, v1
	v_mul_f32_e32 v1, v10, v7
	v_dual_add_f32 v14, v14, v0 :: v_dual_mul_f32 v0, v11, v7
	s_delay_alu instid0(VALU_DEP_1) | instskip(NEXT) | instid1(VALU_DEP_1)
	v_dual_fmac_f32 v1, v11, v6 :: v_dual_fma_f32 v0, v10, v6, -v0
	v_dual_add_f32 v62, v9, v1 :: v_dual_add_f32 v60, v8, v0
	ds_load_b128 v[0:3], v59 offset:112
	ds_load_2addr_b64 v[8:11], v27 offset0:192 offset1:208
	s_wait_dscnt 0x0
	v_dual_mul_f32 v4, v1, v9 :: v_dual_mul_f32 v5, v0, v9
	s_delay_alu instid0(VALU_DEP_1) | instskip(NEXT) | instid1(VALU_DEP_1)
	v_dual_fma_f32 v4, v0, v8, -v4 :: v_dual_fmac_f32 v5, v1, v8
	v_dual_add_f32 v12, v12, v4 :: v_dual_add_f32 v13, v13, v5
	v_mul_f32_e32 v4, v1, v11
	s_delay_alu instid0(VALU_DEP_1) | instskip(NEXT) | instid1(VALU_DEP_1)
	v_dual_fma_f32 v4, v0, v10, -v4 :: v_dual_mul_f32 v0, v0, v11
	v_fmac_f32_e32 v0, v1, v10
	s_delay_alu instid0(VALU_DEP_1) | instskip(NEXT) | instid1(VALU_DEP_3)
	v_add_f32_e32 v0, v58, v0
	v_add_f32_e32 v1, v51, v4
	ds_load_b128 v[4:7], v59 offset:4208
	s_wait_dscnt 0x0
	v_dual_mul_f32 v51, v5, v9 :: v_dual_mul_f32 v9, v4, v9
	s_delay_alu instid0(VALU_DEP_1) | instskip(SKIP_1) | instid1(VALU_DEP_2)
	v_dual_fma_f32 v51, v4, v8, -v51 :: v_dual_fmac_f32 v9, v5, v8
	v_mul_f32_e32 v8, v5, v11
	v_dual_add_f32 v14, v14, v51 :: v_dual_add_f32 v15, v15, v9
	s_delay_alu instid0(VALU_DEP_2) | instskip(NEXT) | instid1(VALU_DEP_1)
	v_dual_fma_f32 v8, v4, v10, -v8 :: v_dual_mul_f32 v4, v4, v11
	v_fmac_f32_e32 v4, v5, v10
	s_delay_alu instid0(VALU_DEP_1) | instskip(NEXT) | instid1(VALU_DEP_3)
	v_add_f32_e32 v4, v62, v4
	v_add_f32_e32 v5, v60, v8
	ds_load_2addr_b64 v[8:11], v27 offset0:224 offset1:240
	s_wait_dscnt 0x0
	v_dual_mul_f32 v51, v3, v9 :: v_dual_mul_f32 v58, v2, v9
	s_delay_alu instid0(VALU_DEP_1) | instskip(NEXT) | instid1(VALU_DEP_1)
	v_dual_fma_f32 v51, v2, v8, -v51 :: v_dual_fmac_f32 v58, v3, v8
	v_dual_add_f32 v12, v12, v51 :: v_dual_add_f32 v13, v13, v58
	v_mul_f32_e32 v51, v3, v11
	s_delay_alu instid0(VALU_DEP_1) | instskip(NEXT) | instid1(VALU_DEP_1)
	v_dual_fma_f32 v51, v2, v10, -v51 :: v_dual_mul_f32 v2, v2, v11
	v_dual_fmac_f32 v2, v3, v10 :: v_dual_add_f32 v51, v1, v51
	s_delay_alu instid0(VALU_DEP_1) | instskip(NEXT) | instid1(VALU_DEP_1)
	v_dual_mul_f32 v1, v6, v9 :: v_dual_add_f32 v58, v0, v2
	v_dual_mul_f32 v0, v7, v9 :: v_dual_fmac_f32 v1, v7, v8
	s_delay_alu instid0(VALU_DEP_1) | instskip(SKIP_1) | instid1(VALU_DEP_2)
	v_dual_fma_f32 v0, v6, v8, -v0 :: v_dual_add_f32 v15, v15, v1
	v_mul_f32_e32 v1, v6, v11
	v_dual_add_f32 v14, v14, v0 :: v_dual_mul_f32 v0, v7, v11
	s_delay_alu instid0(VALU_DEP_1) | instskip(NEXT) | instid1(VALU_DEP_1)
	v_dual_fmac_f32 v1, v7, v10 :: v_dual_fma_f32 v0, v6, v10, -v0
	v_dual_add_f32 v62, v4, v1 :: v_dual_add_f32 v60, v5, v0
	ds_load_b128 v[0:3], v59 offset:128
	ds_load_2addr_b64 v[4:7], v65 offset1:16
	s_wait_dscnt 0x0
	v_dual_mul_f32 v8, v1, v5 :: v_dual_mul_f32 v9, v0, v5
	s_delay_alu instid0(VALU_DEP_1) | instskip(NEXT) | instid1(VALU_DEP_1)
	v_dual_fma_f32 v8, v0, v4, -v8 :: v_dual_fmac_f32 v9, v1, v4
	v_dual_add_f32 v12, v12, v8 :: v_dual_add_f32 v13, v13, v9
	v_mul_f32_e32 v8, v1, v7
	s_delay_alu instid0(VALU_DEP_1) | instskip(NEXT) | instid1(VALU_DEP_1)
	v_dual_fma_f32 v8, v0, v6, -v8 :: v_dual_mul_f32 v0, v0, v7
	v_fmac_f32_e32 v0, v1, v6
	s_delay_alu instid0(VALU_DEP_1) | instskip(NEXT) | instid1(VALU_DEP_3)
	v_add_f32_e32 v0, v58, v0
	v_add_f32_e32 v1, v51, v8
	ds_load_b128 v[8:11], v59 offset:4224
	s_wait_dscnt 0x0
	v_dual_mul_f32 v51, v9, v5 :: v_dual_mul_f32 v5, v8, v5
	s_delay_alu instid0(VALU_DEP_1) | instskip(SKIP_1) | instid1(VALU_DEP_2)
	v_dual_fma_f32 v51, v8, v4, -v51 :: v_dual_fmac_f32 v5, v9, v4
	v_mul_f32_e32 v4, v9, v7
	v_dual_add_f32 v14, v14, v51 :: v_dual_add_f32 v15, v15, v5
	s_delay_alu instid0(VALU_DEP_2) | instskip(NEXT) | instid1(VALU_DEP_1)
	v_dual_mul_f32 v5, v8, v7 :: v_dual_fma_f32 v4, v8, v6, -v4
	v_dual_fmac_f32 v5, v9, v6 :: v_dual_add_f32 v8, v60, v4
	s_delay_alu instid0(VALU_DEP_1) | instskip(SKIP_3) | instid1(VALU_DEP_1)
	v_add_f32_e32 v9, v62, v5
	ds_load_2addr_b64 v[4:7], v65 offset0:32 offset1:48
	s_wait_dscnt 0x0
	v_dual_mul_f32 v51, v3, v5 :: v_dual_mul_f32 v58, v2, v5
	v_dual_fma_f32 v51, v2, v4, -v51 :: v_dual_fmac_f32 v58, v3, v4
	s_delay_alu instid0(VALU_DEP_1) | instskip(SKIP_1) | instid1(VALU_DEP_1)
	v_dual_add_f32 v12, v12, v51 :: v_dual_add_f32 v13, v13, v58
	v_mul_f32_e32 v51, v3, v7
	v_dual_fma_f32 v51, v2, v6, -v51 :: v_dual_mul_f32 v2, v2, v7
	s_delay_alu instid0(VALU_DEP_1) | instskip(NEXT) | instid1(VALU_DEP_1)
	v_dual_fmac_f32 v2, v3, v6 :: v_dual_add_f32 v51, v1, v51
	v_dual_mul_f32 v1, v10, v5 :: v_dual_add_f32 v58, v0, v2
	s_delay_alu instid0(VALU_DEP_1) | instskip(NEXT) | instid1(VALU_DEP_1)
	v_dual_mul_f32 v0, v11, v5 :: v_dual_fmac_f32 v1, v11, v4
	v_dual_fma_f32 v0, v10, v4, -v0 :: v_dual_add_f32 v15, v15, v1
	v_mul_f32_e32 v1, v10, v7
	s_delay_alu instid0(VALU_DEP_2) | instskip(NEXT) | instid1(VALU_DEP_1)
	v_dual_add_f32 v14, v14, v0 :: v_dual_mul_f32 v0, v11, v7
	v_dual_fmac_f32 v1, v11, v6 :: v_dual_fma_f32 v0, v10, v6, -v0
	s_delay_alu instid0(VALU_DEP_1) | instskip(SKIP_4) | instid1(VALU_DEP_1)
	v_dual_add_f32 v62, v9, v1 :: v_dual_add_f32 v60, v8, v0
	ds_load_b128 v[0:3], v59 offset:144
	ds_load_2addr_b64 v[8:11], v65 offset0:64 offset1:80
	s_wait_dscnt 0x0
	v_dual_mul_f32 v4, v1, v9 :: v_dual_mul_f32 v5, v0, v9
	v_dual_fma_f32 v4, v0, v8, -v4 :: v_dual_fmac_f32 v5, v1, v8
	s_delay_alu instid0(VALU_DEP_1) | instskip(SKIP_1) | instid1(VALU_DEP_1)
	v_dual_add_f32 v12, v12, v4 :: v_dual_add_f32 v13, v13, v5
	v_mul_f32_e32 v4, v1, v11
	v_dual_fma_f32 v4, v0, v10, -v4 :: v_dual_mul_f32 v0, v0, v11
	s_delay_alu instid0(VALU_DEP_1) | instskip(NEXT) | instid1(VALU_DEP_1)
	v_fmac_f32_e32 v0, v1, v10
	v_add_f32_e32 v0, v58, v0
	s_delay_alu instid0(VALU_DEP_3) | instskip(SKIP_3) | instid1(VALU_DEP_1)
	v_add_f32_e32 v1, v51, v4
	ds_load_b128 v[4:7], v59 offset:4240
	s_wait_dscnt 0x0
	v_dual_mul_f32 v51, v5, v9 :: v_dual_mul_f32 v9, v4, v9
	v_dual_fma_f32 v51, v4, v8, -v51 :: v_dual_fmac_f32 v9, v5, v8
	v_mul_f32_e32 v8, v5, v11
	s_delay_alu instid0(VALU_DEP_2) | instskip(NEXT) | instid1(VALU_DEP_2)
	v_dual_add_f32 v14, v14, v51 :: v_dual_add_f32 v15, v15, v9
	v_dual_fma_f32 v8, v4, v10, -v8 :: v_dual_mul_f32 v4, v4, v11
	s_delay_alu instid0(VALU_DEP_1) | instskip(NEXT) | instid1(VALU_DEP_1)
	v_fmac_f32_e32 v4, v5, v10
	v_add_f32_e32 v4, v62, v4
	s_delay_alu instid0(VALU_DEP_3) | instskip(SKIP_3) | instid1(VALU_DEP_1)
	v_add_f32_e32 v5, v60, v8
	ds_load_2addr_b64 v[8:11], v65 offset0:96 offset1:112
	s_wait_dscnt 0x0
	v_dual_mul_f32 v51, v3, v9 :: v_dual_mul_f32 v58, v2, v9
	v_dual_fma_f32 v51, v2, v8, -v51 :: v_dual_fmac_f32 v58, v3, v8
	s_delay_alu instid0(VALU_DEP_1) | instskip(SKIP_1) | instid1(VALU_DEP_1)
	v_dual_add_f32 v12, v12, v51 :: v_dual_add_f32 v13, v13, v58
	v_mul_f32_e32 v51, v3, v11
	v_dual_fma_f32 v51, v2, v10, -v51 :: v_dual_mul_f32 v2, v2, v11
	s_delay_alu instid0(VALU_DEP_1) | instskip(NEXT) | instid1(VALU_DEP_1)
	v_dual_fmac_f32 v2, v3, v10 :: v_dual_add_f32 v51, v1, v51
	v_dual_mul_f32 v1, v6, v9 :: v_dual_add_f32 v58, v0, v2
	s_delay_alu instid0(VALU_DEP_1) | instskip(NEXT) | instid1(VALU_DEP_1)
	v_dual_mul_f32 v0, v7, v9 :: v_dual_fmac_f32 v1, v7, v8
	v_dual_fma_f32 v0, v6, v8, -v0 :: v_dual_add_f32 v15, v15, v1
	v_mul_f32_e32 v1, v6, v11
	s_delay_alu instid0(VALU_DEP_2) | instskip(NEXT) | instid1(VALU_DEP_1)
	v_dual_add_f32 v14, v14, v0 :: v_dual_mul_f32 v0, v7, v11
	v_dual_fmac_f32 v1, v7, v10 :: v_dual_fma_f32 v0, v6, v10, -v0
	s_delay_alu instid0(VALU_DEP_1) | instskip(SKIP_4) | instid1(VALU_DEP_1)
	v_dual_add_f32 v62, v4, v1 :: v_dual_add_f32 v60, v5, v0
	ds_load_b128 v[0:3], v59 offset:160
	ds_load_2addr_b64 v[4:7], v65 offset0:128 offset1:144
	s_wait_dscnt 0x0
	v_dual_mul_f32 v8, v1, v5 :: v_dual_mul_f32 v9, v0, v5
	v_dual_fma_f32 v8, v0, v4, -v8 :: v_dual_fmac_f32 v9, v1, v4
	s_delay_alu instid0(VALU_DEP_1) | instskip(SKIP_1) | instid1(VALU_DEP_1)
	v_dual_add_f32 v12, v12, v8 :: v_dual_add_f32 v13, v13, v9
	v_mul_f32_e32 v8, v1, v7
	v_dual_fma_f32 v8, v0, v6, -v8 :: v_dual_mul_f32 v0, v0, v7
	s_delay_alu instid0(VALU_DEP_1) | instskip(NEXT) | instid1(VALU_DEP_1)
	v_fmac_f32_e32 v0, v1, v6
	v_add_f32_e32 v0, v58, v0
	s_delay_alu instid0(VALU_DEP_3) | instskip(SKIP_3) | instid1(VALU_DEP_1)
	v_add_f32_e32 v1, v51, v8
	ds_load_b128 v[8:11], v59 offset:4256
	s_wait_dscnt 0x0
	v_dual_mul_f32 v51, v9, v5 :: v_dual_mul_f32 v5, v8, v5
	v_dual_fma_f32 v51, v8, v4, -v51 :: v_dual_fmac_f32 v5, v9, v4
	v_mul_f32_e32 v4, v9, v7
	s_delay_alu instid0(VALU_DEP_2) | instskip(NEXT) | instid1(VALU_DEP_2)
	v_dual_add_f32 v14, v14, v51 :: v_dual_add_f32 v15, v15, v5
	v_dual_mul_f32 v5, v8, v7 :: v_dual_fma_f32 v4, v8, v6, -v4
	s_delay_alu instid0(VALU_DEP_1) | instskip(NEXT) | instid1(VALU_DEP_1)
	v_dual_fmac_f32 v5, v9, v6 :: v_dual_add_f32 v8, v60, v4
	v_add_f32_e32 v9, v62, v5
	ds_load_2addr_b64 v[4:7], v65 offset0:160 offset1:176
	s_wait_dscnt 0x0
	v_dual_mul_f32 v51, v3, v5 :: v_dual_mul_f32 v58, v2, v5
	s_delay_alu instid0(VALU_DEP_1) | instskip(NEXT) | instid1(VALU_DEP_1)
	v_dual_fma_f32 v51, v2, v4, -v51 :: v_dual_fmac_f32 v58, v3, v4
	v_dual_add_f32 v12, v12, v51 :: v_dual_add_f32 v13, v13, v58
	v_mul_f32_e32 v51, v3, v7
	s_delay_alu instid0(VALU_DEP_1) | instskip(NEXT) | instid1(VALU_DEP_1)
	v_dual_fma_f32 v51, v2, v6, -v51 :: v_dual_mul_f32 v2, v2, v7
	v_dual_fmac_f32 v2, v3, v6 :: v_dual_add_f32 v51, v1, v51
	s_delay_alu instid0(VALU_DEP_1) | instskip(NEXT) | instid1(VALU_DEP_1)
	v_dual_mul_f32 v1, v10, v5 :: v_dual_add_f32 v58, v0, v2
	v_dual_mul_f32 v0, v11, v5 :: v_dual_fmac_f32 v1, v11, v4
	s_delay_alu instid0(VALU_DEP_1) | instskip(SKIP_1) | instid1(VALU_DEP_2)
	v_dual_fma_f32 v0, v10, v4, -v0 :: v_dual_add_f32 v15, v15, v1
	v_mul_f32_e32 v1, v10, v7
	v_dual_add_f32 v14, v14, v0 :: v_dual_mul_f32 v0, v11, v7
	s_delay_alu instid0(VALU_DEP_1) | instskip(NEXT) | instid1(VALU_DEP_1)
	v_dual_fmac_f32 v1, v11, v6 :: v_dual_fma_f32 v0, v10, v6, -v0
	v_dual_add_f32 v62, v9, v1 :: v_dual_add_f32 v60, v8, v0
	ds_load_b128 v[0:3], v59 offset:176
	ds_load_2addr_b64 v[8:11], v65 offset0:192 offset1:208
	s_wait_dscnt 0x0
	v_dual_mul_f32 v4, v1, v9 :: v_dual_mul_f32 v5, v0, v9
	s_delay_alu instid0(VALU_DEP_1) | instskip(NEXT) | instid1(VALU_DEP_1)
	v_dual_fma_f32 v4, v0, v8, -v4 :: v_dual_fmac_f32 v5, v1, v8
	v_dual_add_f32 v12, v12, v4 :: v_dual_add_f32 v13, v13, v5
	v_mul_f32_e32 v4, v1, v11
	s_delay_alu instid0(VALU_DEP_1) | instskip(NEXT) | instid1(VALU_DEP_1)
	v_dual_fma_f32 v4, v0, v10, -v4 :: v_dual_mul_f32 v0, v0, v11
	v_fmac_f32_e32 v0, v1, v10
	s_delay_alu instid0(VALU_DEP_1) | instskip(NEXT) | instid1(VALU_DEP_3)
	v_add_f32_e32 v0, v58, v0
	v_add_f32_e32 v1, v51, v4
	ds_load_b128 v[4:7], v59 offset:4272
	s_wait_dscnt 0x0
	v_dual_mul_f32 v51, v5, v9 :: v_dual_mul_f32 v9, v4, v9
	s_delay_alu instid0(VALU_DEP_1) | instskip(SKIP_1) | instid1(VALU_DEP_2)
	v_dual_fma_f32 v51, v4, v8, -v51 :: v_dual_fmac_f32 v9, v5, v8
	v_mul_f32_e32 v8, v5, v11
	v_dual_add_f32 v14, v14, v51 :: v_dual_add_f32 v15, v15, v9
	s_delay_alu instid0(VALU_DEP_2) | instskip(NEXT) | instid1(VALU_DEP_1)
	v_dual_fma_f32 v8, v4, v10, -v8 :: v_dual_mul_f32 v4, v4, v11
	v_fmac_f32_e32 v4, v5, v10
	s_delay_alu instid0(VALU_DEP_1) | instskip(NEXT) | instid1(VALU_DEP_3)
	v_add_f32_e32 v4, v62, v4
	v_add_f32_e32 v5, v60, v8
	ds_load_2addr_b64 v[8:11], v65 offset0:224 offset1:240
	s_wait_dscnt 0x0
	v_dual_mul_f32 v51, v3, v9 :: v_dual_mul_f32 v58, v2, v9
	s_delay_alu instid0(VALU_DEP_1) | instskip(NEXT) | instid1(VALU_DEP_1)
	v_dual_fma_f32 v51, v2, v8, -v51 :: v_dual_fmac_f32 v58, v3, v8
	v_dual_add_f32 v12, v12, v51 :: v_dual_add_f32 v13, v13, v58
	v_mul_f32_e32 v51, v3, v11
	s_delay_alu instid0(VALU_DEP_1) | instskip(NEXT) | instid1(VALU_DEP_1)
	v_dual_fma_f32 v51, v2, v10, -v51 :: v_dual_mul_f32 v2, v2, v11
	v_dual_fmac_f32 v2, v3, v10 :: v_dual_add_f32 v51, v1, v51
	s_delay_alu instid0(VALU_DEP_1) | instskip(NEXT) | instid1(VALU_DEP_1)
	v_dual_mul_f32 v1, v6, v9 :: v_dual_add_f32 v58, v0, v2
	v_dual_mul_f32 v0, v7, v9 :: v_dual_fmac_f32 v1, v7, v8
	s_delay_alu instid0(VALU_DEP_1) | instskip(SKIP_1) | instid1(VALU_DEP_2)
	v_dual_fma_f32 v0, v6, v8, -v0 :: v_dual_add_f32 v15, v15, v1
	v_mul_f32_e32 v1, v6, v11
	v_dual_add_f32 v14, v14, v0 :: v_dual_mul_f32 v0, v7, v11
	s_delay_alu instid0(VALU_DEP_1) | instskip(NEXT) | instid1(VALU_DEP_1)
	v_dual_fmac_f32 v1, v7, v10 :: v_dual_fma_f32 v0, v6, v10, -v0
	v_dual_add_f32 v62, v4, v1 :: v_dual_add_f32 v60, v5, v0
	ds_load_b128 v[0:3], v59 offset:192
	ds_load_2addr_b64 v[4:7], v67 offset1:16
	s_wait_dscnt 0x0
	v_dual_mul_f32 v8, v1, v5 :: v_dual_mul_f32 v9, v0, v5
	s_delay_alu instid0(VALU_DEP_1) | instskip(NEXT) | instid1(VALU_DEP_1)
	v_dual_fma_f32 v8, v0, v4, -v8 :: v_dual_fmac_f32 v9, v1, v4
	v_dual_add_f32 v12, v12, v8 :: v_dual_add_f32 v13, v13, v9
	v_mul_f32_e32 v8, v1, v7
	s_delay_alu instid0(VALU_DEP_1) | instskip(NEXT) | instid1(VALU_DEP_1)
	v_dual_fma_f32 v8, v0, v6, -v8 :: v_dual_mul_f32 v0, v0, v7
	v_fmac_f32_e32 v0, v1, v6
	s_delay_alu instid0(VALU_DEP_1) | instskip(NEXT) | instid1(VALU_DEP_3)
	v_add_f32_e32 v0, v58, v0
	v_add_f32_e32 v1, v51, v8
	ds_load_b128 v[8:11], v59 offset:4288
	s_wait_dscnt 0x0
	v_dual_mul_f32 v51, v9, v5 :: v_dual_mul_f32 v5, v8, v5
	s_delay_alu instid0(VALU_DEP_1) | instskip(SKIP_1) | instid1(VALU_DEP_2)
	v_dual_fma_f32 v51, v8, v4, -v51 :: v_dual_fmac_f32 v5, v9, v4
	v_mul_f32_e32 v4, v9, v7
	v_dual_add_f32 v14, v14, v51 :: v_dual_add_f32 v15, v15, v5
	s_delay_alu instid0(VALU_DEP_2) | instskip(NEXT) | instid1(VALU_DEP_1)
	v_dual_mul_f32 v5, v8, v7 :: v_dual_fma_f32 v4, v8, v6, -v4
	v_dual_fmac_f32 v5, v9, v6 :: v_dual_add_f32 v8, v60, v4
	s_delay_alu instid0(VALU_DEP_1) | instskip(SKIP_3) | instid1(VALU_DEP_1)
	v_add_f32_e32 v9, v62, v5
	ds_load_2addr_b64 v[4:7], v67 offset0:32 offset1:48
	s_wait_dscnt 0x0
	v_dual_mul_f32 v51, v3, v5 :: v_dual_mul_f32 v58, v2, v5
	v_dual_fma_f32 v51, v2, v4, -v51 :: v_dual_fmac_f32 v58, v3, v4
	s_delay_alu instid0(VALU_DEP_1) | instskip(SKIP_1) | instid1(VALU_DEP_1)
	v_dual_add_f32 v12, v12, v51 :: v_dual_add_f32 v13, v13, v58
	v_mul_f32_e32 v51, v3, v7
	v_dual_fma_f32 v51, v2, v6, -v51 :: v_dual_mul_f32 v2, v2, v7
	s_delay_alu instid0(VALU_DEP_1) | instskip(NEXT) | instid1(VALU_DEP_1)
	v_dual_fmac_f32 v2, v3, v6 :: v_dual_add_f32 v51, v1, v51
	v_dual_mul_f32 v1, v10, v5 :: v_dual_add_f32 v58, v0, v2
	s_delay_alu instid0(VALU_DEP_1) | instskip(NEXT) | instid1(VALU_DEP_1)
	v_dual_mul_f32 v0, v11, v5 :: v_dual_fmac_f32 v1, v11, v4
	v_dual_fma_f32 v0, v10, v4, -v0 :: v_dual_add_f32 v15, v15, v1
	v_mul_f32_e32 v1, v10, v7
	s_delay_alu instid0(VALU_DEP_2) | instskip(NEXT) | instid1(VALU_DEP_1)
	v_dual_add_f32 v14, v14, v0 :: v_dual_mul_f32 v0, v11, v7
	v_dual_fmac_f32 v1, v11, v6 :: v_dual_fma_f32 v0, v10, v6, -v0
	s_delay_alu instid0(VALU_DEP_1) | instskip(SKIP_4) | instid1(VALU_DEP_1)
	v_dual_add_f32 v62, v9, v1 :: v_dual_add_f32 v60, v8, v0
	ds_load_b128 v[0:3], v59 offset:208
	ds_load_2addr_b64 v[8:11], v67 offset0:64 offset1:80
	s_wait_dscnt 0x0
	v_dual_mul_f32 v4, v1, v9 :: v_dual_mul_f32 v5, v0, v9
	v_dual_fma_f32 v4, v0, v8, -v4 :: v_dual_fmac_f32 v5, v1, v8
	s_delay_alu instid0(VALU_DEP_1) | instskip(SKIP_1) | instid1(VALU_DEP_1)
	v_dual_add_f32 v12, v12, v4 :: v_dual_add_f32 v13, v13, v5
	v_mul_f32_e32 v4, v1, v11
	v_dual_fma_f32 v4, v0, v10, -v4 :: v_dual_mul_f32 v0, v0, v11
	s_delay_alu instid0(VALU_DEP_1) | instskip(NEXT) | instid1(VALU_DEP_1)
	v_fmac_f32_e32 v0, v1, v10
	v_add_f32_e32 v0, v58, v0
	s_delay_alu instid0(VALU_DEP_3) | instskip(SKIP_3) | instid1(VALU_DEP_1)
	v_add_f32_e32 v1, v51, v4
	ds_load_b128 v[4:7], v59 offset:4304
	s_wait_dscnt 0x0
	v_dual_mul_f32 v51, v5, v9 :: v_dual_mul_f32 v9, v4, v9
	v_dual_fma_f32 v51, v4, v8, -v51 :: v_dual_fmac_f32 v9, v5, v8
	v_mul_f32_e32 v8, v5, v11
	s_delay_alu instid0(VALU_DEP_2) | instskip(NEXT) | instid1(VALU_DEP_2)
	v_dual_add_f32 v14, v14, v51 :: v_dual_add_f32 v15, v15, v9
	v_dual_fma_f32 v8, v4, v10, -v8 :: v_dual_mul_f32 v4, v4, v11
	s_delay_alu instid0(VALU_DEP_1) | instskip(NEXT) | instid1(VALU_DEP_1)
	v_fmac_f32_e32 v4, v5, v10
	v_add_f32_e32 v4, v62, v4
	s_delay_alu instid0(VALU_DEP_3) | instskip(SKIP_3) | instid1(VALU_DEP_1)
	v_add_f32_e32 v5, v60, v8
	ds_load_2addr_b64 v[8:11], v67 offset0:96 offset1:112
	s_wait_dscnt 0x0
	v_dual_mul_f32 v51, v3, v9 :: v_dual_mul_f32 v58, v2, v9
	v_dual_fma_f32 v51, v2, v8, -v51 :: v_dual_fmac_f32 v58, v3, v8
	s_delay_alu instid0(VALU_DEP_1) | instskip(SKIP_1) | instid1(VALU_DEP_1)
	v_dual_add_f32 v12, v12, v51 :: v_dual_add_f32 v13, v13, v58
	v_mul_f32_e32 v51, v3, v11
	v_dual_fma_f32 v51, v2, v10, -v51 :: v_dual_mul_f32 v2, v2, v11
	s_delay_alu instid0(VALU_DEP_1) | instskip(NEXT) | instid1(VALU_DEP_1)
	v_dual_fmac_f32 v2, v3, v10 :: v_dual_add_f32 v51, v1, v51
	v_dual_mul_f32 v1, v6, v9 :: v_dual_add_f32 v58, v0, v2
	s_delay_alu instid0(VALU_DEP_1) | instskip(NEXT) | instid1(VALU_DEP_1)
	v_dual_mul_f32 v0, v7, v9 :: v_dual_fmac_f32 v1, v7, v8
	v_dual_fma_f32 v0, v6, v8, -v0 :: v_dual_add_f32 v15, v15, v1
	v_mul_f32_e32 v1, v6, v11
	s_delay_alu instid0(VALU_DEP_2) | instskip(NEXT) | instid1(VALU_DEP_1)
	v_dual_add_f32 v14, v14, v0 :: v_dual_mul_f32 v0, v7, v11
	v_dual_fmac_f32 v1, v7, v10 :: v_dual_fma_f32 v0, v6, v10, -v0
	s_delay_alu instid0(VALU_DEP_1) | instskip(SKIP_4) | instid1(VALU_DEP_1)
	v_dual_add_f32 v62, v4, v1 :: v_dual_add_f32 v60, v5, v0
	ds_load_b128 v[0:3], v59 offset:224
	ds_load_2addr_b64 v[4:7], v67 offset0:128 offset1:144
	s_wait_dscnt 0x0
	v_dual_mul_f32 v8, v1, v5 :: v_dual_mul_f32 v9, v0, v5
	v_dual_fma_f32 v8, v0, v4, -v8 :: v_dual_fmac_f32 v9, v1, v4
	s_delay_alu instid0(VALU_DEP_1) | instskip(SKIP_1) | instid1(VALU_DEP_1)
	v_dual_add_f32 v12, v12, v8 :: v_dual_add_f32 v13, v13, v9
	v_mul_f32_e32 v8, v1, v7
	v_dual_fma_f32 v8, v0, v6, -v8 :: v_dual_mul_f32 v0, v0, v7
	s_delay_alu instid0(VALU_DEP_1) | instskip(NEXT) | instid1(VALU_DEP_1)
	v_fmac_f32_e32 v0, v1, v6
	v_add_f32_e32 v0, v58, v0
	s_delay_alu instid0(VALU_DEP_3) | instskip(SKIP_3) | instid1(VALU_DEP_1)
	v_add_f32_e32 v1, v51, v8
	ds_load_b128 v[8:11], v59 offset:4320
	s_wait_dscnt 0x0
	v_dual_mul_f32 v51, v9, v5 :: v_dual_mul_f32 v5, v8, v5
	v_dual_fma_f32 v51, v8, v4, -v51 :: v_dual_fmac_f32 v5, v9, v4
	v_mul_f32_e32 v4, v9, v7
	s_delay_alu instid0(VALU_DEP_2) | instskip(NEXT) | instid1(VALU_DEP_2)
	v_dual_add_f32 v14, v14, v51 :: v_dual_add_f32 v15, v15, v5
	v_dual_mul_f32 v5, v8, v7 :: v_dual_fma_f32 v4, v8, v6, -v4
	s_delay_alu instid0(VALU_DEP_1) | instskip(NEXT) | instid1(VALU_DEP_1)
	v_dual_fmac_f32 v5, v9, v6 :: v_dual_add_f32 v8, v60, v4
	v_add_f32_e32 v9, v62, v5
	ds_load_2addr_b64 v[4:7], v67 offset0:160 offset1:176
	s_wait_dscnt 0x0
	v_dual_mul_f32 v51, v3, v5 :: v_dual_mul_f32 v58, v2, v5
	s_delay_alu instid0(VALU_DEP_1) | instskip(NEXT) | instid1(VALU_DEP_1)
	v_dual_fma_f32 v51, v2, v4, -v51 :: v_dual_fmac_f32 v58, v3, v4
	v_dual_add_f32 v12, v12, v51 :: v_dual_add_f32 v13, v13, v58
	v_mul_f32_e32 v51, v3, v7
	s_delay_alu instid0(VALU_DEP_1) | instskip(NEXT) | instid1(VALU_DEP_1)
	v_dual_fma_f32 v51, v2, v6, -v51 :: v_dual_mul_f32 v2, v2, v7
	v_dual_fmac_f32 v2, v3, v6 :: v_dual_add_f32 v51, v1, v51
	s_delay_alu instid0(VALU_DEP_1) | instskip(NEXT) | instid1(VALU_DEP_1)
	v_dual_mul_f32 v1, v10, v5 :: v_dual_add_f32 v58, v0, v2
	v_dual_mul_f32 v0, v11, v5 :: v_dual_fmac_f32 v1, v11, v4
	s_delay_alu instid0(VALU_DEP_1) | instskip(SKIP_1) | instid1(VALU_DEP_2)
	v_dual_fma_f32 v0, v10, v4, -v0 :: v_dual_add_f32 v15, v15, v1
	v_mul_f32_e32 v1, v10, v7
	v_dual_add_f32 v14, v14, v0 :: v_dual_mul_f32 v0, v11, v7
	s_delay_alu instid0(VALU_DEP_1) | instskip(NEXT) | instid1(VALU_DEP_1)
	v_dual_fmac_f32 v1, v11, v6 :: v_dual_fma_f32 v0, v10, v6, -v0
	v_dual_add_f32 v62, v9, v1 :: v_dual_add_f32 v60, v8, v0
	ds_load_b128 v[0:3], v59 offset:240
	ds_load_2addr_b64 v[8:11], v67 offset0:192 offset1:208
	s_wait_dscnt 0x0
	v_dual_mul_f32 v4, v1, v9 :: v_dual_mul_f32 v5, v0, v9
	s_delay_alu instid0(VALU_DEP_1) | instskip(NEXT) | instid1(VALU_DEP_1)
	v_dual_fma_f32 v4, v0, v8, -v4 :: v_dual_fmac_f32 v5, v1, v8
	v_dual_add_f32 v12, v12, v4 :: v_dual_add_f32 v13, v13, v5
	v_dual_mul_f32 v4, v1, v11 :: v_dual_mul_f32 v5, v0, v11
	s_delay_alu instid0(VALU_DEP_1) | instskip(NEXT) | instid1(VALU_DEP_1)
	v_dual_fma_f32 v4, v0, v10, -v4 :: v_dual_fmac_f32 v5, v1, v10
	v_dual_add_f32 v0, v51, v4 :: v_dual_add_f32 v1, v58, v5
	ds_load_b128 v[4:7], v59 offset:4336
	s_wait_dscnt 0x0
	v_dual_mul_f32 v51, v5, v9 :: v_dual_mul_f32 v9, v4, v9
	s_delay_alu instid0(VALU_DEP_1) | instskip(SKIP_1) | instid1(VALU_DEP_2)
	v_dual_fma_f32 v51, v4, v8, -v51 :: v_dual_fmac_f32 v9, v5, v8
	v_mul_f32_e32 v8, v5, v11
	v_dual_add_f32 v14, v14, v51 :: v_dual_add_f32 v15, v15, v9
	s_delay_alu instid0(VALU_DEP_2) | instskip(NEXT) | instid1(VALU_DEP_1)
	v_dual_fma_f32 v8, v4, v10, -v8 :: v_dual_mul_f32 v4, v4, v11
	v_fmac_f32_e32 v4, v5, v10
	s_delay_alu instid0(VALU_DEP_1) | instskip(NEXT) | instid1(VALU_DEP_3)
	v_add_f32_e32 v4, v62, v4
	v_add_f32_e32 v5, v60, v8
	ds_load_2addr_b64 v[8:11], v67 offset0:224 offset1:240
	s_wait_dscnt 0x0
	s_barrier_signal -1
	s_barrier_wait -1
	v_dual_mul_f32 v51, v3, v9 :: v_dual_mul_f32 v58, v2, v9
	s_delay_alu instid0(VALU_DEP_1) | instskip(NEXT) | instid1(VALU_DEP_1)
	v_dual_fma_f32 v51, v2, v8, -v51 :: v_dual_fmac_f32 v58, v3, v8
	v_dual_add_f32 v66, v12, v51 :: v_dual_add_f32 v68, v13, v58
	v_mul_f32_e32 v12, v3, v11
	s_delay_alu instid0(VALU_DEP_1) | instskip(NEXT) | instid1(VALU_DEP_1)
	v_dual_fma_f32 v12, v2, v10, -v12 :: v_dual_mul_f32 v2, v2, v11
	v_dual_fmac_f32 v2, v3, v10 :: v_dual_add_f32 v62, v0, v12
	s_delay_alu instid0(VALU_DEP_1) | instskip(NEXT) | instid1(VALU_DEP_1)
	v_dual_mul_f32 v0, v7, v9 :: v_dual_add_f32 v64, v1, v2
	v_dual_mul_f32 v1, v6, v9 :: v_dual_fma_f32 v0, v6, v8, -v0
	s_delay_alu instid0(VALU_DEP_1) | instskip(NEXT) | instid1(VALU_DEP_2)
	v_fmac_f32_e32 v1, v7, v8
	v_dual_add_f32 v58, v14, v0 :: v_dual_mul_f32 v0, v7, v11
	s_delay_alu instid0(VALU_DEP_2) | instskip(NEXT) | instid1(VALU_DEP_1)
	v_dual_add_f32 v60, v15, v1 :: v_dual_mul_f32 v1, v6, v11
	v_dual_fma_f32 v0, v6, v10, -v0 :: v_dual_fmac_f32 v1, v7, v10
	s_delay_alu instid0(VALU_DEP_1)
	v_dual_add_f32 v14, v5, v0 :: v_dual_add_f32 v12, v4, v1
	s_cbranch_scc1 .LBB82_55
.LBB82_11:                              ;   Parent Loop BB82_4 Depth=1
                                        ;     Parent Loop BB82_8 Depth=2
                                        ; =>    This Inner Loop Header: Depth=3
	v_add_nc_u64_e32 v[4:5], s[46:47], v[20:21]
	v_cmp_eq_u64_e64 s7, s[46:47], v[34:35]
	v_add_nc_u64_e32 v[0:1], s[38:39], v[46:47]
	s_delay_alu instid0(VALU_DEP_3) | instskip(SKIP_3) | instid1(SALU_CYCLE_1)
	v_cmp_le_i64_e64 s6, s[42:43], v[4:5]
	v_cmp_gt_i64_e64 s5, v[4:5], v[18:19]
	s_and_b32 s56, s52, s7
	s_or_b32 s7, s6, s5
	s_or_b32 s7, s7, s56
	s_delay_alu instid0(SALU_CYCLE_1) | instskip(NEXT) | instid1(SALU_CYCLE_1)
	s_nor_b32 s7, s0, s7
	s_and_saveexec_b32 s8, s7
	s_delay_alu instid0(SALU_CYCLE_1)
	s_xor_b32 s7, exec_lo, s8
	s_cbranch_execz .LBB82_13
; %bb.12:                               ;   in Loop: Header=BB82_11 Depth=3
	global_load_b64 v[2:3], v[0:1], off
	s_wait_loadcnt 0x0
	v_xor_b32_e32 v3, 0x80000000, v3
	ds_store_b64 v61, v[2:3]
.LBB82_13:                              ;   in Loop: Header=BB82_11 Depth=3
	s_wait_xcnt 0x0
	s_or_saveexec_b32 s7, s7
	s_xor_b32 s55, s56, -1
	s_xor_b32 exec_lo, exec_lo, s7
	s_cbranch_execz .LBB82_19
; %bb.14:                               ;   in Loop: Header=BB82_11 Depth=3
	s_and_saveexec_b32 s8, s55
	s_delay_alu instid0(SALU_CYCLE_1)
	s_xor_b32 s8, exec_lo, s8
; %bb.15:                               ;   in Loop: Header=BB82_11 Depth=3
	ds_store_b64 v61, v[22:23]
; %bb.16:                               ;   in Loop: Header=BB82_11 Depth=3
	s_and_not1_saveexec_b32 s8, s8
; %bb.17:                               ;   in Loop: Header=BB82_11 Depth=3
	ds_store_b64 v61, v[24:25]
; %bb.18:                               ;   in Loop: Header=BB82_11 Depth=3
	s_or_b32 exec_lo, exec_lo, s8
.LBB82_19:                              ;   in Loop: Header=BB82_11 Depth=3
	s_delay_alu instid0(SALU_CYCLE_1) | instskip(SKIP_2) | instid1(VALU_DEP_2)
	s_or_b32 exec_lo, exec_lo, s7
	v_add_nc_u64_e32 v[2:3], 16, v[34:35]
	v_cmp_lt_i64_e64 s8, v[30:31], v[4:5]
	v_cmp_eq_u64_e64 s7, s[46:47], v[2:3]
	v_add_nc_u64_e32 v[2:3], s[38:39], v[44:45]
	s_or_b32 s6, s6, s8
	s_and_b32 s7, s52, s7
	s_delay_alu instid0(SALU_CYCLE_1) | instskip(NEXT) | instid1(SALU_CYCLE_1)
	s_or_b32 s6, s6, s7
	s_nor_b32 s6, s3, s6
	s_delay_alu instid0(SALU_CYCLE_1) | instskip(NEXT) | instid1(SALU_CYCLE_1)
	s_and_saveexec_b32 s8, s6
	s_xor_b32 s6, exec_lo, s8
	s_cbranch_execz .LBB82_21
; %bb.20:                               ;   in Loop: Header=BB82_11 Depth=3
	global_load_b64 v[6:7], v[2:3], off
	s_wait_loadcnt 0x0
	v_xor_b32_e32 v7, 0x80000000, v7
	ds_store_b64 v61, v[6:7] offset:128
.LBB82_21:                              ;   in Loop: Header=BB82_11 Depth=3
	s_wait_xcnt 0x0
	s_and_not1_saveexec_b32 s6, s6
	s_cbranch_execz .LBB82_27
; %bb.22:                               ;   in Loop: Header=BB82_11 Depth=3
	s_xor_b32 s7, s7, -1
	s_delay_alu instid0(SALU_CYCLE_1) | instskip(NEXT) | instid1(SALU_CYCLE_1)
	s_and_saveexec_b32 s8, s7
	s_xor_b32 s7, exec_lo, s8
; %bb.23:                               ;   in Loop: Header=BB82_11 Depth=3
	ds_store_b64 v61, v[22:23] offset:128
; %bb.24:                               ;   in Loop: Header=BB82_11 Depth=3
	s_and_not1_saveexec_b32 s7, s7
; %bb.25:                               ;   in Loop: Header=BB82_11 Depth=3
	ds_store_b64 v61, v[24:25] offset:128
; %bb.26:                               ;   in Loop: Header=BB82_11 Depth=3
	s_or_b32 exec_lo, exec_lo, s7
.LBB82_27:                              ;   in Loop: Header=BB82_11 Depth=3
	s_delay_alu instid0(SALU_CYCLE_1) | instskip(SKIP_2) | instid1(VALU_DEP_2)
	s_or_b32 exec_lo, exec_lo, s6
	v_add_nc_u64_e32 v[4:5], 16, v[4:5]
	v_add_nc_u64_e32 v[6:7], -16, v[34:35]
	v_cmp_le_i64_e64 s6, s[42:43], v[4:5]
	s_delay_alu instid0(VALU_DEP_2) | instskip(SKIP_3) | instid1(SALU_CYCLE_1)
	v_cmp_eq_u64_e64 s7, s[46:47], v[6:7]
	v_cmp_gt_i64_e64 s8, v[4:5], v[18:19]
	s_and_b32 s57, s52, s7
	s_or_b32 s7, s6, s8
	s_or_b32 s7, s7, s57
	s_delay_alu instid0(SALU_CYCLE_1) | instskip(NEXT) | instid1(SALU_CYCLE_1)
	s_nor_b32 s7, s0, s7
	s_and_saveexec_b32 s8, s7
	s_delay_alu instid0(SALU_CYCLE_1)
	s_xor_b32 s7, exec_lo, s8
	s_cbranch_execz .LBB82_29
; %bb.28:                               ;   in Loop: Header=BB82_11 Depth=3
	global_load_b64 v[0:1], v[0:1], off offset:128
	s_wait_loadcnt 0x0
	s_wait_xcnt 0x0
	v_xor_b32_e32 v1, 0x80000000, v1
	ds_store_b64 v61, v[0:1] offset:4096
.LBB82_29:                              ;   in Loop: Header=BB82_11 Depth=3
	s_and_not1_saveexec_b32 s7, s7
	s_cbranch_execz .LBB82_35
; %bb.30:                               ;   in Loop: Header=BB82_11 Depth=3
	s_xor_b32 s8, s57, -1
	s_delay_alu instid0(SALU_CYCLE_1) | instskip(NEXT) | instid1(SALU_CYCLE_1)
	s_and_saveexec_b32 s57, s8
	s_xor_b32 s8, exec_lo, s57
; %bb.31:                               ;   in Loop: Header=BB82_11 Depth=3
	ds_store_b64 v61, v[22:23] offset:4096
; %bb.32:                               ;   in Loop: Header=BB82_11 Depth=3
	s_and_not1_saveexec_b32 s8, s8
; %bb.33:                               ;   in Loop: Header=BB82_11 Depth=3
	ds_store_b64 v61, v[24:25] offset:4096
; %bb.34:                               ;   in Loop: Header=BB82_11 Depth=3
	s_or_b32 exec_lo, exec_lo, s8
.LBB82_35:                              ;   in Loop: Header=BB82_11 Depth=3
	s_delay_alu instid0(SALU_CYCLE_1) | instskip(SKIP_1) | instid1(SALU_CYCLE_1)
	s_or_b32 exec_lo, exec_lo, s7
	s_or_b32 s5, s6, s5
	s_or_b32 s5, s5, s56
	s_delay_alu instid0(SALU_CYCLE_1) | instskip(NEXT) | instid1(SALU_CYCLE_1)
	s_nor_b32 s5, s3, s5
	s_and_saveexec_b32 s6, s5
	s_delay_alu instid0(SALU_CYCLE_1)
	s_xor_b32 s5, exec_lo, s6
	s_cbranch_execz .LBB82_37
; %bb.36:                               ;   in Loop: Header=BB82_11 Depth=3
	global_load_b64 v[0:1], v[2:3], off offset:128
	s_wait_loadcnt 0x0
	v_xor_b32_e32 v1, 0x80000000, v1
	ds_store_b64 v61, v[0:1] offset:4224
.LBB82_37:                              ;   in Loop: Header=BB82_11 Depth=3
	s_wait_xcnt 0x0
	s_and_not1_saveexec_b32 s5, s5
	s_cbranch_execz .LBB82_43
; %bb.38:                               ;   in Loop: Header=BB82_11 Depth=3
	s_and_saveexec_b32 s6, s55
	s_delay_alu instid0(SALU_CYCLE_1)
	s_xor_b32 s6, exec_lo, s6
; %bb.39:                               ;   in Loop: Header=BB82_11 Depth=3
	ds_store_b64 v61, v[22:23] offset:4224
; %bb.40:                               ;   in Loop: Header=BB82_11 Depth=3
	s_and_not1_saveexec_b32 s6, s6
; %bb.41:                               ;   in Loop: Header=BB82_11 Depth=3
	ds_store_b64 v61, v[24:25] offset:4224
; %bb.42:                               ;   in Loop: Header=BB82_11 Depth=3
	s_or_b32 exec_lo, exec_lo, s6
.LBB82_43:                              ;   in Loop: Header=BB82_11 Depth=3
	s_delay_alu instid0(SALU_CYCLE_1) | instskip(SKIP_3) | instid1(VALU_DEP_3)
	s_or_b32 exec_lo, exec_lo, s5
	v_add_nc_u64_e32 v[2:3], s[46:47], v[16:17]
	v_add_nc_u64_e32 v[0:1], s[38:39], v[54:55]
	v_dual_mov_b32 v4, 0 :: v_dual_mov_b32 v5, 0
	v_cmp_gt_i64_e64 s5, s[42:43], v[2:3]
	s_and_b32 s7, vcc_lo, s5
	s_delay_alu instid0(SALU_CYCLE_1)
	s_and_saveexec_b32 s6, s7
	s_cbranch_execz .LBB82_45
; %bb.44:                               ;   in Loop: Header=BB82_11 Depth=3
	global_load_b64 v[4:5], v[0:1], off
.LBB82_45:                              ;   in Loop: Header=BB82_11 Depth=3
	s_wait_xcnt 0x0
	s_or_b32 exec_lo, exec_lo, s6
	v_cmp_gt_i64_e64 s6, s[20:21], v[2:3]
	s_wait_loadcnt 0x0
	ds_store_b64 v63, v[4:5]
	s_and_b32 s7, vcc_lo, s6
	s_delay_alu instid0(SALU_CYCLE_1) | instskip(NEXT) | instid1(SALU_CYCLE_1)
	s_xor_b32 s7, s7, -1
	s_and_saveexec_b32 s8, s7
	s_delay_alu instid0(SALU_CYCLE_1)
	s_xor_b32 s7, exec_lo, s8
; %bb.46:                               ;   in Loop: Header=BB82_11 Depth=3
	ds_store_b64 v63, v[22:23] offset:128
                                        ; implicit-def: $vgpr0_vgpr1
; %bb.47:                               ;   in Loop: Header=BB82_11 Depth=3
	s_and_not1_saveexec_b32 s7, s7
	s_cbranch_execz .LBB82_49
; %bb.48:                               ;   in Loop: Header=BB82_11 Depth=3
	global_load_b64 v[0:1], v[0:1], off offset:128
	s_wait_loadcnt 0x0
	ds_store_b64 v63, v[0:1] offset:128
.LBB82_49:                              ;   in Loop: Header=BB82_11 Depth=3
	s_wait_xcnt 0x0
	s_or_b32 exec_lo, exec_lo, s7
	v_add_nc_u64_e32 v[0:1], s[38:39], v[56:57]
	v_dual_mov_b32 v2, 0 :: v_dual_mov_b32 v3, 0
	s_and_b32 s7, s4, s5
	s_delay_alu instid0(SALU_CYCLE_1)
	s_and_saveexec_b32 s5, s7
	s_cbranch_execz .LBB82_51
; %bb.50:                               ;   in Loop: Header=BB82_11 Depth=3
	global_load_b64 v[2:3], v[0:1], off
.LBB82_51:                              ;   in Loop: Header=BB82_11 Depth=3
	s_wait_xcnt 0x0
	s_or_b32 exec_lo, exec_lo, s5
	s_and_b32 s5, s4, s6
	s_wait_loadcnt 0x0
	ds_store_b64 v63, v[2:3] offset:4096
	s_xor_b32 s5, s5, -1
	s_delay_alu instid0(SALU_CYCLE_1) | instskip(NEXT) | instid1(SALU_CYCLE_1)
	s_and_saveexec_b32 s6, s5
	s_xor_b32 s5, exec_lo, s6
; %bb.52:                               ;   in Loop: Header=BB82_11 Depth=3
	ds_store_b64 v63, v[22:23] offset:4224
                                        ; implicit-def: $vgpr0_vgpr1
; %bb.53:                               ;   in Loop: Header=BB82_11 Depth=3
	s_and_not1_saveexec_b32 s5, s5
	s_cbranch_execz .LBB82_10
; %bb.54:                               ;   in Loop: Header=BB82_11 Depth=3
	global_load_b64 v[0:1], v[0:1], off offset:128
	s_wait_loadcnt 0x0
	ds_store_b64 v63, v[0:1] offset:4224
	s_branch .LBB82_10
.LBB82_55:                              ;   in Loop: Header=BB82_8 Depth=2
	v_mul_u64_e32 v[0:1], s[28:29], v[52:53]
	v_cmp_gt_i32_e32 vcc_lo, s10, v52
	s_and_b32 s5, s1, vcc_lo
	s_delay_alu instid0(VALU_DEP_2)
	v_lshl_add_u64 v[0:1], v[0:1], 3, s[26:27]
	s_and_saveexec_b32 s4, s5
	s_cbranch_execz .LBB82_57
; %bb.56:                               ;   in Loop: Header=BB82_8 Depth=2
	s_delay_alu instid0(VALU_DEP_1) | instskip(SKIP_4) | instid1(VALU_DEP_2)
	v_lshl_add_u64 v[2:3], v[18:19], 3, v[0:1]
	v_pk_mul_f32 v[6:7], v[68:69], v[48:49] op_sel_hi:[0,1]
	global_load_b64 v[4:5], v[2:3], off
	v_pk_fma_f32 v[8:9], v[66:67], v[40:41], v[6:7] op_sel_hi:[0,1,1]
	v_pk_fma_f32 v[6:7], v[66:67], v[40:41], v[6:7] neg_lo:[0,0,1] neg_hi:[0,0,1]
	v_mov_b32_e32 v7, v9
	s_wait_loadcnt 0x0
	s_delay_alu instid0(VALU_DEP_1)
	v_pk_add_f32 v[4:5], v[4:5], v[6:7]
	global_store_b64 v[2:3], v[4:5], off
.LBB82_57:                              ;   in Loop: Header=BB82_8 Depth=2
	s_wait_xcnt 0x0
	s_or_b32 exec_lo, exec_lo, s4
	s_and_b32 s5, s2, vcc_lo
	s_delay_alu instid0(SALU_CYCLE_1)
	s_and_saveexec_b32 s4, s5
	s_cbranch_execz .LBB82_59
; %bb.58:                               ;   in Loop: Header=BB82_8 Depth=2
	v_lshl_add_u64 v[0:1], v[28:29], 3, v[0:1]
	v_pk_mul_f32 v[4:5], v[64:65], v[48:49] op_sel_hi:[0,1]
	global_load_b64 v[2:3], v[0:1], off
	v_pk_fma_f32 v[6:7], v[62:63], v[40:41], v[4:5] op_sel_hi:[0,1,1]
	v_pk_fma_f32 v[4:5], v[62:63], v[40:41], v[4:5] neg_lo:[0,0,1] neg_hi:[0,0,1]
	s_delay_alu instid0(VALU_DEP_2) | instskip(SKIP_1) | instid1(VALU_DEP_1)
	v_mov_b32_e32 v5, v7
	s_wait_loadcnt 0x0
	v_pk_add_f32 v[2:3], v[2:3], v[4:5]
	global_store_b64 v[0:1], v[2:3], off
.LBB82_59:                              ;   in Loop: Header=BB82_8 Depth=2
	s_wait_xcnt 0x0
	s_or_b32 exec_lo, exec_lo, s4
	v_add_nc_u32_e32 v0, 16, v52
	s_delay_alu instid0(VALU_DEP_1) | instskip(SKIP_1) | instid1(VALU_DEP_2)
	v_ashrrev_i32_e32 v1, 31, v0
	v_cmp_gt_i32_e32 vcc_lo, s10, v0
	v_mul_u64_e32 v[2:3], s[28:29], v[0:1]
	s_and_b32 s5, s1, vcc_lo
	s_delay_alu instid0(VALU_DEP_1)
	v_lshl_add_u64 v[0:1], v[2:3], 3, s[26:27]
	s_and_saveexec_b32 s4, s5
	s_cbranch_execz .LBB82_61
; %bb.60:                               ;   in Loop: Header=BB82_8 Depth=2
	s_delay_alu instid0(VALU_DEP_1) | instskip(SKIP_4) | instid1(VALU_DEP_2)
	v_lshl_add_u64 v[2:3], v[18:19], 3, v[0:1]
	v_pk_mul_f32 v[6:7], v[60:61], v[48:49] op_sel_hi:[0,1]
	global_load_b64 v[4:5], v[2:3], off
	v_pk_fma_f32 v[8:9], v[58:59], v[40:41], v[6:7] op_sel_hi:[0,1,1]
	v_pk_fma_f32 v[6:7], v[58:59], v[40:41], v[6:7] neg_lo:[0,0,1] neg_hi:[0,0,1]
	v_mov_b32_e32 v7, v9
	s_wait_loadcnt 0x0
	s_delay_alu instid0(VALU_DEP_1)
	v_pk_add_f32 v[4:5], v[4:5], v[6:7]
	global_store_b64 v[2:3], v[4:5], off
.LBB82_61:                              ;   in Loop: Header=BB82_8 Depth=2
	s_wait_xcnt 0x0
	s_or_b32 exec_lo, exec_lo, s4
	s_and_b32 s5, s2, vcc_lo
	s_delay_alu instid0(SALU_CYCLE_1)
	s_and_saveexec_b32 s4, s5
	s_cbranch_execz .LBB82_7
; %bb.62:                               ;   in Loop: Header=BB82_8 Depth=2
	v_lshl_add_u64 v[0:1], v[28:29], 3, v[0:1]
	v_pk_mul_f32 v[4:5], v[12:13], v[48:49] op_sel_hi:[0,1]
	global_load_b64 v[2:3], v[0:1], off
	v_pk_fma_f32 v[6:7], v[14:15], v[40:41], v[4:5] op_sel_hi:[0,1,1]
	v_pk_fma_f32 v[4:5], v[14:15], v[40:41], v[4:5] neg_lo:[0,0,1] neg_hi:[0,0,1]
	s_delay_alu instid0(VALU_DEP_2) | instskip(SKIP_1) | instid1(VALU_DEP_1)
	v_mov_b32_e32 v5, v7
	s_wait_loadcnt 0x0
	v_pk_add_f32 v[2:3], v[2:3], v[4:5]
	global_store_b64 v[0:1], v[2:3], off
	s_branch .LBB82_7
.LBB82_63:
	s_sendmsg sendmsg(MSG_DEALLOC_VGPRS)
	s_endpgm
	.section	.rodata,"a",@progbits
	.p2align	6, 0x0
	.amdhsa_kernel _ZL30rocblas_trmm_outofplace_kernelI19rocblas_complex_numIfELi32ELi2ELb1ELb1ELb1ELb1EPKS1_S2_S1_Ev17rocblas_diagonal_iiT6_lPT7_lllS7_lllPT8_llli
		.amdhsa_group_segment_fixed_size 16384
		.amdhsa_private_segment_fixed_size 0
		.amdhsa_kernarg_size 392
		.amdhsa_user_sgpr_count 2
		.amdhsa_user_sgpr_dispatch_ptr 0
		.amdhsa_user_sgpr_queue_ptr 0
		.amdhsa_user_sgpr_kernarg_segment_ptr 1
		.amdhsa_user_sgpr_dispatch_id 0
		.amdhsa_user_sgpr_kernarg_preload_length 0
		.amdhsa_user_sgpr_kernarg_preload_offset 0
		.amdhsa_user_sgpr_private_segment_size 0
		.amdhsa_wavefront_size32 1
		.amdhsa_uses_dynamic_stack 0
		.amdhsa_enable_private_segment 0
		.amdhsa_system_sgpr_workgroup_id_x 1
		.amdhsa_system_sgpr_workgroup_id_y 1
		.amdhsa_system_sgpr_workgroup_id_z 1
		.amdhsa_system_sgpr_workgroup_info 0
		.amdhsa_system_vgpr_workitem_id 1
		.amdhsa_next_free_vgpr 78
		.amdhsa_next_free_sgpr 58
		.amdhsa_named_barrier_count 0
		.amdhsa_reserve_vcc 1
		.amdhsa_float_round_mode_32 0
		.amdhsa_float_round_mode_16_64 0
		.amdhsa_float_denorm_mode_32 3
		.amdhsa_float_denorm_mode_16_64 3
		.amdhsa_fp16_overflow 0
		.amdhsa_memory_ordered 1
		.amdhsa_forward_progress 1
		.amdhsa_inst_pref_size 60
		.amdhsa_round_robin_scheduling 0
		.amdhsa_exception_fp_ieee_invalid_op 0
		.amdhsa_exception_fp_denorm_src 0
		.amdhsa_exception_fp_ieee_div_zero 0
		.amdhsa_exception_fp_ieee_overflow 0
		.amdhsa_exception_fp_ieee_underflow 0
		.amdhsa_exception_fp_ieee_inexact 0
		.amdhsa_exception_int_div_zero 0
	.end_amdhsa_kernel
	.section	.text._ZL30rocblas_trmm_outofplace_kernelI19rocblas_complex_numIfELi32ELi2ELb1ELb1ELb1ELb1EPKS1_S2_S1_Ev17rocblas_diagonal_iiT6_lPT7_lllS7_lllPT8_llli,"axG",@progbits,_ZL30rocblas_trmm_outofplace_kernelI19rocblas_complex_numIfELi32ELi2ELb1ELb1ELb1ELb1EPKS1_S2_S1_Ev17rocblas_diagonal_iiT6_lPT7_lllS7_lllPT8_llli,comdat
.Lfunc_end82:
	.size	_ZL30rocblas_trmm_outofplace_kernelI19rocblas_complex_numIfELi32ELi2ELb1ELb1ELb1ELb1EPKS1_S2_S1_Ev17rocblas_diagonal_iiT6_lPT7_lllS7_lllPT8_llli, .Lfunc_end82-_ZL30rocblas_trmm_outofplace_kernelI19rocblas_complex_numIfELi32ELi2ELb1ELb1ELb1ELb1EPKS1_S2_S1_Ev17rocblas_diagonal_iiT6_lPT7_lllS7_lllPT8_llli
                                        ; -- End function
	.set _ZL30rocblas_trmm_outofplace_kernelI19rocblas_complex_numIfELi32ELi2ELb1ELb1ELb1ELb1EPKS1_S2_S1_Ev17rocblas_diagonal_iiT6_lPT7_lllS7_lllPT8_llli.num_vgpr, 78
	.set _ZL30rocblas_trmm_outofplace_kernelI19rocblas_complex_numIfELi32ELi2ELb1ELb1ELb1ELb1EPKS1_S2_S1_Ev17rocblas_diagonal_iiT6_lPT7_lllS7_lllPT8_llli.num_agpr, 0
	.set _ZL30rocblas_trmm_outofplace_kernelI19rocblas_complex_numIfELi32ELi2ELb1ELb1ELb1ELb1EPKS1_S2_S1_Ev17rocblas_diagonal_iiT6_lPT7_lllS7_lllPT8_llli.numbered_sgpr, 58
	.set _ZL30rocblas_trmm_outofplace_kernelI19rocblas_complex_numIfELi32ELi2ELb1ELb1ELb1ELb1EPKS1_S2_S1_Ev17rocblas_diagonal_iiT6_lPT7_lllS7_lllPT8_llli.num_named_barrier, 0
	.set _ZL30rocblas_trmm_outofplace_kernelI19rocblas_complex_numIfELi32ELi2ELb1ELb1ELb1ELb1EPKS1_S2_S1_Ev17rocblas_diagonal_iiT6_lPT7_lllS7_lllPT8_llli.private_seg_size, 0
	.set _ZL30rocblas_trmm_outofplace_kernelI19rocblas_complex_numIfELi32ELi2ELb1ELb1ELb1ELb1EPKS1_S2_S1_Ev17rocblas_diagonal_iiT6_lPT7_lllS7_lllPT8_llli.uses_vcc, 1
	.set _ZL30rocblas_trmm_outofplace_kernelI19rocblas_complex_numIfELi32ELi2ELb1ELb1ELb1ELb1EPKS1_S2_S1_Ev17rocblas_diagonal_iiT6_lPT7_lllS7_lllPT8_llli.uses_flat_scratch, 0
	.set _ZL30rocblas_trmm_outofplace_kernelI19rocblas_complex_numIfELi32ELi2ELb1ELb1ELb1ELb1EPKS1_S2_S1_Ev17rocblas_diagonal_iiT6_lPT7_lllS7_lllPT8_llli.has_dyn_sized_stack, 0
	.set _ZL30rocblas_trmm_outofplace_kernelI19rocblas_complex_numIfELi32ELi2ELb1ELb1ELb1ELb1EPKS1_S2_S1_Ev17rocblas_diagonal_iiT6_lPT7_lllS7_lllPT8_llli.has_recursion, 0
	.set _ZL30rocblas_trmm_outofplace_kernelI19rocblas_complex_numIfELi32ELi2ELb1ELb1ELb1ELb1EPKS1_S2_S1_Ev17rocblas_diagonal_iiT6_lPT7_lllS7_lllPT8_llli.has_indirect_call, 0
	.section	.AMDGPU.csdata,"",@progbits
; Kernel info:
; codeLenInByte = 7604
; TotalNumSgprs: 60
; NumVgprs: 78
; ScratchSize: 0
; MemoryBound: 0
; FloatMode: 240
; IeeeMode: 1
; LDSByteSize: 16384 bytes/workgroup (compile time only)
; SGPRBlocks: 0
; VGPRBlocks: 4
; NumSGPRsForWavesPerEU: 60
; NumVGPRsForWavesPerEU: 78
; NamedBarCnt: 0
; Occupancy: 12
; WaveLimiterHint : 0
; COMPUTE_PGM_RSRC2:SCRATCH_EN: 0
; COMPUTE_PGM_RSRC2:USER_SGPR: 2
; COMPUTE_PGM_RSRC2:TRAP_HANDLER: 0
; COMPUTE_PGM_RSRC2:TGID_X_EN: 1
; COMPUTE_PGM_RSRC2:TGID_Y_EN: 1
; COMPUTE_PGM_RSRC2:TGID_Z_EN: 1
; COMPUTE_PGM_RSRC2:TIDIG_COMP_CNT: 1
	.section	.text._ZL30rocblas_trmm_outofplace_kernelI19rocblas_complex_numIfELi32ELi2ELb1ELb1ELb1ELb1ES1_KS1_S1_Ev17rocblas_diagonal_iiT6_lPT7_lllS6_lllPT8_llli,"axG",@progbits,_ZL30rocblas_trmm_outofplace_kernelI19rocblas_complex_numIfELi32ELi2ELb1ELb1ELb1ELb1ES1_KS1_S1_Ev17rocblas_diagonal_iiT6_lPT7_lllS6_lllPT8_llli,comdat
	.globl	_ZL30rocblas_trmm_outofplace_kernelI19rocblas_complex_numIfELi32ELi2ELb1ELb1ELb1ELb1ES1_KS1_S1_Ev17rocblas_diagonal_iiT6_lPT7_lllS6_lllPT8_llli ; -- Begin function _ZL30rocblas_trmm_outofplace_kernelI19rocblas_complex_numIfELi32ELi2ELb1ELb1ELb1ELb1ES1_KS1_S1_Ev17rocblas_diagonal_iiT6_lPT7_lllS6_lllPT8_llli
	.p2align	8
	.type	_ZL30rocblas_trmm_outofplace_kernelI19rocblas_complex_numIfELi32ELi2ELb1ELb1ELb1ELb1ES1_KS1_S1_Ev17rocblas_diagonal_iiT6_lPT7_lllS6_lllPT8_llli,@function
_ZL30rocblas_trmm_outofplace_kernelI19rocblas_complex_numIfELi32ELi2ELb1ELb1ELb1ELb1ES1_KS1_S1_Ev17rocblas_diagonal_iiT6_lPT7_lllS6_lllPT8_llli: ; @_ZL30rocblas_trmm_outofplace_kernelI19rocblas_complex_numIfELi32ELi2ELb1ELb1ELb1ELb1ES1_KS1_S1_Ev17rocblas_diagonal_iiT6_lPT7_lllS6_lllPT8_llli
; %bb.0:
	s_load_b32 s31, s[0:1], 0x80
	s_bfe_u32 s2, ttmp6, 0x40014
	s_lshr_b32 s3, ttmp7, 16
	s_add_co_i32 s2, s2, 1
	s_bfe_u32 s5, ttmp6, 0x40008
	s_mul_i32 s4, s3, s2
	s_getreg_b32 s2, hwreg(HW_REG_IB_STS2, 6, 4)
	s_add_co_i32 s5, s5, s4
	s_cmp_eq_u32 s2, 0
	s_cselect_b32 s34, s3, s5
	s_wait_kmcnt 0x0
	s_cmp_ge_u32 s34, s31
	s_cbranch_scc1 .LBB83_62
; %bb.1:
	s_load_b64 s[36:37], s[0:1], 0xc
	s_wait_kmcnt 0x0
	s_or_b32 s3, s36, s37
	s_delay_alu instid0(SALU_CYCLE_1) | instskip(NEXT) | instid1(SALU_CYCLE_1)
	s_bitset0_b32 s3, 31
	s_cmp_eq_u32 s3, 0
	s_cbranch_scc1 .LBB83_62
; %bb.2:
	s_clause 0x1
	s_load_b96 s[28:30], s[0:1], 0x0
	s_load_b512 s[4:19], s[0:1], 0x20
	s_bfe_u32 s20, ttmp6, 0x4000c
	s_bfe_u32 s22, ttmp6, 0x40010
	s_and_b32 s21, ttmp7, 0xffff
	s_add_co_i32 s20, s20, 1
	s_add_co_i32 s22, s22, 1
	s_and_b32 s3, ttmp6, 15
	s_bfe_u32 s23, ttmp6, 0x40004
	s_mul_i32 s20, ttmp9, s20
	s_mul_i32 s22, s21, s22
	s_add_co_i32 s3, s3, s20
	s_add_co_i32 s23, s23, s22
	v_and_b32_e32 v20, 0x3ff, v0
	v_bfe_u32 v24, v0, 10, 10
	s_add_nc_u64 s[38:39], s[0:1], 0x88
	v_mov_b64_e32 v[26:27], 0
	v_mov_b64_e32 v[28:29], 0x3f800000
	s_mov_b32 s35, 0
	s_mov_b32 s40, s37
	s_wait_kmcnt 0x0
	s_add_co_i32 s24, s30, -1
	s_mov_b32 s42, s29
	s_ashr_i32 s25, s24, 31
	s_mov_b32 s41, s36
	s_lshr_b32 s25, s25, 27
	s_mov_b32 s44, s30
	s_add_co_i32 s24, s24, s25
	v_mov_b32_e32 v25, 0
	s_ashr_i32 s33, s24, 5
	s_cmp_eq_u32 s2, 0
	v_lshlrev_b32_e32 v6, 3, v24
	s_cselect_b32 s48, s21, s23
	s_cselect_b32 s2, ttmp9, s3
	s_cmp_le_i32 s48, s33
	s_load_b256 s[20:27], s[0:1], 0x60
	s_cselect_b32 s49, -1, 0
	s_lshl_b32 s50, s2, 5
	s_cmp_gt_i32 s2, -1
	v_add_nc_u32_e32 v22, s50, v20
	s_cselect_b32 s51, -1, 0
	s_cmp_eq_u32 s28, 0x84
	v_lshl_add_u32 v69, s48, 5, v24
	s_delay_alu instid0(VALU_DEP_2)
	v_dual_lshlrev_b32 v8, 8, v24 :: v_dual_ashrrev_i32 v23, 31, v22
	s_cselect_b32 s52, -1, 0
	s_lshl_b64 s[2:3], s[6:7], 3
	v_dual_mov_b32 v7, v25 :: v_dual_mov_b32 v21, v25
	v_lshlrev_b32_e32 v30, 3, v20
	v_lshl_add_u64 v[0:1], v[22:23], 3, 0x80
	v_mul_u64_e32 v[2:3], s[8:9], v[22:23]
	v_add_nc_u64_e32 v[34:35], 16, v[22:23]
	v_sub_nc_u64_e32 v[36:37], v[22:23], v[24:25]
	v_dual_mov_b32 v31, v25 :: v_dual_add_nc_u32 v65, v30, v8
	v_mad_nc_u64_u32 v[4:5], s8, v0, s[2:3]
	s_lshl_b64 s[6:7], s[14:15], 3
	v_add_nc_u32_e32 v63, 0x2000, v8
	v_add_nc_u32_e32 v32, 16, v22
	s_ashr_i32 s43, s29, 31
	s_wait_kmcnt 0x0
	s_lshl_b64 s[0:1], s[22:23], 3
	v_add_nc_u64_e32 v[40:41], 16, v[36:37]
	v_add_nc_u64_e32 v[42:43], -16, v[36:37]
	v_dual_add_nc_u32 v67, v63, v30 :: v_dual_ashrrev_i32 v33, 31, v32
	s_add_nc_u64 s[14:15], s[20:21], s[0:1]
	v_mad_u32 v0, s9, v0, v5
	v_cmp_le_i32_e64 s0, s29, v22
	v_cmp_gt_i32_e64 s1, s29, v22
	v_add_nc_u32_e32 v71, 0x1000, v30
	v_add_nc_u32_e32 v73, 0x1800, v30
	s_ashr_i32 s45, s30, 31
	s_add_nc_u64 s[20:21], s[42:43], -16
	s_lshl_b64 s[10:11], s[10:11], 3
	v_mad_u32 v5, s8, v1, v0
	v_lshl_add_u64 v[0:1], v[2:3], 3, s[2:3]
	s_add_nc_u64 s[2:3], s[12:13], s[6:7]
	s_lshl_b64 s[12:13], s[18:19], 3
	v_add_nc_u64_e32 v[38:39], s[2:3], v[30:31]
	v_cmp_le_i64_e64 s3, s[42:43], v[34:35]
	v_add_nc_u64_e32 v[0:1], v[0:1], v[6:7]
	v_add_nc_u64_e32 v[2:3], v[4:5], v[6:7]
	v_cmp_gt_i32_e64 s2, s29, v32
	v_add_nc_u32_e32 v31, 0x800, v30
	s_lshl_b64 s[18:19], s[16:17], 3
	v_add_nc_u64_e32 v[44:45], s[4:5], v[0:1]
	v_add_nc_u64_e32 v[46:47], s[4:5], v[2:3]
	s_branch .LBB83_4
.LBB83_3:                               ;   in Loop: Header=BB83_4 Depth=1
	s_add_co_i32 s34, s34, 0x10000
	s_delay_alu instid0(SALU_CYCLE_1)
	s_cmp_ge_u32 s34, s31
	s_cbranch_scc1 .LBB83_62
.LBB83_4:                               ; =>This Loop Header: Depth=1
                                        ;     Child Loop BB83_7 Depth 2
                                        ;       Child Loop BB83_10 Depth 3
	s_and_not1_b32 vcc_lo, exec_lo, s49
	s_cbranch_vccnz .LBB83_3
; %bb.5:                                ;   in Loop: Header=BB83_4 Depth=1
	s_load_b32 s9, s[38:39], 0x4
	v_mad_nc_u64_u32 v[48:49], s12, s34, v[38:39]
	s_delay_alu instid0(VALU_DEP_2)
	v_mad_nc_u64_u32 v[50:51], s10, s34, v[46:47]
	v_mad_nc_u64_u32 v[52:53], s10, s34, v[44:45]
	s_mul_i32 s6, s11, s34
	s_mul_u64 s[4:5], s[26:27], s[34:35]
	v_mov_b32_e32 v54, v69
	s_lshl_b64 s[4:5], s[4:5], 3
	s_mov_b32 s54, s48
	s_add_nc_u64 s[22:23], s[14:15], s[4:5]
	s_delay_alu instid0(VALU_DEP_4) | instskip(NEXT) | instid1(VALU_DEP_3)
	v_mad_u32 v49, s13, s34, v49
	v_dual_add_nc_u32 v51, s6, v51 :: v_dual_add_nc_u32 v53, s6, v53
	s_wait_kmcnt 0x0
	s_lshl_b32 s53, s9, 5
	s_branch .LBB83_7
.LBB83_6:                               ;   in Loop: Header=BB83_7 Depth=2
	s_wait_xcnt 0x0
	s_or_b32 exec_lo, exec_lo, s4
	v_add_nc_u32_e32 v54, s53, v54
	s_add_co_i32 s54, s9, s54
	s_delay_alu instid0(SALU_CYCLE_1)
	s_cmp_gt_i32 s54, s33
	s_cbranch_scc1 .LBB83_3
.LBB83_7:                               ;   Parent Loop BB83_4 Depth=1
                                        ; =>  This Loop Header: Depth=2
                                        ;       Child Loop BB83_10 Depth 3
	v_lshl_add_u32 v56, s54, 5, v24
	v_dual_mov_b32 v70, 0 :: v_dual_mov_b32 v72, 0
	v_dual_mov_b32 v66, 0 :: v_dual_mov_b32 v68, 0
	s_delay_alu instid0(VALU_DEP_3)
	v_dual_mov_b32 v62, 0 :: v_dual_ashrrev_i32 v57, 31, v56
	v_dual_mov_b32 v64, 0 :: v_dual_mov_b32 v18, 0
	v_mov_b32_e32 v16, 0
	s_and_not1_b32 vcc_lo, exec_lo, s51
	s_cbranch_vccnz .LBB83_54
; %bb.8:                                ;   in Loop: Header=BB83_7 Depth=2
	v_dual_mov_b32 v16, 0 :: v_dual_ashrrev_i32 v55, 31, v54
	v_mad_nc_u64_u32 v[58:59], s18, v54, v[48:49]
	v_sub_nc_u64_e32 v[2:3], s[44:45], v[56:57]
	v_dual_mov_b32 v18, 0 :: v_dual_mov_b32 v64, 0
	s_delay_alu instid0(VALU_DEP_4) | instskip(SKIP_2) | instid1(VALU_DEP_3)
	v_lshl_add_u64 v[0:1], v[54:55], 3, 0x80
	v_dual_mov_b32 v62, 0 :: v_dual_mov_b32 v68, 0
	v_dual_mov_b32 v66, 0 :: v_dual_mov_b32 v72, 0
	v_mad_nc_u64_u32 v[60:61], s16, v0, v[48:49]
	v_cmp_lt_i64_e64 s4, 16, v[2:3]
	v_mad_u32 v4, s19, v54, v59
	v_mov_b32_e32 v70, 0
	s_mov_b64 s[28:29], 0
	s_mov_b64 s[46:47], 0
	v_cmp_lt_i64_e32 vcc_lo, 0, v[2:3]
	v_mad_u32 v0, s17, v0, v61
	s_delay_alu instid0(VALU_DEP_4) | instskip(NEXT) | instid1(VALU_DEP_2)
	v_mad_u32 v59, s18, v55, v4
	v_mad_u32 v61, s16, v1, v0
	s_branch .LBB83_10
.LBB83_9:                               ;   in Loop: Header=BB83_10 Depth=3
	s_wait_xcnt 0x0
	s_or_b32 exec_lo, exec_lo, s5
	s_wait_dscnt 0x0
	s_barrier_signal -1
	s_barrier_wait -1
	ds_load_b128 v[74:77], v63
	ds_load_2addr_b64 v[78:81], v30 offset1:16
	ds_load_b128 v[82:85], v63 offset:4096
	ds_load_b128 v[8:11], v63 offset:16
	ds_load_b128 v[4:7], v63 offset:32
	ds_load_b128 v[0:3], v63 offset:48
	ds_load_2addr_b64 v[86:89], v30 offset0:32 offset1:48
	ds_load_b128 v[12:15], v63 offset:4112
	s_add_nc_u64 s[46:47], s[46:47], 32
	s_add_nc_u64 s[28:29], s[28:29], 0x100
	s_sub_co_i32 s5, s46, 32
	s_delay_alu instid0(SALU_CYCLE_1)
	s_cmp_ge_i32 s5, s50
	s_wait_dscnt 0x6
	v_dual_mul_f32 v17, v75, v79 :: v_dual_mul_f32 v19, v74, v79
	v_dual_mul_f32 v55, v75, v81 :: v_dual_mul_f32 v90, v74, v81
	s_wait_dscnt 0x5
	v_dual_mul_f32 v91, v83, v79 :: v_dual_mul_f32 v79, v82, v79
	v_dual_mul_f32 v92, v83, v81 :: v_dual_mul_f32 v93, v82, v81
	v_dual_fma_f32 v17, v74, v78, -v17 :: v_dual_fmac_f32 v19, v75, v78
	v_dual_fma_f32 v55, v74, v80, -v55 :: v_dual_fmac_f32 v90, v75, v80
	s_delay_alu instid0(VALU_DEP_2) | instskip(NEXT) | instid1(VALU_DEP_4)
	v_dual_fmac_f32 v79, v83, v78 :: v_dual_add_f32 v17, v70, v17
	v_dual_fma_f32 v74, v82, v78, -v91 :: v_dual_fma_f32 v75, v82, v80, -v92
	s_delay_alu instid0(VALU_DEP_3) | instskip(NEXT) | instid1(VALU_DEP_3)
	v_dual_add_f32 v55, v66, v55 :: v_dual_add_f32 v66, v68, v90
	v_dual_add_f32 v64, v64, v79 :: v_dual_fmac_f32 v93, v83, v80
	s_wait_dscnt 0x1
	v_dual_mul_f32 v68, v77, v87 :: v_dual_mul_f32 v70, v76, v87
	ds_load_2addr_b64 v[78:81], v30 offset0:64 offset1:80
	v_dual_add_f32 v19, v72, v19 :: v_dual_add_f32 v62, v62, v74
	v_dual_add_f32 v18, v18, v75 :: v_dual_fma_f32 v68, v76, v86, -v68
	v_dual_mul_f32 v72, v77, v89 :: v_dual_fmac_f32 v70, v77, v86
	v_add_f32_e32 v74, v16, v93
	s_delay_alu instid0(VALU_DEP_3) | instskip(NEXT) | instid1(VALU_DEP_3)
	v_dual_mul_f32 v16, v76, v89 :: v_dual_add_f32 v68, v17, v68
	v_dual_fma_f32 v17, v76, v88, -v72 :: v_dual_mul_f32 v72, v85, v87
	s_delay_alu instid0(VALU_DEP_2) | instskip(NEXT) | instid1(VALU_DEP_2)
	v_dual_add_f32 v70, v19, v70 :: v_dual_fmac_f32 v16, v77, v88
	v_dual_mul_f32 v19, v84, v87 :: v_dual_add_f32 v55, v55, v17
	s_delay_alu instid0(VALU_DEP_3) | instskip(NEXT) | instid1(VALU_DEP_2)
	v_dual_fma_f32 v17, v84, v86, -v72 :: v_dual_mul_f32 v72, v85, v89
	v_dual_add_f32 v66, v66, v16 :: v_dual_fmac_f32 v19, v85, v86
	v_mul_f32_e32 v75, v84, v89
	s_delay_alu instid0(VALU_DEP_3) | instskip(SKIP_2) | instid1(VALU_DEP_3)
	v_dual_add_f32 v62, v62, v17 :: v_dual_fma_f32 v16, v84, v88, -v72
	s_wait_dscnt 0x0
	v_dual_mul_f32 v17, v9, v79 :: v_dual_mul_f32 v72, v8, v79
	v_dual_add_f32 v64, v64, v19 :: v_dual_fmac_f32 v75, v85, v88
	s_delay_alu instid0(VALU_DEP_2) | instskip(NEXT) | instid1(VALU_DEP_3)
	v_dual_add_f32 v76, v18, v16 :: v_dual_fma_f32 v77, v8, v78, -v17
	v_dual_mul_f32 v82, v9, v81 :: v_dual_fmac_f32 v72, v9, v78
	ds_load_2addr_b64 v[16:19], v30 offset0:96 offset1:112
	v_dual_add_f32 v83, v74, v75 :: v_dual_add_f32 v68, v68, v77
	v_dual_mul_f32 v74, v8, v81 :: v_dual_fma_f32 v8, v8, v80, -v82
	v_dual_add_f32 v70, v70, v72 :: v_dual_mul_f32 v72, v13, v79
	s_delay_alu instid0(VALU_DEP_2) | instskip(NEXT) | instid1(VALU_DEP_3)
	v_dual_mul_f32 v75, v12, v79 :: v_dual_fmac_f32 v74, v9, v80
	v_dual_add_f32 v8, v55, v8 :: v_dual_mul_f32 v9, v13, v81
	s_delay_alu instid0(VALU_DEP_2) | instskip(NEXT) | instid1(VALU_DEP_3)
	v_dual_fma_f32 v55, v12, v78, -v72 :: v_dual_fmac_f32 v75, v13, v78
	v_dual_mul_f32 v72, v12, v81 :: v_dual_add_f32 v66, v66, v74
	s_delay_alu instid0(VALU_DEP_2) | instskip(NEXT) | instid1(VALU_DEP_2)
	v_dual_fma_f32 v9, v12, v80, -v9 :: v_dual_add_f32 v12, v62, v55
	v_dual_add_f32 v55, v64, v75 :: v_dual_fmac_f32 v72, v13, v80
	s_wait_dscnt 0x0
	v_dual_mul_f32 v13, v11, v17 :: v_dual_mul_f32 v62, v10, v17
	s_delay_alu instid0(VALU_DEP_3) | instskip(SKIP_3) | instid1(VALU_DEP_2)
	v_dual_add_f32 v9, v76, v9 :: v_dual_mul_f32 v64, v11, v19
	ds_load_2addr_b64 v[74:77], v30 offset0:128 offset1:144
	v_dual_fma_f32 v13, v10, v16, -v13 :: v_dual_mul_f32 v78, v10, v19
	v_dual_add_f32 v72, v83, v72 :: v_dual_fma_f32 v10, v10, v18, -v64
	v_dual_fmac_f32 v62, v11, v16 :: v_dual_add_f32 v64, v68, v13
	v_mul_f32_e32 v13, v15, v17
	s_delay_alu instid0(VALU_DEP_4) | instskip(NEXT) | instid1(VALU_DEP_3)
	v_fmac_f32_e32 v78, v11, v18
	v_add_f32_e32 v11, v70, v62
	s_delay_alu instid0(VALU_DEP_3) | instskip(SKIP_1) | instid1(VALU_DEP_4)
	v_dual_add_f32 v62, v8, v10 :: v_dual_fma_f32 v10, v14, v16, -v13
	v_mul_f32_e32 v8, v14, v17
	v_dual_add_f32 v17, v66, v78 :: v_dual_mul_f32 v13, v15, v19
	ds_load_b128 v[78:81], v63 offset:4128
	v_dual_fmac_f32 v8, v15, v16 :: v_dual_add_f32 v16, v12, v10
	v_dual_mul_f32 v10, v14, v19 :: v_dual_fma_f32 v12, v14, v18, -v13
	s_wait_dscnt 0x1
	s_delay_alu instid0(VALU_DEP_2) | instskip(NEXT) | instid1(VALU_DEP_2)
	v_dual_mul_f32 v13, v5, v75 :: v_dual_add_f32 v19, v55, v8
	v_dual_mul_f32 v8, v4, v75 :: v_dual_fmac_f32 v10, v15, v18
	s_delay_alu instid0(VALU_DEP_2) | instskip(SKIP_4) | instid1(VALU_DEP_3)
	v_dual_add_f32 v18, v9, v12 :: v_dual_fma_f32 v9, v4, v74, -v13
	ds_load_2addr_b64 v[12:15], v30 offset0:160 offset1:176
	v_dual_fmac_f32 v8, v5, v74 :: v_dual_mul_f32 v55, v5, v77
	v_mul_f32_e32 v68, v4, v77
	v_add_f32_e32 v66, v72, v10
	v_dual_add_f32 v64, v64, v9 :: v_dual_add_f32 v70, v11, v8
	s_delay_alu instid0(VALU_DEP_4)
	v_fma_f32 v4, v4, v76, -v55
	ds_load_b128 v[8:11], v63 offset:4144
	s_wait_dscnt 0x2
	v_dual_mul_f32 v55, v79, v75 :: v_dual_fmac_f32 v68, v5, v76
	v_mul_f32_e32 v5, v78, v75
	v_dual_add_f32 v4, v62, v4 :: v_dual_mul_f32 v62, v79, v77
	s_delay_alu instid0(VALU_DEP_3) | instskip(NEXT) | instid1(VALU_DEP_3)
	v_dual_fma_f32 v55, v78, v74, -v55 :: v_dual_add_f32 v17, v17, v68
	v_dual_fmac_f32 v5, v79, v74 :: v_dual_mul_f32 v68, v78, v77
	s_delay_alu instid0(VALU_DEP_2) | instskip(SKIP_2) | instid1(VALU_DEP_3)
	v_dual_fma_f32 v62, v78, v76, -v62 :: v_dual_add_f32 v16, v16, v55
	s_wait_dscnt 0x1
	v_mul_f32_e32 v55, v7, v13
	v_fmac_f32_e32 v68, v79, v76
	ds_load_2addr_b64 v[74:77], v30 offset0:192 offset1:208
	v_dual_add_f32 v62, v18, v62 :: v_dual_add_f32 v5, v19, v5
	v_dual_fma_f32 v19, v6, v12, -v55 :: v_dual_mul_f32 v18, v6, v13
	v_dual_mul_f32 v55, v7, v15 :: v_dual_add_f32 v66, v66, v68
	s_delay_alu instid0(VALU_DEP_2) | instskip(NEXT) | instid1(VALU_DEP_2)
	v_dual_add_f32 v64, v64, v19 :: v_dual_fmac_f32 v18, v7, v12
	v_dual_mul_f32 v19, v6, v15 :: v_dual_fma_f32 v6, v6, v14, -v55
	v_dual_mul_f32 v55, v81, v13 :: v_dual_mul_f32 v13, v80, v13
	s_delay_alu instid0(VALU_DEP_3) | instskip(NEXT) | instid1(VALU_DEP_3)
	v_add_f32_e32 v68, v70, v18
	v_fmac_f32_e32 v19, v7, v14
	s_delay_alu instid0(VALU_DEP_4) | instskip(NEXT) | instid1(VALU_DEP_4)
	v_dual_add_f32 v4, v4, v6 :: v_dual_mul_f32 v7, v81, v15
	v_dual_fma_f32 v6, v80, v12, -v55 :: v_dual_fmac_f32 v13, v81, v12
	s_delay_alu instid0(VALU_DEP_3) | instskip(NEXT) | instid1(VALU_DEP_3)
	v_add_f32_e32 v12, v17, v19
	v_dual_mul_f32 v15, v80, v15 :: v_dual_fma_f32 v7, v80, v14, -v7
	s_delay_alu instid0(VALU_DEP_3)
	v_dual_add_f32 v6, v16, v6 :: v_dual_add_f32 v5, v5, v13
	s_wait_dscnt 0x0
	v_mul_f32_e32 v13, v1, v75
	ds_load_2addr_b64 v[16:19], v30 offset0:224 offset1:240
	v_dual_fmac_f32 v15, v81, v14 :: v_dual_mul_f32 v14, v0, v75
	v_dual_add_f32 v7, v62, v7 :: v_dual_fma_f32 v13, v0, v74, -v13
	v_dual_mul_f32 v55, v1, v77 :: v_dual_mul_f32 v62, v0, v77
	s_delay_alu instid0(VALU_DEP_3) | instskip(NEXT) | instid1(VALU_DEP_3)
	v_dual_add_f32 v66, v66, v15 :: v_dual_fmac_f32 v14, v1, v74
	v_add_f32_e32 v64, v64, v13
	s_delay_alu instid0(VALU_DEP_3) | instskip(NEXT) | instid1(VALU_DEP_3)
	v_dual_fma_f32 v0, v0, v76, -v55 :: v_dual_fmac_f32 v62, v1, v76
	v_dual_mul_f32 v1, v9, v75 :: v_dual_add_f32 v55, v68, v14
	v_mul_f32_e32 v13, v8, v75
	s_delay_alu instid0(VALU_DEP_3) | instskip(NEXT) | instid1(VALU_DEP_3)
	v_add_f32_e32 v62, v12, v62
	v_fma_f32 v1, v8, v74, -v1
	s_delay_alu instid0(VALU_DEP_3) | instskip(SKIP_2) | instid1(VALU_DEP_1)
	v_dual_add_f32 v0, v4, v0 :: v_dual_fmac_f32 v13, v9, v74
	v_dual_mul_f32 v4, v9, v77 :: v_dual_mul_f32 v68, v8, v77
	s_wait_dscnt 0x0
	v_dual_fma_f32 v4, v8, v76, -v4 :: v_dual_mul_f32 v8, v3, v17
	s_delay_alu instid0(VALU_DEP_2) | instskip(NEXT) | instid1(VALU_DEP_2)
	v_dual_add_f32 v1, v6, v1 :: v_dual_fmac_f32 v68, v9, v76
	v_dual_add_f32 v70, v5, v13 :: v_dual_add_f32 v9, v7, v4
	s_delay_alu instid0(VALU_DEP_3) | instskip(NEXT) | instid1(VALU_DEP_3)
	v_dual_fma_f32 v4, v2, v16, -v8 :: v_dual_mul_f32 v5, v2, v17
	v_dual_mul_f32 v6, v3, v19 :: v_dual_add_f32 v66, v66, v68
	ds_load_b128 v[12:15], v63 offset:64
	ds_load_2addr_b64 v[74:77], v31 offset1:16
	v_dual_mul_f32 v7, v2, v19 :: v_dual_fmac_f32 v5, v3, v16
	v_dual_add_f32 v64, v64, v4 :: v_dual_fma_f32 v2, v2, v18, -v6
	v_mul_f32_e32 v4, v11, v17
	s_delay_alu instid0(VALU_DEP_3) | instskip(NEXT) | instid1(VALU_DEP_4)
	v_fmac_f32_e32 v7, v3, v18
	v_add_f32_e32 v55, v55, v5
	s_delay_alu instid0(VALU_DEP_4) | instskip(NEXT) | instid1(VALU_DEP_4)
	v_dual_mul_f32 v3, v10, v17 :: v_dual_add_f32 v17, v0, v2
	v_dual_fma_f32 v0, v10, v16, -v4 :: v_dual_mul_f32 v2, v11, v19
	ds_load_b128 v[78:81], v63 offset:4160
	v_dual_add_f32 v62, v62, v7 :: v_dual_fmac_f32 v3, v11, v16
	v_dual_add_f32 v16, v1, v0 :: v_dual_fma_f32 v0, v10, v18, -v2
	v_mul_f32_e32 v1, v10, v19
	ds_load_b128 v[4:7], v63 offset:80
	v_add_f32_e32 v19, v70, v3
	s_wait_dscnt 0x2
	v_dual_mul_f32 v2, v13, v75 :: v_dual_mul_f32 v3, v12, v75
	v_dual_fmac_f32 v1, v11, v18 :: v_dual_add_f32 v18, v9, v0
	ds_load_2addr_b64 v[8:11], v31 offset0:32 offset1:48
	v_dual_fma_f32 v0, v12, v74, -v2 :: v_dual_fmac_f32 v3, v13, v74
	v_dual_mul_f32 v2, v13, v77 :: v_dual_mul_f32 v68, v12, v77
	s_delay_alu instid0(VALU_DEP_2) | instskip(NEXT) | instid1(VALU_DEP_2)
	v_dual_add_f32 v66, v66, v1 :: v_dual_add_f32 v64, v64, v0
	v_dual_add_f32 v55, v55, v3 :: v_dual_fma_f32 v12, v12, v76, -v2
	s_wait_dscnt 0x2
	s_delay_alu instid0(VALU_DEP_3)
	v_dual_mul_f32 v70, v79, v75 :: v_dual_fmac_f32 v68, v13, v76
	v_mul_f32_e32 v13, v78, v75
	ds_load_b128 v[0:3], v63 offset:4176
	v_dual_add_f32 v12, v17, v12 :: v_dual_mul_f32 v17, v79, v77
	v_dual_fma_f32 v70, v78, v74, -v70 :: v_dual_fmac_f32 v13, v79, v74
	v_add_f32_e32 v62, v62, v68
	s_delay_alu instid0(VALU_DEP_3) | instskip(SKIP_1) | instid1(VALU_DEP_3)
	v_dual_mul_f32 v68, v78, v77 :: v_dual_fma_f32 v17, v78, v76, -v17
	s_wait_dscnt 0x1
	v_dual_add_f32 v70, v16, v70 :: v_dual_mul_f32 v16, v15, v9
	v_mul_f32_e32 v74, v14, v9
	v_add_f32_e32 v13, v19, v13
	v_dual_fmac_f32 v68, v79, v76 :: v_dual_add_f32 v72, v18, v17
	s_delay_alu instid0(VALU_DEP_4) | instskip(SKIP_3) | instid1(VALU_DEP_2)
	v_fma_f32 v75, v14, v8, -v16
	ds_load_2addr_b64 v[16:19], v31 offset0:64 offset1:80
	v_dual_mul_f32 v76, v15, v11 :: v_dual_add_f32 v66, v66, v68
	v_dual_fmac_f32 v74, v15, v8 :: v_dual_add_f32 v64, v64, v75
	v_dual_mul_f32 v68, v14, v11 :: v_dual_fma_f32 v14, v14, v10, -v76
	v_dual_mul_f32 v75, v81, v9 :: v_dual_mul_f32 v9, v80, v9
	s_delay_alu instid0(VALU_DEP_3) | instskip(NEXT) | instid1(VALU_DEP_3)
	v_add_f32_e32 v55, v55, v74
	v_fmac_f32_e32 v68, v15, v10
	s_delay_alu instid0(VALU_DEP_4) | instskip(NEXT) | instid1(VALU_DEP_4)
	v_add_f32_e32 v74, v12, v14
	v_dual_fma_f32 v12, v80, v8, -v75 :: v_dual_fmac_f32 v9, v81, v8
	s_delay_alu instid0(VALU_DEP_3) | instskip(NEXT) | instid1(VALU_DEP_2)
	v_dual_mul_f32 v8, v81, v11 :: v_dual_add_f32 v62, v62, v68
	v_dual_mul_f32 v11, v80, v11 :: v_dual_add_f32 v68, v70, v12
	s_delay_alu instid0(VALU_DEP_2)
	v_dual_add_f32 v9, v13, v9 :: v_dual_fma_f32 v8, v80, v10, -v8
	s_wait_dscnt 0x0
	v_mul_f32_e32 v70, v5, v17
	ds_load_2addr_b64 v[12:15], v31 offset0:96 offset1:112
	v_dual_fmac_f32 v11, v81, v10 :: v_dual_mul_f32 v10, v4, v17
	v_dual_add_f32 v8, v72, v8 :: v_dual_mul_f32 v72, v5, v19
	v_dual_fma_f32 v70, v4, v16, -v70 :: v_dual_mul_f32 v75, v4, v19
	s_delay_alu instid0(VALU_DEP_3) | instskip(NEXT) | instid1(VALU_DEP_3)
	v_dual_fmac_f32 v10, v5, v16 :: v_dual_add_f32 v66, v66, v11
	v_fma_f32 v4, v4, v18, -v72
	s_delay_alu instid0(VALU_DEP_3) | instskip(NEXT) | instid1(VALU_DEP_4)
	v_add_f32_e32 v64, v64, v70
	v_fmac_f32_e32 v75, v5, v18
	s_delay_alu instid0(VALU_DEP_4) | instskip(NEXT) | instid1(VALU_DEP_4)
	v_dual_add_f32 v55, v55, v10 :: v_dual_mul_f32 v10, v0, v17
	v_dual_mul_f32 v5, v1, v17 :: v_dual_add_f32 v4, v74, v4
	v_mul_f32_e32 v11, v1, v19
	s_delay_alu instid0(VALU_DEP_3) | instskip(NEXT) | instid1(VALU_DEP_3)
	v_dual_add_f32 v62, v62, v75 :: v_dual_fmac_f32 v10, v1, v16
	v_dual_mul_f32 v70, v0, v19 :: v_dual_fma_f32 v5, v0, v16, -v5
	s_wait_dscnt 0x0
	s_delay_alu instid0(VALU_DEP_3) | instskip(NEXT) | instid1(VALU_DEP_2)
	v_dual_fma_f32 v0, v0, v18, -v11 :: v_dual_mul_f32 v11, v7, v13
	v_dual_mul_f32 v72, v6, v13 :: v_dual_fmac_f32 v70, v1, v18
	s_delay_alu instid0(VALU_DEP_3) | instskip(NEXT) | instid1(VALU_DEP_3)
	v_dual_add_f32 v5, v68, v5 :: v_dual_add_f32 v68, v9, v10
	v_add_f32_e32 v0, v8, v0
	s_delay_alu instid0(VALU_DEP_4) | instskip(SKIP_4) | instid1(VALU_DEP_2)
	v_fma_f32 v1, v6, v12, -v11
	ds_load_b128 v[8:11], v63 offset:96
	ds_load_2addr_b64 v[16:19], v31 offset0:128 offset1:144
	v_dual_mul_f32 v74, v7, v15 :: v_dual_add_f32 v66, v66, v70
	v_dual_fmac_f32 v72, v7, v12 :: v_dual_mul_f32 v70, v6, v15
	v_dual_add_f32 v1, v64, v1 :: v_dual_fma_f32 v6, v6, v14, -v74
	v_dual_mul_f32 v64, v3, v13 :: v_dual_mul_f32 v13, v2, v13
	s_delay_alu instid0(VALU_DEP_3) | instskip(NEXT) | instid1(VALU_DEP_4)
	v_add_f32_e32 v55, v55, v72
	v_fmac_f32_e32 v70, v7, v14
	s_delay_alu instid0(VALU_DEP_3)
	v_dual_add_f32 v72, v4, v6 :: v_dual_fma_f32 v4, v2, v12, -v64
	v_mul_f32_e32 v6, v3, v15
	ds_load_b128 v[74:77], v63 offset:4192
	v_dual_add_f32 v62, v62, v70 :: v_dual_fmac_f32 v13, v3, v12
	v_dual_add_f32 v64, v5, v4 :: v_dual_fma_f32 v12, v2, v14, -v6
	s_wait_dscnt 0x1
	v_dual_mul_f32 v2, v2, v15 :: v_dual_mul_f32 v15, v9, v17
	v_mul_f32_e32 v70, v8, v17
	v_add_f32_e32 v68, v68, v13
	s_delay_alu instid0(VALU_DEP_3) | instskip(NEXT) | instid1(VALU_DEP_3)
	v_dual_add_f32 v78, v0, v12 :: v_dual_fmac_f32 v2, v3, v14
	v_dual_fma_f32 v0, v8, v16, -v15 :: v_dual_fmac_f32 v70, v9, v16
	ds_load_2addr_b64 v[12:15], v31 offset0:160 offset1:176
	v_mul_f32_e32 v3, v9, v19
	ds_load_b128 v[4:7], v63 offset:112
	v_dual_mul_f32 v80, v8, v19 :: v_dual_add_f32 v55, v55, v70
	v_dual_add_f32 v66, v66, v2 :: v_dual_add_f32 v79, v1, v0
	s_wait_dscnt 0x2
	v_dual_fma_f32 v8, v8, v18, -v3 :: v_dual_mul_f32 v70, v75, v17
	s_delay_alu instid0(VALU_DEP_3) | instskip(NEXT) | instid1(VALU_DEP_2)
	v_dual_fmac_f32 v80, v9, v18 :: v_dual_mul_f32 v9, v74, v17
	v_dual_mul_f32 v17, v75, v19 :: v_dual_add_f32 v8, v72, v8
	s_delay_alu instid0(VALU_DEP_3) | instskip(NEXT) | instid1(VALU_DEP_3)
	v_dual_fma_f32 v70, v74, v16, -v70 :: v_dual_mul_f32 v72, v74, v19
	v_fmac_f32_e32 v9, v75, v16
	s_delay_alu instid0(VALU_DEP_3) | instskip(NEXT) | instid1(VALU_DEP_3)
	v_fma_f32 v16, v74, v18, -v17
	v_dual_add_f32 v62, v62, v80 :: v_dual_add_f32 v64, v64, v70
	s_delay_alu instid0(VALU_DEP_3) | instskip(SKIP_1) | instid1(VALU_DEP_3)
	v_dual_fmac_f32 v72, v75, v18 :: v_dual_add_f32 v9, v68, v9
	s_wait_dscnt 0x1
	v_dual_mul_f32 v17, v11, v13 :: v_dual_add_f32 v68, v78, v16
	v_dual_mul_f32 v70, v10, v13 :: v_dual_mul_f32 v75, v11, v15
	s_delay_alu instid0(VALU_DEP_3) | instskip(NEXT) | instid1(VALU_DEP_3)
	v_add_f32_e32 v66, v66, v72
	v_fma_f32 v74, v10, v12, -v17
	ds_load_2addr_b64 v[16:19], v31 offset0:192 offset1:208
	v_fmac_f32_e32 v70, v11, v12
	ds_load_b128 v[0:3], v63 offset:4208
	v_dual_add_f32 v72, v79, v74 :: v_dual_mul_f32 v74, v10, v15
	v_dual_fma_f32 v10, v10, v14, -v75 :: v_dual_mul_f32 v75, v77, v13
	v_dual_mul_f32 v13, v76, v13 :: v_dual_add_f32 v55, v55, v70
	s_delay_alu instid0(VALU_DEP_3) | instskip(NEXT) | instid1(VALU_DEP_3)
	v_fmac_f32_e32 v74, v11, v14
	v_dual_add_f32 v8, v8, v10 :: v_dual_mul_f32 v11, v77, v15
	s_delay_alu instid0(VALU_DEP_3) | instskip(NEXT) | instid1(VALU_DEP_3)
	v_dual_fma_f32 v10, v76, v12, -v75 :: v_dual_fmac_f32 v13, v77, v12
	v_dual_add_f32 v62, v62, v74 :: v_dual_mul_f32 v70, v76, v15
	s_delay_alu instid0(VALU_DEP_3) | instskip(NEXT) | instid1(VALU_DEP_3)
	v_fma_f32 v11, v76, v14, -v11
	v_dual_add_f32 v10, v64, v10 :: v_dual_add_f32 v9, v9, v13
	s_wait_dscnt 0x1
	v_mul_f32_e32 v64, v5, v17
	v_dual_fmac_f32 v70, v77, v14 :: v_dual_mul_f32 v74, v4, v17
	ds_load_2addr_b64 v[12:15], v31 offset0:224 offset1:240
	v_add_f32_e32 v11, v68, v11
	v_dual_fma_f32 v64, v4, v16, -v64 :: v_dual_mul_f32 v68, v5, v19
	v_dual_mul_f32 v75, v4, v19 :: v_dual_add_f32 v66, v66, v70
	v_fmac_f32_e32 v74, v5, v16
	s_delay_alu instid0(VALU_DEP_3) | instskip(NEXT) | instid1(VALU_DEP_3)
	v_add_f32_e32 v64, v72, v64
	v_dual_fma_f32 v4, v4, v18, -v68 :: v_dual_fmac_f32 v75, v5, v18
	s_wait_dscnt 0x1
	v_dual_mul_f32 v5, v1, v17 :: v_dual_mul_f32 v17, v0, v17
	v_mul_f32_e32 v68, v0, v19
	s_delay_alu instid0(VALU_DEP_3) | instskip(NEXT) | instid1(VALU_DEP_3)
	v_dual_add_f32 v4, v8, v4 :: v_dual_mul_f32 v8, v1, v19
	v_dual_add_f32 v62, v62, v75 :: v_dual_fma_f32 v5, v0, v16, -v5
	s_delay_alu instid0(VALU_DEP_3) | instskip(SKIP_1) | instid1(VALU_DEP_3)
	v_dual_fmac_f32 v17, v1, v16 :: v_dual_fmac_f32 v68, v1, v18
	s_wait_dscnt 0x0
	v_dual_fma_f32 v0, v0, v18, -v8 :: v_dual_mul_f32 v8, v7, v13
	s_delay_alu instid0(VALU_DEP_3) | instskip(NEXT) | instid1(VALU_DEP_3)
	v_add_f32_e32 v5, v10, v5
	v_dual_add_f32 v70, v9, v17 :: v_dual_add_f32 v55, v55, v74
	s_delay_alu instid0(VALU_DEP_3) | instskip(NEXT) | instid1(VALU_DEP_4)
	v_add_f32_e32 v0, v11, v0
	v_dual_fma_f32 v1, v6, v12, -v8 :: v_dual_mul_f32 v72, v6, v13
	ds_load_b128 v[8:11], v63 offset:128
	ds_load_2addr_b64 v[16:19], v71 offset1:16
	v_dual_mul_f32 v74, v7, v15 :: v_dual_add_f32 v66, v66, v68
	v_dual_mul_f32 v68, v6, v15 :: v_dual_fmac_f32 v72, v7, v12
	s_delay_alu instid0(VALU_DEP_2) | instskip(SKIP_1) | instid1(VALU_DEP_3)
	v_dual_add_f32 v1, v64, v1 :: v_dual_fma_f32 v6, v6, v14, -v74
	v_dual_mul_f32 v64, v3, v13 :: v_dual_mul_f32 v13, v2, v13
	v_add_f32_e32 v55, v55, v72
	ds_load_b128 v[74:77], v63 offset:4224
	v_dual_add_f32 v72, v4, v6 :: v_dual_fma_f32 v4, v2, v12, -v64
	v_mul_f32_e32 v6, v3, v15
	v_fmac_f32_e32 v68, v7, v14
	v_fmac_f32_e32 v13, v3, v12
	s_delay_alu instid0(VALU_DEP_3) | instskip(NEXT) | instid1(VALU_DEP_3)
	v_dual_add_f32 v64, v5, v4 :: v_dual_fma_f32 v12, v2, v14, -v6
	v_add_f32_e32 v62, v62, v68
	s_wait_dscnt 0x1
	v_dual_mul_f32 v2, v2, v15 :: v_dual_mul_f32 v15, v9, v17
	v_add_f32_e32 v68, v70, v13
	v_mul_f32_e32 v70, v8, v17
	s_delay_alu instid0(VALU_DEP_3) | instskip(NEXT) | instid1(VALU_DEP_4)
	v_dual_add_f32 v78, v0, v12 :: v_dual_fmac_f32 v2, v3, v14
	v_fma_f32 v0, v8, v16, -v15
	ds_load_2addr_b64 v[12:15], v71 offset0:32 offset1:48
	v_mul_f32_e32 v3, v9, v19
	ds_load_b128 v[4:7], v63 offset:144
	v_dual_fmac_f32 v70, v9, v16 :: v_dual_mul_f32 v80, v8, v19
	v_dual_add_f32 v66, v66, v2 :: v_dual_add_f32 v79, v1, v0
	v_fma_f32 v8, v8, v18, -v3
	s_delay_alu instid0(VALU_DEP_3) | instskip(SKIP_2) | instid1(VALU_DEP_3)
	v_add_f32_e32 v55, v55, v70
	s_wait_dscnt 0x2
	v_dual_mul_f32 v70, v75, v17 :: v_dual_fmac_f32 v80, v9, v18
	v_dual_mul_f32 v9, v74, v17 :: v_dual_add_f32 v8, v72, v8
	s_delay_alu instid0(VALU_DEP_2) | instskip(NEXT) | instid1(VALU_DEP_2)
	v_dual_mul_f32 v17, v75, v19 :: v_dual_fma_f32 v70, v74, v16, -v70
	v_dual_mul_f32 v72, v74, v19 :: v_dual_fmac_f32 v9, v75, v16
	s_delay_alu instid0(VALU_DEP_4) | instskip(NEXT) | instid1(VALU_DEP_3)
	v_add_f32_e32 v62, v62, v80
	v_fma_f32 v16, v74, v18, -v17
	s_wait_dscnt 0x1
	v_dual_add_f32 v64, v64, v70 :: v_dual_mul_f32 v17, v11, v13
	v_dual_add_f32 v9, v68, v9 :: v_dual_fmac_f32 v72, v75, v18
	s_delay_alu instid0(VALU_DEP_3) | instskip(NEXT) | instid1(VALU_DEP_3)
	v_add_f32_e32 v68, v78, v16
	v_dual_mul_f32 v70, v10, v13 :: v_dual_fma_f32 v74, v10, v12, -v17
	ds_load_2addr_b64 v[16:19], v71 offset0:64 offset1:80
	v_dual_mul_f32 v75, v11, v15 :: v_dual_add_f32 v66, v66, v72
	v_fmac_f32_e32 v70, v11, v12
	v_dual_add_f32 v72, v79, v74 :: v_dual_mul_f32 v74, v10, v15
	s_delay_alu instid0(VALU_DEP_3)
	v_dual_fma_f32 v10, v10, v14, -v75 :: v_dual_mul_f32 v75, v77, v13
	v_mul_f32_e32 v13, v76, v13
	ds_load_b128 v[0:3], v63 offset:4240
	v_fmac_f32_e32 v74, v11, v14
	v_add_f32_e32 v55, v55, v70
	v_dual_add_f32 v8, v8, v10 :: v_dual_mul_f32 v11, v77, v15
	v_dual_fma_f32 v10, v76, v12, -v75 :: v_dual_fmac_f32 v13, v77, v12
	s_delay_alu instid0(VALU_DEP_4) | instskip(NEXT) | instid1(VALU_DEP_3)
	v_dual_add_f32 v62, v62, v74 :: v_dual_mul_f32 v70, v76, v15
	v_fma_f32 v11, v76, v14, -v11
	s_delay_alu instid0(VALU_DEP_3)
	v_dual_add_f32 v10, v64, v10 :: v_dual_add_f32 v9, v9, v13
	s_wait_dscnt 0x1
	v_mul_f32_e32 v64, v5, v17
	v_dual_fmac_f32 v70, v77, v14 :: v_dual_mul_f32 v74, v4, v17
	ds_load_2addr_b64 v[12:15], v71 offset0:96 offset1:112
	v_add_f32_e32 v11, v68, v11
	v_dual_fma_f32 v64, v4, v16, -v64 :: v_dual_mul_f32 v68, v5, v19
	v_dual_mul_f32 v75, v4, v19 :: v_dual_add_f32 v66, v66, v70
	v_fmac_f32_e32 v74, v5, v16
	s_delay_alu instid0(VALU_DEP_3) | instskip(NEXT) | instid1(VALU_DEP_3)
	v_add_f32_e32 v64, v72, v64
	v_dual_fma_f32 v4, v4, v18, -v68 :: v_dual_fmac_f32 v75, v5, v18
	s_wait_dscnt 0x1
	v_dual_mul_f32 v5, v1, v17 :: v_dual_mul_f32 v17, v0, v17
	v_mul_f32_e32 v68, v0, v19
	s_delay_alu instid0(VALU_DEP_3) | instskip(NEXT) | instid1(VALU_DEP_3)
	v_dual_add_f32 v4, v8, v4 :: v_dual_mul_f32 v8, v1, v19
	v_dual_add_f32 v62, v62, v75 :: v_dual_fma_f32 v5, v0, v16, -v5
	s_delay_alu instid0(VALU_DEP_3) | instskip(SKIP_1) | instid1(VALU_DEP_3)
	v_dual_fmac_f32 v17, v1, v16 :: v_dual_fmac_f32 v68, v1, v18
	s_wait_dscnt 0x0
	v_dual_fma_f32 v0, v0, v18, -v8 :: v_dual_mul_f32 v8, v7, v13
	s_delay_alu instid0(VALU_DEP_3) | instskip(NEXT) | instid1(VALU_DEP_3)
	v_add_f32_e32 v5, v10, v5
	v_dual_add_f32 v70, v9, v17 :: v_dual_add_f32 v55, v55, v74
	s_delay_alu instid0(VALU_DEP_3) | instskip(NEXT) | instid1(VALU_DEP_4)
	v_add_f32_e32 v0, v11, v0
	v_dual_fma_f32 v1, v6, v12, -v8 :: v_dual_mul_f32 v72, v6, v13
	ds_load_b128 v[8:11], v63 offset:160
	ds_load_2addr_b64 v[16:19], v71 offset0:128 offset1:144
	v_dual_mul_f32 v74, v7, v15 :: v_dual_add_f32 v66, v66, v68
	v_dual_mul_f32 v68, v6, v15 :: v_dual_fmac_f32 v72, v7, v12
	s_delay_alu instid0(VALU_DEP_2) | instskip(SKIP_1) | instid1(VALU_DEP_3)
	v_dual_add_f32 v1, v64, v1 :: v_dual_fma_f32 v6, v6, v14, -v74
	v_dual_mul_f32 v64, v3, v13 :: v_dual_mul_f32 v13, v2, v13
	v_add_f32_e32 v55, v55, v72
	ds_load_b128 v[74:77], v63 offset:4256
	v_dual_add_f32 v72, v4, v6 :: v_dual_fma_f32 v4, v2, v12, -v64
	v_mul_f32_e32 v6, v3, v15
	v_fmac_f32_e32 v68, v7, v14
	v_fmac_f32_e32 v13, v3, v12
	s_delay_alu instid0(VALU_DEP_3) | instskip(NEXT) | instid1(VALU_DEP_3)
	v_dual_add_f32 v64, v5, v4 :: v_dual_fma_f32 v12, v2, v14, -v6
	v_add_f32_e32 v62, v62, v68
	s_wait_dscnt 0x1
	v_dual_mul_f32 v2, v2, v15 :: v_dual_mul_f32 v15, v9, v17
	v_add_f32_e32 v68, v70, v13
	v_mul_f32_e32 v70, v8, v17
	s_delay_alu instid0(VALU_DEP_3) | instskip(NEXT) | instid1(VALU_DEP_4)
	v_dual_add_f32 v78, v0, v12 :: v_dual_fmac_f32 v2, v3, v14
	v_fma_f32 v0, v8, v16, -v15
	ds_load_2addr_b64 v[12:15], v71 offset0:160 offset1:176
	v_mul_f32_e32 v3, v9, v19
	ds_load_b128 v[4:7], v63 offset:176
	v_dual_fmac_f32 v70, v9, v16 :: v_dual_mul_f32 v80, v8, v19
	v_dual_add_f32 v66, v66, v2 :: v_dual_add_f32 v79, v1, v0
	v_fma_f32 v8, v8, v18, -v3
	s_delay_alu instid0(VALU_DEP_3) | instskip(SKIP_2) | instid1(VALU_DEP_3)
	v_add_f32_e32 v55, v55, v70
	s_wait_dscnt 0x2
	v_dual_mul_f32 v70, v75, v17 :: v_dual_fmac_f32 v80, v9, v18
	v_dual_mul_f32 v9, v74, v17 :: v_dual_add_f32 v8, v72, v8
	s_delay_alu instid0(VALU_DEP_2) | instskip(NEXT) | instid1(VALU_DEP_2)
	v_dual_mul_f32 v17, v75, v19 :: v_dual_fma_f32 v70, v74, v16, -v70
	v_dual_mul_f32 v72, v74, v19 :: v_dual_fmac_f32 v9, v75, v16
	s_delay_alu instid0(VALU_DEP_4) | instskip(NEXT) | instid1(VALU_DEP_3)
	v_add_f32_e32 v62, v62, v80
	v_fma_f32 v16, v74, v18, -v17
	s_wait_dscnt 0x1
	v_dual_add_f32 v64, v64, v70 :: v_dual_mul_f32 v17, v11, v13
	v_dual_add_f32 v9, v68, v9 :: v_dual_fmac_f32 v72, v75, v18
	s_delay_alu instid0(VALU_DEP_3) | instskip(NEXT) | instid1(VALU_DEP_3)
	v_add_f32_e32 v68, v78, v16
	v_dual_mul_f32 v70, v10, v13 :: v_dual_fma_f32 v74, v10, v12, -v17
	ds_load_2addr_b64 v[16:19], v71 offset0:192 offset1:208
	v_dual_mul_f32 v75, v11, v15 :: v_dual_add_f32 v66, v66, v72
	v_fmac_f32_e32 v70, v11, v12
	v_dual_add_f32 v72, v79, v74 :: v_dual_mul_f32 v74, v10, v15
	s_delay_alu instid0(VALU_DEP_3)
	v_dual_fma_f32 v10, v10, v14, -v75 :: v_dual_mul_f32 v75, v77, v13
	v_mul_f32_e32 v13, v76, v13
	ds_load_b128 v[0:3], v63 offset:4272
	v_fmac_f32_e32 v74, v11, v14
	v_add_f32_e32 v55, v55, v70
	v_dual_add_f32 v8, v8, v10 :: v_dual_mul_f32 v11, v77, v15
	v_dual_fma_f32 v10, v76, v12, -v75 :: v_dual_fmac_f32 v13, v77, v12
	s_delay_alu instid0(VALU_DEP_4) | instskip(NEXT) | instid1(VALU_DEP_3)
	v_dual_add_f32 v62, v62, v74 :: v_dual_mul_f32 v70, v76, v15
	v_fma_f32 v11, v76, v14, -v11
	s_delay_alu instid0(VALU_DEP_3)
	v_dual_add_f32 v10, v64, v10 :: v_dual_add_f32 v9, v9, v13
	s_wait_dscnt 0x1
	v_mul_f32_e32 v64, v5, v17
	v_dual_fmac_f32 v70, v77, v14 :: v_dual_mul_f32 v74, v4, v17
	ds_load_2addr_b64 v[12:15], v71 offset0:224 offset1:240
	v_add_f32_e32 v11, v68, v11
	v_dual_fma_f32 v64, v4, v16, -v64 :: v_dual_mul_f32 v68, v5, v19
	v_dual_mul_f32 v75, v4, v19 :: v_dual_add_f32 v66, v66, v70
	v_fmac_f32_e32 v74, v5, v16
	s_delay_alu instid0(VALU_DEP_3) | instskip(NEXT) | instid1(VALU_DEP_3)
	v_add_f32_e32 v64, v72, v64
	v_dual_fma_f32 v4, v4, v18, -v68 :: v_dual_fmac_f32 v75, v5, v18
	s_wait_dscnt 0x1
	v_dual_mul_f32 v5, v1, v17 :: v_dual_mul_f32 v17, v0, v17
	v_mul_f32_e32 v68, v0, v19
	s_delay_alu instid0(VALU_DEP_3) | instskip(NEXT) | instid1(VALU_DEP_3)
	v_dual_add_f32 v4, v8, v4 :: v_dual_mul_f32 v8, v1, v19
	v_dual_add_f32 v62, v62, v75 :: v_dual_fma_f32 v5, v0, v16, -v5
	s_delay_alu instid0(VALU_DEP_3) | instskip(SKIP_1) | instid1(VALU_DEP_3)
	v_dual_fmac_f32 v17, v1, v16 :: v_dual_fmac_f32 v68, v1, v18
	s_wait_dscnt 0x0
	v_dual_fma_f32 v0, v0, v18, -v8 :: v_dual_mul_f32 v8, v7, v13
	s_delay_alu instid0(VALU_DEP_3) | instskip(NEXT) | instid1(VALU_DEP_3)
	v_add_f32_e32 v5, v10, v5
	v_dual_add_f32 v70, v9, v17 :: v_dual_add_f32 v55, v55, v74
	s_delay_alu instid0(VALU_DEP_3) | instskip(NEXT) | instid1(VALU_DEP_4)
	v_add_f32_e32 v0, v11, v0
	v_dual_fma_f32 v1, v6, v12, -v8 :: v_dual_mul_f32 v72, v6, v13
	ds_load_b128 v[8:11], v63 offset:192
	ds_load_2addr_b64 v[16:19], v73 offset1:16
	v_dual_mul_f32 v74, v7, v15 :: v_dual_add_f32 v66, v66, v68
	v_dual_mul_f32 v68, v6, v15 :: v_dual_fmac_f32 v72, v7, v12
	s_delay_alu instid0(VALU_DEP_2) | instskip(SKIP_1) | instid1(VALU_DEP_3)
	v_dual_add_f32 v1, v64, v1 :: v_dual_fma_f32 v6, v6, v14, -v74
	v_dual_mul_f32 v64, v3, v13 :: v_dual_mul_f32 v13, v2, v13
	v_add_f32_e32 v55, v55, v72
	ds_load_b128 v[74:77], v63 offset:4288
	v_dual_add_f32 v72, v4, v6 :: v_dual_fma_f32 v4, v2, v12, -v64
	v_mul_f32_e32 v6, v3, v15
	v_fmac_f32_e32 v68, v7, v14
	v_fmac_f32_e32 v13, v3, v12
	s_delay_alu instid0(VALU_DEP_3) | instskip(NEXT) | instid1(VALU_DEP_3)
	v_dual_add_f32 v64, v5, v4 :: v_dual_fma_f32 v12, v2, v14, -v6
	v_add_f32_e32 v62, v62, v68
	s_wait_dscnt 0x1
	v_dual_mul_f32 v2, v2, v15 :: v_dual_mul_f32 v15, v9, v17
	v_add_f32_e32 v68, v70, v13
	v_mul_f32_e32 v70, v8, v17
	s_delay_alu instid0(VALU_DEP_3) | instskip(NEXT) | instid1(VALU_DEP_4)
	v_dual_add_f32 v78, v0, v12 :: v_dual_fmac_f32 v2, v3, v14
	v_fma_f32 v0, v8, v16, -v15
	ds_load_2addr_b64 v[12:15], v73 offset0:32 offset1:48
	v_mul_f32_e32 v3, v9, v19
	ds_load_b128 v[4:7], v63 offset:208
	v_dual_fmac_f32 v70, v9, v16 :: v_dual_mul_f32 v80, v8, v19
	v_dual_add_f32 v66, v66, v2 :: v_dual_add_f32 v79, v1, v0
	v_fma_f32 v8, v8, v18, -v3
	s_delay_alu instid0(VALU_DEP_3) | instskip(SKIP_2) | instid1(VALU_DEP_3)
	v_add_f32_e32 v55, v55, v70
	s_wait_dscnt 0x2
	v_dual_mul_f32 v70, v75, v17 :: v_dual_fmac_f32 v80, v9, v18
	v_dual_mul_f32 v9, v74, v17 :: v_dual_add_f32 v8, v72, v8
	s_delay_alu instid0(VALU_DEP_2) | instskip(NEXT) | instid1(VALU_DEP_2)
	v_dual_mul_f32 v17, v75, v19 :: v_dual_fma_f32 v70, v74, v16, -v70
	v_dual_mul_f32 v72, v74, v19 :: v_dual_fmac_f32 v9, v75, v16
	s_delay_alu instid0(VALU_DEP_4) | instskip(NEXT) | instid1(VALU_DEP_3)
	v_add_f32_e32 v62, v62, v80
	v_fma_f32 v16, v74, v18, -v17
	s_wait_dscnt 0x1
	v_dual_add_f32 v64, v64, v70 :: v_dual_mul_f32 v17, v11, v13
	v_dual_add_f32 v9, v68, v9 :: v_dual_fmac_f32 v72, v75, v18
	s_delay_alu instid0(VALU_DEP_3) | instskip(NEXT) | instid1(VALU_DEP_3)
	v_add_f32_e32 v68, v78, v16
	v_dual_mul_f32 v70, v10, v13 :: v_dual_fma_f32 v74, v10, v12, -v17
	ds_load_2addr_b64 v[16:19], v73 offset0:64 offset1:80
	v_dual_mul_f32 v75, v11, v15 :: v_dual_add_f32 v66, v66, v72
	v_fmac_f32_e32 v70, v11, v12
	v_dual_add_f32 v72, v79, v74 :: v_dual_mul_f32 v74, v10, v15
	s_delay_alu instid0(VALU_DEP_3)
	v_dual_fma_f32 v10, v10, v14, -v75 :: v_dual_mul_f32 v75, v77, v13
	v_mul_f32_e32 v13, v76, v13
	ds_load_b128 v[0:3], v63 offset:4304
	v_fmac_f32_e32 v74, v11, v14
	v_add_f32_e32 v55, v55, v70
	v_dual_add_f32 v8, v8, v10 :: v_dual_mul_f32 v11, v77, v15
	v_dual_fma_f32 v10, v76, v12, -v75 :: v_dual_fmac_f32 v13, v77, v12
	s_delay_alu instid0(VALU_DEP_4) | instskip(NEXT) | instid1(VALU_DEP_3)
	v_dual_add_f32 v62, v62, v74 :: v_dual_mul_f32 v70, v76, v15
	v_fma_f32 v11, v76, v14, -v11
	s_delay_alu instid0(VALU_DEP_3)
	v_dual_add_f32 v10, v64, v10 :: v_dual_add_f32 v9, v9, v13
	s_wait_dscnt 0x1
	v_mul_f32_e32 v64, v5, v17
	v_dual_fmac_f32 v70, v77, v14 :: v_dual_mul_f32 v74, v4, v17
	ds_load_2addr_b64 v[12:15], v73 offset0:96 offset1:112
	v_add_f32_e32 v11, v68, v11
	v_dual_fma_f32 v64, v4, v16, -v64 :: v_dual_mul_f32 v68, v5, v19
	v_dual_mul_f32 v75, v4, v19 :: v_dual_add_f32 v66, v66, v70
	v_fmac_f32_e32 v74, v5, v16
	s_delay_alu instid0(VALU_DEP_3) | instskip(NEXT) | instid1(VALU_DEP_3)
	v_add_f32_e32 v64, v72, v64
	v_dual_fma_f32 v4, v4, v18, -v68 :: v_dual_fmac_f32 v75, v5, v18
	s_wait_dscnt 0x1
	v_dual_mul_f32 v5, v1, v17 :: v_dual_mul_f32 v17, v0, v17
	v_mul_f32_e32 v68, v0, v19
	s_delay_alu instid0(VALU_DEP_3) | instskip(NEXT) | instid1(VALU_DEP_3)
	v_dual_add_f32 v4, v8, v4 :: v_dual_mul_f32 v8, v1, v19
	v_dual_add_f32 v62, v62, v75 :: v_dual_fma_f32 v5, v0, v16, -v5
	s_delay_alu instid0(VALU_DEP_3) | instskip(SKIP_1) | instid1(VALU_DEP_3)
	v_dual_fmac_f32 v17, v1, v16 :: v_dual_fmac_f32 v68, v1, v18
	s_wait_dscnt 0x0
	v_dual_fma_f32 v0, v0, v18, -v8 :: v_dual_mul_f32 v8, v7, v13
	s_delay_alu instid0(VALU_DEP_3) | instskip(NEXT) | instid1(VALU_DEP_3)
	v_add_f32_e32 v5, v10, v5
	v_dual_add_f32 v70, v9, v17 :: v_dual_add_f32 v55, v55, v74
	s_delay_alu instid0(VALU_DEP_3) | instskip(NEXT) | instid1(VALU_DEP_4)
	v_add_f32_e32 v0, v11, v0
	v_dual_fma_f32 v1, v6, v12, -v8 :: v_dual_mul_f32 v72, v6, v13
	ds_load_b128 v[8:11], v63 offset:224
	ds_load_2addr_b64 v[16:19], v73 offset0:128 offset1:144
	v_dual_mul_f32 v74, v7, v15 :: v_dual_add_f32 v66, v66, v68
	v_dual_mul_f32 v68, v6, v15 :: v_dual_fmac_f32 v72, v7, v12
	s_delay_alu instid0(VALU_DEP_2) | instskip(SKIP_1) | instid1(VALU_DEP_3)
	v_dual_add_f32 v64, v64, v1 :: v_dual_fma_f32 v6, v6, v14, -v74
	v_mul_f32_e32 v1, v3, v13
	v_dual_fmac_f32 v68, v7, v14 :: v_dual_mul_f32 v13, v2, v13
	s_delay_alu instid0(VALU_DEP_3) | instskip(NEXT) | instid1(VALU_DEP_3)
	v_dual_add_f32 v55, v55, v72 :: v_dual_add_f32 v72, v4, v6
	v_dual_fma_f32 v1, v2, v12, -v1 :: v_dual_mul_f32 v4, v3, v15
	ds_load_b128 v[74:77], v63 offset:4320
	v_add_f32_e32 v62, v62, v68
	v_dual_fmac_f32 v13, v3, v12 :: v_dual_mul_f32 v12, v2, v15
	v_dual_add_f32 v68, v5, v1 :: v_dual_fma_f32 v1, v2, v14, -v4
	s_wait_dscnt 0x1
	v_dual_mul_f32 v79, v8, v17 :: v_dual_mul_f32 v2, v9, v17
	s_delay_alu instid0(VALU_DEP_3) | instskip(NEXT) | instid1(VALU_DEP_3)
	v_dual_add_f32 v70, v70, v13 :: v_dual_fmac_f32 v12, v3, v14
	v_dual_add_f32 v78, v0, v1 :: v_dual_mul_f32 v14, v9, v19
	s_delay_alu instid0(VALU_DEP_3)
	v_dual_fma_f32 v13, v8, v16, -v2 :: v_dual_fmac_f32 v79, v9, v16
	ds_load_2addr_b64 v[0:3], v73 offset0:160 offset1:176
	ds_load_b128 v[4:7], v63 offset:240
	v_dual_mul_f32 v80, v8, v19 :: v_dual_fma_f32 v8, v8, v18, -v14
	v_dual_add_f32 v55, v55, v79 :: v_dual_add_f32 v66, v66, v12
	v_add_f32_e32 v64, v64, v13
	s_wait_dscnt 0x2
	s_delay_alu instid0(VALU_DEP_3) | instskip(SKIP_1) | instid1(VALU_DEP_2)
	v_dual_mul_f32 v81, v75, v17 :: v_dual_fmac_f32 v80, v9, v18
	v_dual_mul_f32 v9, v74, v17 :: v_dual_add_f32 v8, v72, v8
	v_dual_mul_f32 v72, v75, v19 :: v_dual_fma_f32 v17, v74, v16, -v81
	v_mul_f32_e32 v79, v74, v19
	s_delay_alu instid0(VALU_DEP_4) | instskip(NEXT) | instid1(VALU_DEP_3)
	v_add_f32_e32 v62, v62, v80
	v_dual_fmac_f32 v9, v75, v16 :: v_dual_fma_f32 v16, v74, v18, -v72
	s_delay_alu instid0(VALU_DEP_3)
	v_dual_add_f32 v68, v68, v17 :: v_dual_fmac_f32 v79, v75, v18
	ds_load_b128 v[12:15], v63 offset:4336
	s_wait_dscnt 0x2
	v_mul_f32_e32 v17, v11, v1
	v_add_f32_e32 v9, v70, v9
	v_mul_f32_e32 v70, v10, v1
	v_dual_add_f32 v72, v78, v16 :: v_dual_mul_f32 v75, v11, v3
	s_delay_alu instid0(VALU_DEP_4) | instskip(SKIP_4) | instid1(VALU_DEP_3)
	v_fma_f32 v74, v10, v0, -v17
	ds_load_2addr_b64 v[16:19], v73 offset0:192 offset1:208
	v_dual_fmac_f32 v70, v11, v0 :: v_dual_add_f32 v66, v66, v79
	v_dual_add_f32 v64, v64, v74 :: v_dual_mul_f32 v74, v10, v3
	v_fma_f32 v10, v10, v2, -v75
	v_dual_add_f32 v55, v55, v70 :: v_dual_mul_f32 v70, v77, v1
	s_delay_alu instid0(VALU_DEP_3) | instskip(NEXT) | instid1(VALU_DEP_3)
	v_dual_mul_f32 v1, v76, v1 :: v_dual_fmac_f32 v74, v11, v2
	v_dual_add_f32 v8, v8, v10 :: v_dual_mul_f32 v10, v77, v3
	s_delay_alu instid0(VALU_DEP_2) | instskip(NEXT) | instid1(VALU_DEP_3)
	v_dual_fma_f32 v11, v76, v0, -v70 :: v_dual_fmac_f32 v1, v77, v0
	v_dual_add_f32 v62, v62, v74 :: v_dual_mul_f32 v70, v76, v3
	s_delay_alu instid0(VALU_DEP_3) | instskip(NEXT) | instid1(VALU_DEP_3)
	v_fma_f32 v0, v76, v2, -v10
	v_dual_add_f32 v10, v68, v11 :: v_dual_add_f32 v9, v9, v1
	s_wait_dscnt 0x0
	v_mul_f32_e32 v11, v5, v17
	s_delay_alu instid0(VALU_DEP_3) | instskip(SKIP_3) | instid1(VALU_DEP_2)
	v_dual_fmac_f32 v70, v77, v2 :: v_dual_add_f32 v68, v72, v0
	ds_load_2addr_b64 v[0:3], v73 offset0:224 offset1:240
	v_dual_mul_f32 v72, v4, v17 :: v_dual_fma_f32 v11, v4, v16, -v11
	v_dual_add_f32 v66, v66, v70 :: v_dual_mul_f32 v70, v5, v19
	v_dual_mul_f32 v74, v4, v19 :: v_dual_fmac_f32 v72, v5, v16
	s_delay_alu instid0(VALU_DEP_3) | instskip(NEXT) | instid1(VALU_DEP_3)
	v_dual_add_f32 v11, v64, v11 :: v_dual_mul_f32 v64, v13, v17
	v_fma_f32 v4, v4, v18, -v70
	s_delay_alu instid0(VALU_DEP_3) | instskip(NEXT) | instid1(VALU_DEP_4)
	v_dual_fmac_f32 v74, v5, v18 :: v_dual_mul_f32 v5, v12, v17
	v_add_f32_e32 v55, v55, v72
	s_delay_alu instid0(VALU_DEP_4) | instskip(NEXT) | instid1(VALU_DEP_3)
	v_fma_f32 v17, v12, v16, -v64
	v_dual_add_f32 v4, v8, v4 :: v_dual_add_f32 v62, v62, v74
	s_delay_alu instid0(VALU_DEP_4) | instskip(NEXT) | instid1(VALU_DEP_3)
	v_dual_mul_f32 v8, v13, v19 :: v_dual_fmac_f32 v5, v13, v16
	v_dual_add_f32 v10, v10, v17 :: v_dual_mul_f32 v16, v12, v19
	s_wait_dscnt 0x0
	s_delay_alu instid0(VALU_DEP_2) | instskip(SKIP_2) | instid1(VALU_DEP_3)
	v_dual_mul_f32 v17, v6, v1 :: v_dual_fma_f32 v8, v12, v18, -v8
	v_mul_f32_e32 v12, v7, v1
	v_add_f32_e32 v5, v9, v5
	v_dual_fmac_f32 v16, v13, v18 :: v_dual_fmac_f32 v17, v7, v0
	s_delay_alu instid0(VALU_DEP_4) | instskip(NEXT) | instid1(VALU_DEP_4)
	v_add_f32_e32 v8, v68, v8
	v_dual_fma_f32 v9, v6, v0, -v12 :: v_dual_mul_f32 v12, v7, v3
	v_mul_f32_e32 v13, v6, v3
	s_delay_alu instid0(VALU_DEP_4) | instskip(NEXT) | instid1(VALU_DEP_3)
	v_dual_add_f32 v16, v66, v16 :: v_dual_add_f32 v72, v55, v17
	v_dual_add_f32 v70, v11, v9 :: v_dual_fma_f32 v6, v6, v2, -v12
	s_delay_alu instid0(VALU_DEP_3) | instskip(SKIP_2) | instid1(VALU_DEP_2)
	v_fmac_f32_e32 v13, v7, v2
	v_dual_mul_f32 v7, v15, v1 :: v_dual_mul_f32 v1, v14, v1
	v_dual_mul_f32 v9, v15, v3 :: v_dual_mul_f32 v3, v14, v3
	v_dual_add_f32 v66, v4, v6 :: v_dual_fma_f32 v4, v14, v0, -v7
	s_delay_alu instid0(VALU_DEP_3) | instskip(NEXT) | instid1(VALU_DEP_3)
	v_fmac_f32_e32 v1, v15, v0
	v_dual_fmac_f32 v3, v15, v2 :: v_dual_fma_f32 v0, v14, v2, -v9
	s_barrier_signal -1
	s_delay_alu instid0(VALU_DEP_2) | instskip(SKIP_1) | instid1(VALU_DEP_3)
	v_add_f32_e32 v64, v5, v1
	v_add_f32_e32 v68, v62, v13
	v_dual_add_f32 v62, v10, v4 :: v_dual_add_f32 v16, v16, v3
	v_add_f32_e32 v18, v8, v0
	s_barrier_wait -1
	s_cbranch_scc1 .LBB83_54
.LBB83_10:                              ;   Parent Loop BB83_4 Depth=1
                                        ;     Parent Loop BB83_7 Depth=2
                                        ; =>    This Inner Loop Header: Depth=3
	v_add_nc_u64_e32 v[2:3], s[46:47], v[24:25]
	v_cmp_eq_u64_e64 s7, s[46:47], v[36:37]
	v_add_nc_u64_e32 v[0:1], s[28:29], v[52:53]
	s_delay_alu instid0(VALU_DEP_3) | instskip(SKIP_3) | instid1(SALU_CYCLE_1)
	v_cmp_le_i64_e64 s6, s[42:43], v[2:3]
	v_cmp_gt_i64_e64 s5, v[2:3], v[22:23]
	s_and_b32 s56, s52, s7
	s_or_b32 s7, s6, s5
	s_or_b32 s7, s7, s56
	s_delay_alu instid0(SALU_CYCLE_1) | instskip(NEXT) | instid1(SALU_CYCLE_1)
	s_nor_b32 s7, s0, s7
	s_and_saveexec_b32 s8, s7
	s_delay_alu instid0(SALU_CYCLE_1)
	s_xor_b32 s7, exec_lo, s8
	s_cbranch_execz .LBB83_12
; %bb.11:                               ;   in Loop: Header=BB83_10 Depth=3
	global_load_b64 v[4:5], v[0:1], off
	s_wait_loadcnt 0x0
	v_xor_b32_e32 v5, 0x80000000, v5
	ds_store_b64 v65, v[4:5]
.LBB83_12:                              ;   in Loop: Header=BB83_10 Depth=3
	s_wait_xcnt 0x0
	s_or_saveexec_b32 s7, s7
	s_xor_b32 s55, s56, -1
	s_xor_b32 exec_lo, exec_lo, s7
	s_cbranch_execz .LBB83_18
; %bb.13:                               ;   in Loop: Header=BB83_10 Depth=3
	s_and_saveexec_b32 s8, s55
	s_delay_alu instid0(SALU_CYCLE_1)
	s_xor_b32 s8, exec_lo, s8
; %bb.14:                               ;   in Loop: Header=BB83_10 Depth=3
	ds_store_b64 v65, v[26:27]
; %bb.15:                               ;   in Loop: Header=BB83_10 Depth=3
	s_and_not1_saveexec_b32 s8, s8
; %bb.16:                               ;   in Loop: Header=BB83_10 Depth=3
	ds_store_b64 v65, v[28:29]
; %bb.17:                               ;   in Loop: Header=BB83_10 Depth=3
	s_or_b32 exec_lo, exec_lo, s8
.LBB83_18:                              ;   in Loop: Header=BB83_10 Depth=3
	s_delay_alu instid0(SALU_CYCLE_1)
	s_or_b32 exec_lo, exec_lo, s7
	v_cmp_eq_u64_e64 s7, s[46:47], v[40:41]
	v_cmp_lt_i64_e64 s8, v[34:35], v[2:3]
	v_add_nc_u64_e32 v[4:5], s[28:29], v[50:51]
	s_and_b32 s7, s52, s7
	s_or_b32 s6, s6, s8
	s_delay_alu instid0(SALU_CYCLE_1) | instskip(NEXT) | instid1(SALU_CYCLE_1)
	s_or_b32 s6, s6, s7
	s_nor_b32 s6, s3, s6
	s_delay_alu instid0(SALU_CYCLE_1) | instskip(NEXT) | instid1(SALU_CYCLE_1)
	s_and_saveexec_b32 s8, s6
	s_xor_b32 s6, exec_lo, s8
	s_cbranch_execz .LBB83_20
; %bb.19:                               ;   in Loop: Header=BB83_10 Depth=3
	global_load_b64 v[6:7], v[4:5], off
	s_wait_loadcnt 0x0
	v_xor_b32_e32 v7, 0x80000000, v7
	ds_store_b64 v65, v[6:7] offset:128
.LBB83_20:                              ;   in Loop: Header=BB83_10 Depth=3
	s_wait_xcnt 0x0
	s_and_not1_saveexec_b32 s6, s6
	s_cbranch_execz .LBB83_26
; %bb.21:                               ;   in Loop: Header=BB83_10 Depth=3
	s_xor_b32 s7, s7, -1
	s_delay_alu instid0(SALU_CYCLE_1) | instskip(NEXT) | instid1(SALU_CYCLE_1)
	s_and_saveexec_b32 s8, s7
	s_xor_b32 s7, exec_lo, s8
; %bb.22:                               ;   in Loop: Header=BB83_10 Depth=3
	ds_store_b64 v65, v[26:27] offset:128
; %bb.23:                               ;   in Loop: Header=BB83_10 Depth=3
	s_and_not1_saveexec_b32 s7, s7
; %bb.24:                               ;   in Loop: Header=BB83_10 Depth=3
	ds_store_b64 v65, v[28:29] offset:128
; %bb.25:                               ;   in Loop: Header=BB83_10 Depth=3
	s_or_b32 exec_lo, exec_lo, s7
.LBB83_26:                              ;   in Loop: Header=BB83_10 Depth=3
	s_delay_alu instid0(SALU_CYCLE_1) | instskip(SKIP_2) | instid1(VALU_DEP_2)
	s_or_b32 exec_lo, exec_lo, s6
	v_add_nc_u64_e32 v[2:3], 16, v[2:3]
	v_cmp_eq_u64_e64 s7, s[46:47], v[42:43]
	v_cmp_le_i64_e64 s6, s[42:43], v[2:3]
	v_cmp_gt_i64_e64 s8, v[2:3], v[22:23]
	s_and_b32 s57, s52, s7
	s_or_b32 s7, s6, s8
	s_delay_alu instid0(SALU_CYCLE_1) | instskip(NEXT) | instid1(SALU_CYCLE_1)
	s_or_b32 s7, s7, s57
	s_nor_b32 s7, s0, s7
	s_delay_alu instid0(SALU_CYCLE_1) | instskip(NEXT) | instid1(SALU_CYCLE_1)
	s_and_saveexec_b32 s8, s7
	s_xor_b32 s7, exec_lo, s8
	s_cbranch_execz .LBB83_28
; %bb.27:                               ;   in Loop: Header=BB83_10 Depth=3
	global_load_b64 v[0:1], v[0:1], off offset:128
	s_wait_loadcnt 0x0
	s_wait_xcnt 0x0
	v_xor_b32_e32 v1, 0x80000000, v1
	ds_store_b64 v65, v[0:1] offset:4096
.LBB83_28:                              ;   in Loop: Header=BB83_10 Depth=3
	s_and_not1_saveexec_b32 s7, s7
	s_cbranch_execz .LBB83_34
; %bb.29:                               ;   in Loop: Header=BB83_10 Depth=3
	s_xor_b32 s8, s57, -1
	s_delay_alu instid0(SALU_CYCLE_1) | instskip(NEXT) | instid1(SALU_CYCLE_1)
	s_and_saveexec_b32 s57, s8
	s_xor_b32 s8, exec_lo, s57
; %bb.30:                               ;   in Loop: Header=BB83_10 Depth=3
	ds_store_b64 v65, v[26:27] offset:4096
; %bb.31:                               ;   in Loop: Header=BB83_10 Depth=3
	s_and_not1_saveexec_b32 s8, s8
; %bb.32:                               ;   in Loop: Header=BB83_10 Depth=3
	ds_store_b64 v65, v[28:29] offset:4096
; %bb.33:                               ;   in Loop: Header=BB83_10 Depth=3
	s_or_b32 exec_lo, exec_lo, s8
.LBB83_34:                              ;   in Loop: Header=BB83_10 Depth=3
	s_delay_alu instid0(SALU_CYCLE_1) | instskip(SKIP_1) | instid1(SALU_CYCLE_1)
	s_or_b32 exec_lo, exec_lo, s7
	s_or_b32 s5, s6, s5
	s_or_b32 s5, s5, s56
	s_delay_alu instid0(SALU_CYCLE_1) | instskip(NEXT) | instid1(SALU_CYCLE_1)
	s_nor_b32 s5, s3, s5
	s_and_saveexec_b32 s6, s5
	s_delay_alu instid0(SALU_CYCLE_1)
	s_xor_b32 s5, exec_lo, s6
	s_cbranch_execz .LBB83_36
; %bb.35:                               ;   in Loop: Header=BB83_10 Depth=3
	global_load_b64 v[0:1], v[4:5], off offset:128
	s_wait_loadcnt 0x0
	v_xor_b32_e32 v1, 0x80000000, v1
	ds_store_b64 v65, v[0:1] offset:4224
.LBB83_36:                              ;   in Loop: Header=BB83_10 Depth=3
	s_wait_xcnt 0x0
	s_and_not1_saveexec_b32 s5, s5
	s_cbranch_execz .LBB83_42
; %bb.37:                               ;   in Loop: Header=BB83_10 Depth=3
	s_and_saveexec_b32 s6, s55
	s_delay_alu instid0(SALU_CYCLE_1)
	s_xor_b32 s6, exec_lo, s6
; %bb.38:                               ;   in Loop: Header=BB83_10 Depth=3
	ds_store_b64 v65, v[26:27] offset:4224
; %bb.39:                               ;   in Loop: Header=BB83_10 Depth=3
	s_and_not1_saveexec_b32 s6, s6
; %bb.40:                               ;   in Loop: Header=BB83_10 Depth=3
	ds_store_b64 v65, v[28:29] offset:4224
; %bb.41:                               ;   in Loop: Header=BB83_10 Depth=3
	s_or_b32 exec_lo, exec_lo, s6
.LBB83_42:                              ;   in Loop: Header=BB83_10 Depth=3
	s_delay_alu instid0(SALU_CYCLE_1) | instskip(SKIP_3) | instid1(VALU_DEP_3)
	s_or_b32 exec_lo, exec_lo, s5
	v_add_nc_u64_e32 v[2:3], s[46:47], v[20:21]
	v_add_nc_u64_e32 v[0:1], s[28:29], v[58:59]
	v_dual_mov_b32 v4, 0 :: v_dual_mov_b32 v5, 0
	v_cmp_gt_i64_e64 s5, s[42:43], v[2:3]
	s_and_b32 s7, vcc_lo, s5
	s_delay_alu instid0(SALU_CYCLE_1)
	s_and_saveexec_b32 s6, s7
	s_cbranch_execz .LBB83_44
; %bb.43:                               ;   in Loop: Header=BB83_10 Depth=3
	global_load_b64 v[4:5], v[0:1], off
.LBB83_44:                              ;   in Loop: Header=BB83_10 Depth=3
	s_wait_xcnt 0x0
	s_or_b32 exec_lo, exec_lo, s6
	v_cmp_gt_i64_e64 s6, s[20:21], v[2:3]
	s_wait_loadcnt 0x0
	ds_store_b64 v67, v[4:5]
	s_and_b32 s7, vcc_lo, s6
	s_delay_alu instid0(SALU_CYCLE_1) | instskip(NEXT) | instid1(SALU_CYCLE_1)
	s_xor_b32 s7, s7, -1
	s_and_saveexec_b32 s8, s7
	s_delay_alu instid0(SALU_CYCLE_1)
	s_xor_b32 s7, exec_lo, s8
; %bb.45:                               ;   in Loop: Header=BB83_10 Depth=3
	ds_store_b64 v67, v[26:27] offset:128
                                        ; implicit-def: $vgpr0_vgpr1
; %bb.46:                               ;   in Loop: Header=BB83_10 Depth=3
	s_and_not1_saveexec_b32 s7, s7
	s_cbranch_execz .LBB83_48
; %bb.47:                               ;   in Loop: Header=BB83_10 Depth=3
	global_load_b64 v[0:1], v[0:1], off offset:128
	s_wait_loadcnt 0x0
	ds_store_b64 v67, v[0:1] offset:128
.LBB83_48:                              ;   in Loop: Header=BB83_10 Depth=3
	s_wait_xcnt 0x0
	s_or_b32 exec_lo, exec_lo, s7
	v_add_nc_u64_e32 v[0:1], s[28:29], v[60:61]
	v_dual_mov_b32 v2, 0 :: v_dual_mov_b32 v3, 0
	s_and_b32 s7, s4, s5
	s_delay_alu instid0(SALU_CYCLE_1)
	s_and_saveexec_b32 s5, s7
	s_cbranch_execz .LBB83_50
; %bb.49:                               ;   in Loop: Header=BB83_10 Depth=3
	global_load_b64 v[2:3], v[0:1], off
.LBB83_50:                              ;   in Loop: Header=BB83_10 Depth=3
	s_wait_xcnt 0x0
	s_or_b32 exec_lo, exec_lo, s5
	s_and_b32 s5, s4, s6
	s_wait_loadcnt 0x0
	ds_store_b64 v67, v[2:3] offset:4096
	s_xor_b32 s5, s5, -1
	s_delay_alu instid0(SALU_CYCLE_1) | instskip(NEXT) | instid1(SALU_CYCLE_1)
	s_and_saveexec_b32 s6, s5
	s_xor_b32 s5, exec_lo, s6
; %bb.51:                               ;   in Loop: Header=BB83_10 Depth=3
	ds_store_b64 v67, v[26:27] offset:4224
                                        ; implicit-def: $vgpr0_vgpr1
; %bb.52:                               ;   in Loop: Header=BB83_10 Depth=3
	s_and_not1_saveexec_b32 s5, s5
	s_cbranch_execz .LBB83_9
; %bb.53:                               ;   in Loop: Header=BB83_10 Depth=3
	global_load_b64 v[0:1], v[0:1], off offset:128
	s_wait_loadcnt 0x0
	ds_store_b64 v67, v[0:1] offset:4224
	s_branch .LBB83_9
.LBB83_54:                              ;   in Loop: Header=BB83_7 Depth=2
	v_mul_u64_e32 v[0:1], s[24:25], v[56:57]
	v_cmp_gt_i32_e32 vcc_lo, s30, v56
	s_and_b32 s5, s1, vcc_lo
	s_delay_alu instid0(VALU_DEP_2)
	v_lshl_add_u64 v[0:1], v[0:1], 3, s[22:23]
	s_and_saveexec_b32 s4, s5
	s_cbranch_execz .LBB83_56
; %bb.55:                               ;   in Loop: Header=BB83_7 Depth=2
	s_delay_alu instid0(VALU_DEP_1) | instskip(SKIP_4) | instid1(VALU_DEP_1)
	v_lshl_add_u64 v[2:3], v[22:23], 3, v[0:1]
	v_mov_b64_e32 v[6:7], s[40:41]
	v_mov_b64_e32 v[8:9], s[36:37]
	global_load_b64 v[4:5], v[2:3], off
	v_pk_mul_f32 v[6:7], v[72:73], v[6:7] op_sel_hi:[0,1]
	v_pk_fma_f32 v[10:11], v[70:71], v[8:9], v[6:7] op_sel_hi:[0,1,1]
	v_pk_fma_f32 v[6:7], v[70:71], v[8:9], v[6:7] neg_lo:[0,0,1] neg_hi:[0,0,1]
	s_delay_alu instid0(VALU_DEP_2) | instskip(SKIP_1) | instid1(VALU_DEP_1)
	v_mov_b32_e32 v7, v11
	s_wait_loadcnt 0x0
	v_pk_add_f32 v[4:5], v[4:5], v[6:7]
	global_store_b64 v[2:3], v[4:5], off
.LBB83_56:                              ;   in Loop: Header=BB83_7 Depth=2
	s_wait_xcnt 0x0
	s_or_b32 exec_lo, exec_lo, s4
	s_and_b32 s5, s2, vcc_lo
	s_delay_alu instid0(SALU_CYCLE_1)
	s_and_saveexec_b32 s4, s5
	s_cbranch_execz .LBB83_58
; %bb.57:                               ;   in Loop: Header=BB83_7 Depth=2
	v_lshl_add_u64 v[0:1], v[32:33], 3, v[0:1]
	v_mov_b64_e32 v[4:5], s[40:41]
	v_mov_b64_e32 v[6:7], s[36:37]
	global_load_b64 v[2:3], v[0:1], off
	v_pk_mul_f32 v[4:5], v[68:69], v[4:5] op_sel_hi:[0,1]
	s_delay_alu instid0(VALU_DEP_1) | instskip(SKIP_1) | instid1(VALU_DEP_2)
	v_pk_fma_f32 v[8:9], v[66:67], v[6:7], v[4:5] op_sel_hi:[0,1,1]
	v_pk_fma_f32 v[4:5], v[66:67], v[6:7], v[4:5] neg_lo:[0,0,1] neg_hi:[0,0,1]
	v_mov_b32_e32 v5, v9
	s_wait_loadcnt 0x0
	s_delay_alu instid0(VALU_DEP_1)
	v_pk_add_f32 v[2:3], v[2:3], v[4:5]
	global_store_b64 v[0:1], v[2:3], off
.LBB83_58:                              ;   in Loop: Header=BB83_7 Depth=2
	s_wait_xcnt 0x0
	s_or_b32 exec_lo, exec_lo, s4
	v_add_nc_u32_e32 v0, 16, v56
	s_delay_alu instid0(VALU_DEP_1) | instskip(SKIP_1) | instid1(VALU_DEP_2)
	v_ashrrev_i32_e32 v1, 31, v0
	v_cmp_gt_i32_e32 vcc_lo, s30, v0
	v_mul_u64_e32 v[2:3], s[24:25], v[0:1]
	s_and_b32 s5, s1, vcc_lo
	s_delay_alu instid0(VALU_DEP_1)
	v_lshl_add_u64 v[0:1], v[2:3], 3, s[22:23]
	s_and_saveexec_b32 s4, s5
	s_cbranch_execz .LBB83_60
; %bb.59:                               ;   in Loop: Header=BB83_7 Depth=2
	s_delay_alu instid0(VALU_DEP_1) | instskip(SKIP_4) | instid1(VALU_DEP_1)
	v_lshl_add_u64 v[2:3], v[22:23], 3, v[0:1]
	v_mov_b64_e32 v[6:7], s[40:41]
	v_mov_b64_e32 v[8:9], s[36:37]
	global_load_b64 v[4:5], v[2:3], off
	v_pk_mul_f32 v[6:7], v[64:65], v[6:7] op_sel_hi:[0,1]
	v_pk_fma_f32 v[10:11], v[62:63], v[8:9], v[6:7] op_sel_hi:[0,1,1]
	v_pk_fma_f32 v[6:7], v[62:63], v[8:9], v[6:7] neg_lo:[0,0,1] neg_hi:[0,0,1]
	s_delay_alu instid0(VALU_DEP_2) | instskip(SKIP_1) | instid1(VALU_DEP_1)
	v_mov_b32_e32 v7, v11
	s_wait_loadcnt 0x0
	v_pk_add_f32 v[4:5], v[4:5], v[6:7]
	global_store_b64 v[2:3], v[4:5], off
.LBB83_60:                              ;   in Loop: Header=BB83_7 Depth=2
	s_wait_xcnt 0x0
	s_or_b32 exec_lo, exec_lo, s4
	s_and_b32 s5, s2, vcc_lo
	s_delay_alu instid0(SALU_CYCLE_1)
	s_and_saveexec_b32 s4, s5
	s_cbranch_execz .LBB83_6
; %bb.61:                               ;   in Loop: Header=BB83_7 Depth=2
	v_lshl_add_u64 v[0:1], v[32:33], 3, v[0:1]
	v_mov_b64_e32 v[4:5], s[40:41]
	v_mov_b64_e32 v[6:7], s[36:37]
	global_load_b64 v[2:3], v[0:1], off
	v_pk_mul_f32 v[4:5], v[16:17], v[4:5] op_sel_hi:[0,1]
	s_delay_alu instid0(VALU_DEP_1) | instskip(SKIP_1) | instid1(VALU_DEP_2)
	v_pk_fma_f32 v[8:9], v[18:19], v[6:7], v[4:5] op_sel_hi:[0,1,1]
	v_pk_fma_f32 v[4:5], v[18:19], v[6:7], v[4:5] neg_lo:[0,0,1] neg_hi:[0,0,1]
	v_mov_b32_e32 v5, v9
	s_wait_loadcnt 0x0
	s_delay_alu instid0(VALU_DEP_1)
	v_pk_add_f32 v[2:3], v[2:3], v[4:5]
	global_store_b64 v[0:1], v[2:3], off
	s_branch .LBB83_6
.LBB83_62:
	s_sendmsg sendmsg(MSG_DEALLOC_VGPRS)
	s_endpgm
	.section	.rodata,"a",@progbits
	.p2align	6, 0x0
	.amdhsa_kernel _ZL30rocblas_trmm_outofplace_kernelI19rocblas_complex_numIfELi32ELi2ELb1ELb1ELb1ELb1ES1_KS1_S1_Ev17rocblas_diagonal_iiT6_lPT7_lllS6_lllPT8_llli
		.amdhsa_group_segment_fixed_size 16384
		.amdhsa_private_segment_fixed_size 0
		.amdhsa_kernarg_size 392
		.amdhsa_user_sgpr_count 2
		.amdhsa_user_sgpr_dispatch_ptr 0
		.amdhsa_user_sgpr_queue_ptr 0
		.amdhsa_user_sgpr_kernarg_segment_ptr 1
		.amdhsa_user_sgpr_dispatch_id 0
		.amdhsa_user_sgpr_kernarg_preload_length 0
		.amdhsa_user_sgpr_kernarg_preload_offset 0
		.amdhsa_user_sgpr_private_segment_size 0
		.amdhsa_wavefront_size32 1
		.amdhsa_uses_dynamic_stack 0
		.amdhsa_enable_private_segment 0
		.amdhsa_system_sgpr_workgroup_id_x 1
		.amdhsa_system_sgpr_workgroup_id_y 1
		.amdhsa_system_sgpr_workgroup_id_z 1
		.amdhsa_system_sgpr_workgroup_info 0
		.amdhsa_system_vgpr_workitem_id 1
		.amdhsa_next_free_vgpr 94
		.amdhsa_next_free_sgpr 58
		.amdhsa_named_barrier_count 0
		.amdhsa_reserve_vcc 1
		.amdhsa_float_round_mode_32 0
		.amdhsa_float_round_mode_16_64 0
		.amdhsa_float_denorm_mode_32 3
		.amdhsa_float_denorm_mode_16_64 3
		.amdhsa_fp16_overflow 0
		.amdhsa_memory_ordered 1
		.amdhsa_forward_progress 1
		.amdhsa_inst_pref_size 59
		.amdhsa_round_robin_scheduling 0
		.amdhsa_exception_fp_ieee_invalid_op 0
		.amdhsa_exception_fp_denorm_src 0
		.amdhsa_exception_fp_ieee_div_zero 0
		.amdhsa_exception_fp_ieee_overflow 0
		.amdhsa_exception_fp_ieee_underflow 0
		.amdhsa_exception_fp_ieee_inexact 0
		.amdhsa_exception_int_div_zero 0
	.end_amdhsa_kernel
	.section	.text._ZL30rocblas_trmm_outofplace_kernelI19rocblas_complex_numIfELi32ELi2ELb1ELb1ELb1ELb1ES1_KS1_S1_Ev17rocblas_diagonal_iiT6_lPT7_lllS6_lllPT8_llli,"axG",@progbits,_ZL30rocblas_trmm_outofplace_kernelI19rocblas_complex_numIfELi32ELi2ELb1ELb1ELb1ELb1ES1_KS1_S1_Ev17rocblas_diagonal_iiT6_lPT7_lllS6_lllPT8_llli,comdat
.Lfunc_end83:
	.size	_ZL30rocblas_trmm_outofplace_kernelI19rocblas_complex_numIfELi32ELi2ELb1ELb1ELb1ELb1ES1_KS1_S1_Ev17rocblas_diagonal_iiT6_lPT7_lllS6_lllPT8_llli, .Lfunc_end83-_ZL30rocblas_trmm_outofplace_kernelI19rocblas_complex_numIfELi32ELi2ELb1ELb1ELb1ELb1ES1_KS1_S1_Ev17rocblas_diagonal_iiT6_lPT7_lllS6_lllPT8_llli
                                        ; -- End function
	.set _ZL30rocblas_trmm_outofplace_kernelI19rocblas_complex_numIfELi32ELi2ELb1ELb1ELb1ELb1ES1_KS1_S1_Ev17rocblas_diagonal_iiT6_lPT7_lllS6_lllPT8_llli.num_vgpr, 94
	.set _ZL30rocblas_trmm_outofplace_kernelI19rocblas_complex_numIfELi32ELi2ELb1ELb1ELb1ELb1ES1_KS1_S1_Ev17rocblas_diagonal_iiT6_lPT7_lllS6_lllPT8_llli.num_agpr, 0
	.set _ZL30rocblas_trmm_outofplace_kernelI19rocblas_complex_numIfELi32ELi2ELb1ELb1ELb1ELb1ES1_KS1_S1_Ev17rocblas_diagonal_iiT6_lPT7_lllS6_lllPT8_llli.numbered_sgpr, 58
	.set _ZL30rocblas_trmm_outofplace_kernelI19rocblas_complex_numIfELi32ELi2ELb1ELb1ELb1ELb1ES1_KS1_S1_Ev17rocblas_diagonal_iiT6_lPT7_lllS6_lllPT8_llli.num_named_barrier, 0
	.set _ZL30rocblas_trmm_outofplace_kernelI19rocblas_complex_numIfELi32ELi2ELb1ELb1ELb1ELb1ES1_KS1_S1_Ev17rocblas_diagonal_iiT6_lPT7_lllS6_lllPT8_llli.private_seg_size, 0
	.set _ZL30rocblas_trmm_outofplace_kernelI19rocblas_complex_numIfELi32ELi2ELb1ELb1ELb1ELb1ES1_KS1_S1_Ev17rocblas_diagonal_iiT6_lPT7_lllS6_lllPT8_llli.uses_vcc, 1
	.set _ZL30rocblas_trmm_outofplace_kernelI19rocblas_complex_numIfELi32ELi2ELb1ELb1ELb1ELb1ES1_KS1_S1_Ev17rocblas_diagonal_iiT6_lPT7_lllS6_lllPT8_llli.uses_flat_scratch, 0
	.set _ZL30rocblas_trmm_outofplace_kernelI19rocblas_complex_numIfELi32ELi2ELb1ELb1ELb1ELb1ES1_KS1_S1_Ev17rocblas_diagonal_iiT6_lPT7_lllS6_lllPT8_llli.has_dyn_sized_stack, 0
	.set _ZL30rocblas_trmm_outofplace_kernelI19rocblas_complex_numIfELi32ELi2ELb1ELb1ELb1ELb1ES1_KS1_S1_Ev17rocblas_diagonal_iiT6_lPT7_lllS6_lllPT8_llli.has_recursion, 0
	.set _ZL30rocblas_trmm_outofplace_kernelI19rocblas_complex_numIfELi32ELi2ELb1ELb1ELb1ELb1ES1_KS1_S1_Ev17rocblas_diagonal_iiT6_lPT7_lllS6_lllPT8_llli.has_indirect_call, 0
	.section	.AMDGPU.csdata,"",@progbits
; Kernel info:
; codeLenInByte = 7540
; TotalNumSgprs: 60
; NumVgprs: 94
; ScratchSize: 0
; MemoryBound: 0
; FloatMode: 240
; IeeeMode: 1
; LDSByteSize: 16384 bytes/workgroup (compile time only)
; SGPRBlocks: 0
; VGPRBlocks: 5
; NumSGPRsForWavesPerEU: 60
; NumVGPRsForWavesPerEU: 94
; NamedBarCnt: 0
; Occupancy: 10
; WaveLimiterHint : 0
; COMPUTE_PGM_RSRC2:SCRATCH_EN: 0
; COMPUTE_PGM_RSRC2:USER_SGPR: 2
; COMPUTE_PGM_RSRC2:TRAP_HANDLER: 0
; COMPUTE_PGM_RSRC2:TGID_X_EN: 1
; COMPUTE_PGM_RSRC2:TGID_Y_EN: 1
; COMPUTE_PGM_RSRC2:TGID_Z_EN: 1
; COMPUTE_PGM_RSRC2:TIDIG_COMP_CNT: 1
	.section	.text._ZL30rocblas_trmm_outofplace_kernelI19rocblas_complex_numIfELi32ELi2ELb0ELb0ELb0ELb0EPKS1_S2_S1_Ev17rocblas_diagonal_iiT6_lPT7_lllS7_lllPT8_llli,"axG",@progbits,_ZL30rocblas_trmm_outofplace_kernelI19rocblas_complex_numIfELi32ELi2ELb0ELb0ELb0ELb0EPKS1_S2_S1_Ev17rocblas_diagonal_iiT6_lPT7_lllS7_lllPT8_llli,comdat
	.globl	_ZL30rocblas_trmm_outofplace_kernelI19rocblas_complex_numIfELi32ELi2ELb0ELb0ELb0ELb0EPKS1_S2_S1_Ev17rocblas_diagonal_iiT6_lPT7_lllS7_lllPT8_llli ; -- Begin function _ZL30rocblas_trmm_outofplace_kernelI19rocblas_complex_numIfELi32ELi2ELb0ELb0ELb0ELb0EPKS1_S2_S1_Ev17rocblas_diagonal_iiT6_lPT7_lllS7_lllPT8_llli
	.p2align	8
	.type	_ZL30rocblas_trmm_outofplace_kernelI19rocblas_complex_numIfELi32ELi2ELb0ELb0ELb0ELb0EPKS1_S2_S1_Ev17rocblas_diagonal_iiT6_lPT7_lllS7_lllPT8_llli,@function
_ZL30rocblas_trmm_outofplace_kernelI19rocblas_complex_numIfELi32ELi2ELb0ELb0ELb0ELb0EPKS1_S2_S1_Ev17rocblas_diagonal_iiT6_lPT7_lllS7_lllPT8_llli: ; @_ZL30rocblas_trmm_outofplace_kernelI19rocblas_complex_numIfELi32ELi2ELb0ELb0ELb0ELb0EPKS1_S2_S1_Ev17rocblas_diagonal_iiT6_lPT7_lllS7_lllPT8_llli
; %bb.0:
	s_load_b32 s11, s[0:1], 0x80
	s_bfe_u32 s2, ttmp6, 0x40014
	s_lshr_b32 s3, ttmp7, 16
	s_add_co_i32 s2, s2, 1
	s_bfe_u32 s5, ttmp6, 0x40008
	s_mul_i32 s4, s3, s2
	s_getreg_b32 s2, hwreg(HW_REG_IB_STS2, 6, 4)
	s_add_co_i32 s5, s5, s4
	s_cmp_eq_u32 s2, 0
	s_mov_b32 s35, 0
	s_cselect_b32 s34, s3, s5
	s_wait_kmcnt 0x0
	s_cmp_ge_u32 s34, s11
	s_cbranch_scc1 .LBB84_64
; %bb.1:
	s_clause 0x3
	s_load_b96 s[8:10], s[0:1], 0x0
	s_load_b512 s[12:27], s[0:1], 0x10
	s_load_b128 s[28:31], s[0:1], 0x70
	s_load_b256 s[36:43], s[0:1], 0x50
	s_bfe_u32 s4, ttmp6, 0x4000c
	s_bfe_u32 s6, ttmp6, 0x40010
	s_add_co_i32 s4, s4, 1
	s_and_b32 s3, ttmp6, 15
	s_and_b32 s5, ttmp7, 0xffff
	s_add_nc_u64 s[44:45], s[0:1], 0x88
	s_add_co_i32 s6, s6, 1
	s_wait_xcnt 0x0
	s_mul_i32 s0, ttmp9, s4
	s_bfe_u32 s7, ttmp6, 0x40004
	s_mul_i32 s1, s5, s6
	s_add_co_i32 s3, s3, s0
	s_add_co_i32 s7, s7, s1
	v_bfe_u32 v59, v0, 10, 10
	v_and_b32_e32 v2, 0x3ff, v0
	v_mov_b64_e32 v[26:27], 0
	v_mov_b64_e32 v[28:29], 0x3f800000
	s_wait_kmcnt 0x0
	s_add_co_i32 s0, s10, -1
	v_dual_lshlrev_b32 v61, 8, v59 :: v_dual_lshlrev_b32 v0, 3, v2
	s_ashr_i32 s1, s0, 31
	s_delay_alu instid0(SALU_CYCLE_1) | instskip(NEXT) | instid1(SALU_CYCLE_1)
	s_lshr_b32 s1, s1, 27
	s_add_co_i32 s4, s0, s1
	s_lshl_b64 s[0:1], s[42:43], 3
	s_ashr_i32 s33, s4, 5
	s_cmp_eq_u32 s2, 0
	v_or_b32_e32 v65, 0x2000, v0
	s_cselect_b32 s2, ttmp9, s3
	s_cselect_b32 s54, s5, s7
	v_lshl_add_u32 v20, s2, 5, v2
	s_cmp_le_i32 s54, s33
	v_add_nc_u32_e32 v67, v65, v61
	s_cselect_b32 s55, -1, 0
	s_cmp_eq_u32 s8, 0x84
	v_ashrrev_i32_e32 v21, 31, v20
	s_mov_b32 s2, s9
	s_cselect_b32 s56, -1, 0
	s_ashr_i32 s3, s9, 31
	s_lshl_b32 s6, s54, 5
	s_delay_alu instid0(SALU_CYCLE_1)
	v_dual_add_nc_u32 v22, 16, v20 :: v_dual_add_nc_u32 v69, s6, v2
	v_add_nc_u32_e32 v63, v61, v0
	v_sub_nc_u64_e32 v[0:1], s[2:3], v[20:21]
	s_lshl_b64 s[4:5], s[26:27], 3
	s_add_nc_u64 s[40:41], s[40:41], s[0:1]
	s_add_nc_u64 s[4:5], s[24:25], s[4:5]
	v_cmp_gt_i32_e64 s0, s9, v20
	v_cmp_gt_i32_e64 s1, s9, v22
	v_ashrrev_i32_e32 v23, 31, v22
	v_cmp_gt_i64_e64 s2, 1, v[0:1]
	v_cmp_gt_i64_e64 s3, 17, v[0:1]
	v_add_nc_u32_e32 v70, s6, v59
	v_lshl_add_u64 v[24:25], v[20:21], 3, s[4:5]
	v_add_nc_u32_e32 v71, 0x800, v65
	v_add_nc_u32_e32 v72, 0x1000, v65
	;; [unrolled: 1-line block ×3, first 2 shown]
	s_mov_b32 s42, s10
	s_ashr_i32 s43, s10, 31
	s_lshl_b64 s[4:5], s[18:19], 3
	s_lshl_b64 s[46:47], s[36:37], 8
	s_add_nc_u64 s[48:49], s[42:43], -16
	s_lshl_b64 s[24:25], s[36:37], 3
	s_lshl_b64 s[26:27], s[38:39], 3
	s_add_nc_u64 s[16:17], s[16:17], s[4:5]
	s_lshl_b64 s[18:19], s[22:23], 3
	s_lshl_b64 s[22:23], s[20:21], 3
	s_branch .LBB84_4
.LBB84_2:                               ;   in Loop: Header=BB84_4 Depth=1
	s_add_co_i32 s34, s34, 0x10000
	s_delay_alu instid0(SALU_CYCLE_1)
	s_cmp_ge_u32 s34, s11
	s_cselect_b32 s4, -1, 0
.LBB84_3:                               ;   in Loop: Header=BB84_4 Depth=1
	s_delay_alu instid0(SALU_CYCLE_1)
	s_and_b32 vcc_lo, exec_lo, s4
	s_cbranch_vccnz .LBB84_64
.LBB84_4:                               ; =>This Loop Header: Depth=1
                                        ;     Child Loop BB84_8 Depth 2
                                        ;       Child Loop BB84_11 Depth 3
	s_mul_u64 s[4:5], s[14:15], s[34:35]
	v_mov_b32_e32 v0, 0
	s_lshl_b64 s[4:5], s[4:5], 3
	s_delay_alu instid0(SALU_CYCLE_1)
	s_add_nc_u64 s[4:5], s[12:13], s[4:5]
	global_load_b64 v[30:31], v0, s[4:5]
	s_wait_xcnt 0x0
	s_mov_b32 s4, -1
	s_wait_loadcnt 0x0
	v_or_b32_e32 v0, v30, v31
	s_delay_alu instid0(VALU_DEP_1) | instskip(NEXT) | instid1(VALU_DEP_1)
	v_and_b32_e32 v0, 0x7fffffff, v0
	v_cmp_eq_u32_e32 vcc_lo, 0, v0
	s_cbranch_vccnz .LBB84_3
; %bb.5:                                ;   in Loop: Header=BB84_4 Depth=1
	s_and_not1_b32 vcc_lo, exec_lo, s55
	s_cbranch_vccnz .LBB84_2
; %bb.6:                                ;   in Loop: Header=BB84_4 Depth=1
	s_load_b32 s57, s[44:45], 0x4
	v_mad_nc_u64_u32 v[32:33], s26, s34, v[24:25]
	s_mul_u64 s[6:7], s[30:31], s[34:35]
	v_dual_mov_b32 v34, v31 :: v_dual_mov_b32 v35, v30
	v_dual_mov_b32 v36, v70 :: v_dual_mov_b32 v38, v69
	s_mul_u64 s[4:5], s[18:19], s[34:35]
	s_lshl_b64 s[6:7], s[6:7], 3
	s_add_nc_u64 s[38:39], s[16:17], s[4:5]
	s_add_nc_u64 s[50:51], s[40:41], s[6:7]
	s_mov_b32 s59, s54
	s_delay_alu instid0(VALU_DEP_3)
	v_mad_u32 v33, s27, s34, v33
	s_wait_kmcnt 0x0
	s_lshl_b32 s58, s57, 5
	s_branch .LBB84_8
.LBB84_7:                               ;   in Loop: Header=BB84_8 Depth=2
	s_wait_xcnt 0x0
	s_or_b32 exec_lo, exec_lo, s4
	v_dual_add_nc_u32 v38, s58, v38 :: v_dual_add_nc_u32 v36, s58, v36
	s_add_co_i32 s59, s57, s59
	s_delay_alu instid0(SALU_CYCLE_1)
	s_cmp_gt_i32 s59, s33
	s_cbranch_scc1 .LBB84_2
.LBB84_8:                               ;   Parent Loop BB84_4 Depth=1
                                        ; =>  This Loop Header: Depth=2
                                        ;       Child Loop BB84_11 Depth 3
	s_lshl_b32 s4, s59, 5
	s_delay_alu instid0(SALU_CYCLE_1) | instskip(SKIP_2) | instid1(SALU_CYCLE_1)
	v_dual_ashrrev_i32 v37, 31, v36 :: v_dual_add_nc_u32 v40, s4, v59
	v_ashrrev_i32_e32 v39, 31, v38
	s_sub_co_i32 s60, s10, s4
	s_cmp_lt_i32 s60, 1
	s_delay_alu instid0(VALU_DEP_2)
	v_ashrrev_i32_e32 v41, 31, v40
	s_cbranch_scc1 .LBB84_55
; %bb.9:                                ;   in Loop: Header=BB84_8 Depth=2
	v_lshl_add_u64 v[0:1], v[36:37], 3, 0x80
	v_mad_nc_u64_u32 v[42:43], s24, v36, 0x80
	v_mad_nc_u64_u32 v[44:45], s22, v36, s[38:39]
	v_add_nc_u64_e32 v[50:51], 16, v[40:41]
	v_sub_nc_u64_e32 v[52:53], v[36:37], v[38:39]
	v_mad_nc_u64_u32 v[46:47], s20, v0, s[38:39]
	v_mad_nc_u64_u32 v[48:49], s36, v0, 0x80
	v_lshlrev_b64_e32 v[54:55], 3, v[38:39]
	v_mov_b64_e32 v[56:57], v[32:33]
	v_dual_mov_b32 v16, 0 :: v_dual_mov_b32 v18, 0
	v_cmp_le_i64_e64 s4, s[42:43], v[50:51]
	v_mad_u32 v2, s25, v36, v43
	v_mad_u32 v3, s23, v36, v45
	v_dual_mov_b32 v60, 0 :: v_dual_mov_b32 v58, 0
	v_mad_u32 v4, s21, v0, v47
	v_mad_u32 v0, s37, v0, v49
	v_dual_mov_b32 v64, 0 :: v_dual_mov_b32 v62, 0
	v_dual_mov_b32 v68, 0 :: v_dual_mov_b32 v66, 0
	s_mov_b64 s[52:53], 0
	v_mad_u32 v43, s24, v37, v2
	v_mad_u32 v45, s22, v37, v3
	v_cmp_le_i32_e32 vcc_lo, s10, v40
	v_mad_u32 v47, s20, v1, v4
	v_mad_u32 v49, s36, v1, v0
	s_branch .LBB84_11
.LBB84_10:                              ;   in Loop: Header=BB84_11 Depth=3
	s_or_b32 exec_lo, exec_lo, s5
	s_wait_dscnt 0x0
	s_barrier_signal -1
	s_barrier_wait -1
	ds_load_b128 v[74:77], v61
	ds_load_2addr_b64 v[78:81], v65 offset1:16
	ds_load_b128 v[82:85], v61 offset:4096
	ds_load_b128 v[8:11], v61 offset:16
	;; [unrolled: 1-line block ×4, first 2 shown]
	ds_load_2addr_b64 v[86:89], v65 offset0:32 offset1:48
	ds_load_b128 v[12:15], v61 offset:4112
	v_add_nc_u64_e32 v[56:57], s[46:47], v[56:57]
	v_add_nc_u64_e32 v[46:47], 0x100, v[46:47]
	;; [unrolled: 1-line block ×3, first 2 shown]
	s_add_nc_u64 s[52:53], s[52:53], 32
	s_delay_alu instid0(SALU_CYCLE_1)
	s_cmp_ge_i32 s52, s60
	s_wait_dscnt 0x6
	v_dual_mul_f32 v17, v75, v79 :: v_dual_mul_f32 v19, v74, v79
	v_dual_mul_f32 v90, v75, v81 :: v_dual_mul_f32 v91, v74, v81
	s_wait_dscnt 0x5
	v_dual_mul_f32 v92, v83, v79 :: v_dual_mul_f32 v79, v82, v79
	v_dual_mul_f32 v93, v83, v81 :: v_dual_mul_f32 v94, v82, v81
	v_dual_fma_f32 v17, v74, v78, -v17 :: v_dual_fmac_f32 v19, v75, v78
	v_dual_fma_f32 v74, v74, v80, -v90 :: v_dual_fmac_f32 v91, v75, v80
	s_delay_alu instid0(VALU_DEP_4) | instskip(NEXT) | instid1(VALU_DEP_3)
	v_dual_fma_f32 v75, v82, v78, -v92 :: v_dual_fmac_f32 v79, v83, v78
	v_dual_fma_f32 v78, v82, v80, -v93 :: v_dual_add_f32 v19, v68, v19
	s_delay_alu instid0(VALU_DEP_3) | instskip(NEXT) | instid1(VALU_DEP_3)
	v_dual_add_f32 v17, v66, v17 :: v_dual_add_f32 v64, v64, v91
	v_dual_add_f32 v62, v62, v74 :: v_dual_add_f32 v60, v60, v79
	s_delay_alu instid0(VALU_DEP_4)
	v_dual_add_f32 v58, v58, v75 :: v_dual_fmac_f32 v94, v83, v80
	s_wait_dscnt 0x1
	v_dual_mul_f32 v66, v77, v87 :: v_dual_add_f32 v18, v18, v78
	ds_load_2addr_b64 v[78:81], v65 offset0:64 offset1:80
	v_dual_mul_f32 v68, v76, v87 :: v_dual_mul_f32 v74, v77, v89
	v_add_f32_e32 v75, v16, v94
	v_dual_fma_f32 v66, v76, v86, -v66 :: v_dual_mul_f32 v16, v76, v89
	s_delay_alu instid0(VALU_DEP_3) | instskip(NEXT) | instid1(VALU_DEP_2)
	v_fmac_f32_e32 v68, v77, v86
	v_dual_add_f32 v66, v17, v66 :: v_dual_fma_f32 v17, v76, v88, -v74
	s_delay_alu instid0(VALU_DEP_2) | instskip(NEXT) | instid1(VALU_DEP_4)
	v_dual_mul_f32 v74, v85, v87 :: v_dual_add_f32 v68, v19, v68
	v_dual_fmac_f32 v16, v77, v88 :: v_dual_mul_f32 v19, v84, v87
	s_delay_alu instid0(VALU_DEP_2) | instskip(NEXT) | instid1(VALU_DEP_2)
	v_dual_add_f32 v62, v62, v17 :: v_dual_fma_f32 v17, v84, v86, -v74
	v_dual_mul_f32 v74, v85, v89 :: v_dual_add_f32 v64, v64, v16
	s_delay_alu instid0(VALU_DEP_3) | instskip(NEXT) | instid1(VALU_DEP_2)
	v_dual_fmac_f32 v19, v85, v86 :: v_dual_mul_f32 v76, v84, v89
	v_dual_add_f32 v58, v58, v17 :: v_dual_fma_f32 v16, v84, v88, -v74
	s_wait_dscnt 0x0
	v_dual_mul_f32 v17, v9, v79 :: v_dual_mul_f32 v74, v8, v79
	s_delay_alu instid0(VALU_DEP_3) | instskip(NEXT) | instid1(VALU_DEP_2)
	v_dual_add_f32 v60, v60, v19 :: v_dual_fmac_f32 v76, v85, v88
	v_dual_add_f32 v77, v18, v16 :: v_dual_fma_f32 v82, v8, v78, -v17
	s_delay_alu instid0(VALU_DEP_3) | instskip(SKIP_4) | instid1(VALU_DEP_2)
	v_dual_mul_f32 v83, v9, v81 :: v_dual_fmac_f32 v74, v9, v78
	ds_load_2addr_b64 v[16:19], v65 offset0:96 offset1:112
	v_dual_add_f32 v84, v75, v76 :: v_dual_add_f32 v66, v66, v82
	v_dual_mul_f32 v75, v8, v81 :: v_dual_fma_f32 v8, v8, v80, -v83
	v_dual_add_f32 v68, v68, v74 :: v_dual_mul_f32 v74, v13, v79
	v_dual_mul_f32 v76, v12, v79 :: v_dual_fmac_f32 v75, v9, v80
	s_delay_alu instid0(VALU_DEP_3) | instskip(NEXT) | instid1(VALU_DEP_2)
	v_dual_add_f32 v8, v62, v8 :: v_dual_mul_f32 v9, v13, v81
	v_dual_fma_f32 v62, v12, v78, -v74 :: v_dual_fmac_f32 v76, v13, v78
	v_mul_f32_e32 v78, v12, v81
	s_delay_alu instid0(VALU_DEP_4) | instskip(NEXT) | instid1(VALU_DEP_3)
	v_add_f32_e32 v64, v64, v75
	v_dual_fma_f32 v9, v12, v80, -v9 :: v_dual_add_f32 v12, v58, v62
	s_delay_alu instid0(VALU_DEP_4)
	v_add_f32_e32 v58, v60, v76
	s_wait_dscnt 0x0
	v_dual_fmac_f32 v78, v13, v80 :: v_dual_mul_f32 v60, v10, v17
	v_mul_f32_e32 v13, v11, v17
	v_dual_add_f32 v9, v77, v9 :: v_dual_mul_f32 v62, v11, v19
	ds_load_2addr_b64 v[74:77], v65 offset0:128 offset1:144
	v_dual_add_f32 v82, v84, v78 :: v_dual_fma_f32 v13, v10, v16, -v13
	v_dual_mul_f32 v78, v10, v19 :: v_dual_fmac_f32 v60, v11, v16
	v_fma_f32 v10, v10, v18, -v62
	s_delay_alu instid0(VALU_DEP_2) | instskip(NEXT) | instid1(VALU_DEP_3)
	v_dual_add_f32 v62, v66, v13 :: v_dual_fmac_f32 v78, v11, v18
	v_dual_mul_f32 v13, v15, v17 :: v_dual_add_f32 v11, v68, v60
	s_delay_alu instid0(VALU_DEP_3) | instskip(NEXT) | instid1(VALU_DEP_2)
	v_dual_add_f32 v60, v8, v10 :: v_dual_mul_f32 v8, v14, v17
	v_dual_add_f32 v17, v64, v78 :: v_dual_fma_f32 v10, v14, v16, -v13
	v_mul_f32_e32 v13, v15, v19
	ds_load_b128 v[78:81], v61 offset:4128
	v_dual_fmac_f32 v8, v15, v16 :: v_dual_add_f32 v16, v12, v10
	v_dual_mul_f32 v10, v14, v19 :: v_dual_fma_f32 v12, v14, v18, -v13
	s_wait_dscnt 0x1
	s_delay_alu instid0(VALU_DEP_2) | instskip(NEXT) | instid1(VALU_DEP_2)
	v_dual_mul_f32 v13, v5, v75 :: v_dual_add_f32 v19, v58, v8
	v_dual_mul_f32 v8, v4, v75 :: v_dual_fmac_f32 v10, v15, v18
	s_delay_alu instid0(VALU_DEP_2) | instskip(SKIP_3) | instid1(VALU_DEP_2)
	v_dual_add_f32 v18, v9, v12 :: v_dual_fma_f32 v9, v4, v74, -v13
	ds_load_2addr_b64 v[12:15], v65 offset0:160 offset1:176
	v_dual_fmac_f32 v8, v5, v74 :: v_dual_mul_f32 v58, v5, v77
	v_dual_add_f32 v64, v82, v10 :: v_dual_mul_f32 v66, v4, v77
	v_dual_add_f32 v62, v62, v9 :: v_dual_add_f32 v68, v11, v8
	ds_load_b128 v[8:11], v61 offset:4144
	s_wait_dscnt 0x2
	v_dual_fma_f32 v4, v4, v76, -v58 :: v_dual_mul_f32 v58, v79, v75
	v_dual_fmac_f32 v66, v5, v76 :: v_dual_mul_f32 v5, v78, v75
	s_delay_alu instid0(VALU_DEP_2) | instskip(NEXT) | instid1(VALU_DEP_2)
	v_dual_add_f32 v4, v60, v4 :: v_dual_mul_f32 v60, v79, v77
	v_dual_fma_f32 v58, v78, v74, -v58 :: v_dual_fmac_f32 v5, v79, v74
	s_delay_alu instid0(VALU_DEP_3) | instskip(NEXT) | instid1(VALU_DEP_2)
	v_dual_add_f32 v17, v17, v66 :: v_dual_mul_f32 v66, v78, v77
	v_dual_fma_f32 v60, v78, v76, -v60 :: v_dual_add_f32 v16, v16, v58
	s_wait_dscnt 0x1
	v_mul_f32_e32 v58, v7, v13
	s_delay_alu instid0(VALU_DEP_3) | instskip(NEXT) | instid1(VALU_DEP_3)
	v_fmac_f32_e32 v66, v79, v76
	v_dual_add_f32 v60, v18, v60 :: v_dual_add_f32 v5, v19, v5
	s_delay_alu instid0(VALU_DEP_3) | instskip(SKIP_3) | instid1(VALU_DEP_2)
	v_dual_fma_f32 v19, v6, v12, -v58 :: v_dual_mul_f32 v18, v6, v13
	ds_load_2addr_b64 v[74:77], v65 offset0:192 offset1:208
	v_dual_mul_f32 v58, v7, v15 :: v_dual_add_f32 v64, v64, v66
	v_dual_add_f32 v62, v62, v19 :: v_dual_fmac_f32 v18, v7, v12
	v_dual_mul_f32 v19, v6, v15 :: v_dual_fma_f32 v6, v6, v14, -v58
	v_dual_mul_f32 v58, v81, v13 :: v_dual_mul_f32 v13, v80, v13
	s_delay_alu instid0(VALU_DEP_3) | instskip(NEXT) | instid1(VALU_DEP_3)
	v_add_f32_e32 v66, v68, v18
	v_fmac_f32_e32 v19, v7, v14
	s_delay_alu instid0(VALU_DEP_4) | instskip(NEXT) | instid1(VALU_DEP_4)
	v_dual_add_f32 v4, v4, v6 :: v_dual_mul_f32 v7, v81, v15
	v_dual_fma_f32 v6, v80, v12, -v58 :: v_dual_fmac_f32 v13, v81, v12
	s_delay_alu instid0(VALU_DEP_3) | instskip(NEXT) | instid1(VALU_DEP_3)
	v_add_f32_e32 v12, v17, v19
	v_dual_mul_f32 v15, v80, v15 :: v_dual_fma_f32 v7, v80, v14, -v7
	s_delay_alu instid0(VALU_DEP_3)
	v_add_f32_e32 v6, v16, v6
	ds_load_2addr_b64 v[16:19], v65 offset0:224 offset1:240
	v_add_f32_e32 v5, v5, v13
	s_wait_dscnt 0x1
	v_mul_f32_e32 v13, v1, v75
	v_dual_fmac_f32 v15, v81, v14 :: v_dual_mul_f32 v14, v0, v75
	v_dual_add_f32 v7, v60, v7 :: v_dual_mul_f32 v58, v1, v77
	s_delay_alu instid0(VALU_DEP_3) | instskip(NEXT) | instid1(VALU_DEP_3)
	v_dual_fma_f32 v13, v0, v74, -v13 :: v_dual_mul_f32 v60, v0, v77
	v_dual_fmac_f32 v14, v1, v74 :: v_dual_add_f32 v64, v64, v15
	s_delay_alu instid0(VALU_DEP_2) | instskip(NEXT) | instid1(VALU_DEP_2)
	v_dual_fma_f32 v0, v0, v76, -v58 :: v_dual_add_f32 v62, v62, v13
	v_dual_fmac_f32 v60, v1, v76 :: v_dual_add_f32 v58, v66, v14
	v_dual_mul_f32 v1, v9, v75 :: v_dual_mul_f32 v13, v8, v75
	s_delay_alu instid0(VALU_DEP_3) | instskip(NEXT) | instid1(VALU_DEP_3)
	v_dual_add_f32 v0, v4, v0 :: v_dual_mul_f32 v4, v9, v77
	v_add_f32_e32 v60, v12, v60
	s_delay_alu instid0(VALU_DEP_3) | instskip(NEXT) | instid1(VALU_DEP_3)
	v_dual_fma_f32 v1, v8, v74, -v1 :: v_dual_mul_f32 v66, v8, v77
	v_dual_fmac_f32 v13, v9, v74 :: v_dual_fma_f32 v4, v8, v76, -v4
	s_wait_dscnt 0x0
	v_mul_f32_e32 v8, v3, v17
	s_delay_alu instid0(VALU_DEP_3) | instskip(NEXT) | instid1(VALU_DEP_3)
	v_dual_add_f32 v1, v6, v1 :: v_dual_fmac_f32 v66, v9, v76
	v_dual_add_f32 v68, v5, v13 :: v_dual_add_f32 v9, v7, v4
	s_delay_alu instid0(VALU_DEP_3) | instskip(NEXT) | instid1(VALU_DEP_3)
	v_dual_fma_f32 v4, v2, v16, -v8 :: v_dual_mul_f32 v5, v2, v17
	v_dual_mul_f32 v6, v3, v19 :: v_dual_add_f32 v64, v64, v66
	ds_load_b128 v[12:15], v61 offset:64
	ds_load_2addr_b64 v[74:77], v71 offset1:16
	v_dual_mul_f32 v7, v2, v19 :: v_dual_fmac_f32 v5, v3, v16
	v_dual_add_f32 v62, v62, v4 :: v_dual_mul_f32 v4, v11, v17
	s_delay_alu instid0(VALU_DEP_2) | instskip(NEXT) | instid1(VALU_DEP_3)
	v_dual_fma_f32 v2, v2, v18, -v6 :: v_dual_fmac_f32 v7, v3, v18
	v_add_f32_e32 v58, v58, v5
	v_mul_f32_e32 v3, v10, v17
	ds_load_b128 v[78:81], v61 offset:4160
	v_dual_add_f32 v17, v0, v2 :: v_dual_fma_f32 v0, v10, v16, -v4
	v_dual_mul_f32 v2, v11, v19 :: v_dual_fmac_f32 v3, v11, v16
	v_add_f32_e32 v60, v60, v7
	ds_load_b128 v[4:7], v61 offset:80
	v_dual_add_f32 v16, v1, v0 :: v_dual_fma_f32 v0, v10, v18, -v2
	v_mul_f32_e32 v1, v10, v19
	v_add_f32_e32 v19, v68, v3
	s_wait_dscnt 0x2
	v_dual_mul_f32 v2, v13, v75 :: v_dual_mul_f32 v3, v12, v75
	s_delay_alu instid0(VALU_DEP_3) | instskip(NEXT) | instid1(VALU_DEP_2)
	v_dual_fmac_f32 v1, v11, v18 :: v_dual_add_f32 v18, v9, v0
	v_fma_f32 v0, v12, v74, -v2
	ds_load_2addr_b64 v[8:11], v71 offset0:32 offset1:48
	v_dual_fmac_f32 v3, v13, v74 :: v_dual_mul_f32 v2, v13, v77
	s_wait_dscnt 0x2
	v_dual_mul_f32 v66, v12, v77 :: v_dual_mul_f32 v68, v79, v75
	v_dual_add_f32 v64, v64, v1 :: v_dual_add_f32 v62, v62, v0
	s_delay_alu instid0(VALU_DEP_3) | instskip(NEXT) | instid1(VALU_DEP_3)
	v_dual_fma_f32 v12, v12, v76, -v2 :: v_dual_add_f32 v58, v58, v3
	v_dual_fmac_f32 v66, v13, v76 :: v_dual_mul_f32 v13, v78, v75
	s_delay_alu instid0(VALU_DEP_2) | instskip(NEXT) | instid1(VALU_DEP_2)
	v_dual_fma_f32 v68, v78, v74, -v68 :: v_dual_add_f32 v12, v17, v12
	v_dual_mul_f32 v17, v79, v77 :: v_dual_add_f32 v60, v60, v66
	s_delay_alu instid0(VALU_DEP_3) | instskip(NEXT) | instid1(VALU_DEP_3)
	v_dual_mul_f32 v66, v78, v77 :: v_dual_fmac_f32 v13, v79, v74
	v_add_f32_e32 v68, v16, v68
	s_delay_alu instid0(VALU_DEP_3)
	v_fma_f32 v17, v78, v76, -v17
	ds_load_b128 v[0:3], v61 offset:4176
	s_wait_dscnt 0x1
	v_mul_f32_e32 v16, v15, v9
	v_add_f32_e32 v13, v19, v13
	v_dual_fmac_f32 v66, v79, v76 :: v_dual_add_f32 v74, v18, v17
	s_delay_alu instid0(VALU_DEP_3) | instskip(SKIP_4) | instid1(VALU_DEP_3)
	v_dual_mul_f32 v75, v14, v9 :: v_dual_fma_f32 v76, v14, v8, -v16
	ds_load_2addr_b64 v[16:19], v71 offset0:64 offset1:80
	v_dual_mul_f32 v77, v15, v11 :: v_dual_add_f32 v64, v64, v66
	v_dual_fmac_f32 v75, v15, v8 :: v_dual_mul_f32 v66, v14, v11
	v_dual_add_f32 v62, v62, v76 :: v_dual_mul_f32 v76, v81, v9
	v_dual_fma_f32 v14, v14, v10, -v77 :: v_dual_mul_f32 v9, v80, v9
	s_delay_alu instid0(VALU_DEP_3) | instskip(NEXT) | instid1(VALU_DEP_2)
	v_dual_add_f32 v58, v58, v75 :: v_dual_fmac_f32 v66, v15, v10
	v_dual_add_f32 v75, v12, v14 :: v_dual_fmac_f32 v9, v81, v8
	s_delay_alu instid0(VALU_DEP_4) | instskip(NEXT) | instid1(VALU_DEP_3)
	v_dual_fma_f32 v12, v80, v8, -v76 :: v_dual_mul_f32 v8, v81, v11
	v_add_f32_e32 v60, v60, v66
	s_delay_alu instid0(VALU_DEP_3) | instskip(SKIP_1) | instid1(VALU_DEP_3)
	v_dual_mul_f32 v11, v80, v11 :: v_dual_add_f32 v9, v13, v9
	s_wait_dscnt 0x0
	v_dual_add_f32 v66, v68, v12 :: v_dual_mul_f32 v68, v5, v17
	v_fma_f32 v8, v80, v10, -v8
	ds_load_2addr_b64 v[12:15], v71 offset0:96 offset1:112
	v_dual_fmac_f32 v11, v81, v10 :: v_dual_mul_f32 v10, v4, v17
	v_fma_f32 v68, v4, v16, -v68
	v_dual_add_f32 v8, v74, v8 :: v_dual_mul_f32 v74, v5, v19
	s_delay_alu instid0(VALU_DEP_3) | instskip(NEXT) | instid1(VALU_DEP_2)
	v_dual_fmac_f32 v10, v5, v16 :: v_dual_mul_f32 v76, v4, v19
	v_dual_add_f32 v62, v62, v68 :: v_dual_fma_f32 v4, v4, v18, -v74
	s_delay_alu instid0(VALU_DEP_2) | instskip(NEXT) | instid1(VALU_DEP_3)
	v_dual_add_f32 v64, v64, v11 :: v_dual_add_f32 v58, v58, v10
	v_fmac_f32_e32 v76, v5, v18
	v_dual_mul_f32 v5, v1, v17 :: v_dual_mul_f32 v10, v0, v17
	s_delay_alu instid0(VALU_DEP_4) | instskip(NEXT) | instid1(VALU_DEP_3)
	v_dual_add_f32 v4, v75, v4 :: v_dual_mul_f32 v11, v1, v19
	v_add_f32_e32 v60, v60, v76
	s_delay_alu instid0(VALU_DEP_3) | instskip(NEXT) | instid1(VALU_DEP_3)
	v_dual_fma_f32 v5, v0, v16, -v5 :: v_dual_fmac_f32 v10, v1, v16
	v_dual_mul_f32 v68, v0, v19 :: v_dual_fma_f32 v0, v0, v18, -v11
	s_wait_dscnt 0x0
	v_mul_f32_e32 v11, v7, v13
	s_delay_alu instid0(VALU_DEP_3) | instskip(NEXT) | instid1(VALU_DEP_3)
	v_dual_add_f32 v5, v66, v5 :: v_dual_add_f32 v66, v9, v10
	v_dual_fmac_f32 v68, v1, v18 :: v_dual_add_f32 v0, v8, v0
	s_delay_alu instid0(VALU_DEP_3)
	v_dual_fma_f32 v1, v6, v12, -v11 :: v_dual_mul_f32 v74, v6, v13
	ds_load_b128 v[8:11], v61 offset:96
	ds_load_2addr_b64 v[16:19], v71 offset0:128 offset1:144
	v_dual_mul_f32 v75, v7, v15 :: v_dual_add_f32 v64, v64, v68
	v_dual_mul_f32 v68, v6, v15 :: v_dual_fmac_f32 v74, v7, v12
	v_add_f32_e32 v1, v62, v1
	s_delay_alu instid0(VALU_DEP_3) | instskip(NEXT) | instid1(VALU_DEP_3)
	v_dual_fma_f32 v6, v6, v14, -v75 :: v_dual_mul_f32 v62, v3, v13
	v_fmac_f32_e32 v68, v7, v14
	s_delay_alu instid0(VALU_DEP_4) | instskip(NEXT) | instid1(VALU_DEP_3)
	v_add_f32_e32 v58, v58, v74
	v_dual_mul_f32 v13, v2, v13 :: v_dual_add_f32 v78, v4, v6
	s_delay_alu instid0(VALU_DEP_4) | instskip(NEXT) | instid1(VALU_DEP_4)
	v_dual_fma_f32 v4, v2, v12, -v62 :: v_dual_mul_f32 v6, v3, v15
	v_add_f32_e32 v60, v60, v68
	s_delay_alu instid0(VALU_DEP_3)
	v_fmac_f32_e32 v13, v3, v12
	ds_load_b128 v[74:77], v61 offset:4192
	v_dual_add_f32 v62, v5, v4 :: v_dual_fma_f32 v12, v2, v14, -v6
	s_wait_dscnt 0x1
	v_dual_mul_f32 v2, v2, v15 :: v_dual_mul_f32 v15, v9, v17
	v_mul_f32_e32 v68, v8, v17
	s_delay_alu instid0(VALU_DEP_3) | instskip(NEXT) | instid1(VALU_DEP_3)
	v_dual_add_f32 v66, v66, v13 :: v_dual_add_f32 v79, v0, v12
	v_dual_fmac_f32 v2, v3, v14 :: v_dual_fma_f32 v0, v8, v16, -v15
	s_delay_alu instid0(VALU_DEP_3)
	v_fmac_f32_e32 v68, v9, v16
	ds_load_2addr_b64 v[12:15], v71 offset0:160 offset1:176
	v_mul_f32_e32 v3, v9, v19
	ds_load_b128 v[4:7], v61 offset:112
	v_dual_mul_f32 v81, v8, v19 :: v_dual_add_f32 v58, v58, v68
	v_dual_add_f32 v64, v64, v2 :: v_dual_add_f32 v80, v1, v0
	s_delay_alu instid0(VALU_DEP_2) | instskip(SKIP_2) | instid1(VALU_DEP_2)
	v_dual_fma_f32 v8, v8, v18, -v3 :: v_dual_fmac_f32 v81, v9, v18
	s_wait_dscnt 0x2
	v_dual_mul_f32 v9, v74, v17 :: v_dual_mul_f32 v68, v75, v17
	v_dual_mul_f32 v17, v75, v19 :: v_dual_add_f32 v8, v78, v8
	s_delay_alu instid0(VALU_DEP_2) | instskip(NEXT) | instid1(VALU_DEP_3)
	v_dual_mul_f32 v78, v74, v19 :: v_dual_fmac_f32 v9, v75, v16
	v_dual_fma_f32 v68, v74, v16, -v68 :: v_dual_add_f32 v60, v60, v81
	s_delay_alu instid0(VALU_DEP_2) | instskip(SKIP_4) | instid1(VALU_DEP_2)
	v_dual_fma_f32 v16, v74, v18, -v17 :: v_dual_fmac_f32 v78, v75, v18
	ds_load_b128 v[0:3], v61 offset:4208
	s_wait_dscnt 0x2
	v_dual_mul_f32 v17, v11, v13 :: v_dual_add_f32 v62, v62, v68
	v_dual_add_f32 v9, v66, v9 :: v_dual_add_f32 v66, v79, v16
	v_dual_mul_f32 v68, v10, v13 :: v_dual_fma_f32 v74, v10, v12, -v17
	ds_load_2addr_b64 v[16:19], v71 offset0:192 offset1:208
	v_dual_mul_f32 v75, v11, v15 :: v_dual_add_f32 v64, v64, v78
	v_dual_fmac_f32 v68, v11, v12 :: v_dual_add_f32 v74, v80, v74
	s_delay_alu instid0(VALU_DEP_2) | instskip(SKIP_1) | instid1(VALU_DEP_2)
	v_dual_mul_f32 v78, v10, v15 :: v_dual_fma_f32 v10, v10, v14, -v75
	v_dual_mul_f32 v75, v77, v13 :: v_dual_mul_f32 v13, v76, v13
	v_dual_add_f32 v58, v58, v68 :: v_dual_fmac_f32 v78, v11, v14
	s_delay_alu instid0(VALU_DEP_3) | instskip(NEXT) | instid1(VALU_DEP_3)
	v_add_f32_e32 v8, v8, v10
	v_dual_fma_f32 v10, v76, v12, -v75 :: v_dual_mul_f32 v11, v77, v15
	s_delay_alu instid0(VALU_DEP_4) | instskip(NEXT) | instid1(VALU_DEP_4)
	v_dual_fmac_f32 v13, v77, v12 :: v_dual_mul_f32 v68, v76, v15
	v_add_f32_e32 v60, v60, v78
	s_delay_alu instid0(VALU_DEP_3) | instskip(NEXT) | instid1(VALU_DEP_3)
	v_add_f32_e32 v10, v62, v10
	v_dual_fma_f32 v11, v76, v14, -v11 :: v_dual_add_f32 v9, v9, v13
	s_wait_dscnt 0x0
	v_mul_f32_e32 v62, v5, v17
	v_dual_fmac_f32 v68, v77, v14 :: v_dual_mul_f32 v75, v4, v17
	ds_load_2addr_b64 v[12:15], v71 offset0:224 offset1:240
	v_dual_add_f32 v11, v66, v11 :: v_dual_fma_f32 v62, v4, v16, -v62
	v_dual_mul_f32 v66, v5, v19 :: v_dual_fmac_f32 v75, v5, v16
	v_mul_f32_e32 v76, v4, v19
	s_delay_alu instid0(VALU_DEP_3) | instskip(NEXT) | instid1(VALU_DEP_3)
	v_dual_add_f32 v64, v64, v68 :: v_dual_add_f32 v62, v74, v62
	v_fma_f32 v4, v4, v18, -v66
	s_delay_alu instid0(VALU_DEP_3) | instskip(SKIP_1) | instid1(VALU_DEP_3)
	v_dual_mul_f32 v66, v0, v19 :: v_dual_fmac_f32 v76, v5, v18
	v_dual_mul_f32 v5, v1, v17 :: v_dual_mul_f32 v17, v0, v17
	v_dual_add_f32 v4, v8, v4 :: v_dual_mul_f32 v8, v1, v19
	s_delay_alu instid0(VALU_DEP_3) | instskip(NEXT) | instid1(VALU_DEP_3)
	v_add_f32_e32 v60, v60, v76
	v_fma_f32 v5, v0, v16, -v5
	s_delay_alu instid0(VALU_DEP_4) | instskip(SKIP_2) | instid1(VALU_DEP_3)
	v_dual_fmac_f32 v17, v1, v16 :: v_dual_fmac_f32 v66, v1, v18
	s_wait_dscnt 0x0
	v_dual_fma_f32 v0, v0, v18, -v8 :: v_dual_mul_f32 v8, v7, v13
	v_add_f32_e32 v5, v10, v5
	s_delay_alu instid0(VALU_DEP_3) | instskip(NEXT) | instid1(VALU_DEP_3)
	v_dual_add_f32 v68, v9, v17 :: v_dual_add_f32 v58, v58, v75
	v_add_f32_e32 v0, v11, v0
	s_delay_alu instid0(VALU_DEP_4)
	v_dual_fma_f32 v1, v6, v12, -v8 :: v_dual_mul_f32 v74, v6, v13
	ds_load_b128 v[8:11], v61 offset:128
	ds_load_2addr_b64 v[16:19], v72 offset1:16
	v_dual_mul_f32 v75, v7, v15 :: v_dual_add_f32 v64, v64, v66
	v_dual_mul_f32 v66, v6, v15 :: v_dual_fmac_f32 v74, v7, v12
	v_add_f32_e32 v1, v62, v1
	s_delay_alu instid0(VALU_DEP_3) | instskip(NEXT) | instid1(VALU_DEP_3)
	v_dual_fma_f32 v6, v6, v14, -v75 :: v_dual_mul_f32 v62, v3, v13
	v_fmac_f32_e32 v66, v7, v14
	s_delay_alu instid0(VALU_DEP_4) | instskip(NEXT) | instid1(VALU_DEP_3)
	v_add_f32_e32 v58, v58, v74
	v_dual_mul_f32 v13, v2, v13 :: v_dual_add_f32 v78, v4, v6
	s_delay_alu instid0(VALU_DEP_3) | instskip(NEXT) | instid1(VALU_DEP_2)
	v_dual_fma_f32 v4, v2, v12, -v62 :: v_dual_add_f32 v60, v60, v66
	v_dual_mul_f32 v6, v3, v15 :: v_dual_fmac_f32 v13, v3, v12
	ds_load_b128 v[74:77], v61 offset:4224
	v_dual_add_f32 v62, v5, v4 :: v_dual_fma_f32 v12, v2, v14, -v6
	s_wait_dscnt 0x1
	v_dual_mul_f32 v2, v2, v15 :: v_dual_mul_f32 v15, v9, v17
	v_add_f32_e32 v66, v68, v13
	v_mul_f32_e32 v68, v8, v17
	s_delay_alu instid0(VALU_DEP_3) | instskip(NEXT) | instid1(VALU_DEP_4)
	v_dual_add_f32 v79, v0, v12 :: v_dual_fmac_f32 v2, v3, v14
	v_fma_f32 v0, v8, v16, -v15
	ds_load_2addr_b64 v[12:15], v72 offset0:32 offset1:48
	v_mul_f32_e32 v3, v9, v19
	ds_load_b128 v[4:7], v61 offset:144
	v_dual_fmac_f32 v68, v9, v16 :: v_dual_mul_f32 v81, v8, v19
	v_dual_add_f32 v64, v64, v2 :: v_dual_add_f32 v80, v1, v0
	s_delay_alu instid0(VALU_DEP_2) | instskip(SKIP_1) | instid1(VALU_DEP_3)
	v_dual_fma_f32 v8, v8, v18, -v3 :: v_dual_add_f32 v58, v58, v68
	s_wait_dscnt 0x2
	v_dual_mul_f32 v68, v75, v17 :: v_dual_fmac_f32 v81, v9, v18
	v_mul_f32_e32 v9, v74, v17
	s_delay_alu instid0(VALU_DEP_3) | instskip(NEXT) | instid1(VALU_DEP_3)
	v_dual_add_f32 v8, v78, v8 :: v_dual_mul_f32 v17, v75, v19
	v_dual_fma_f32 v68, v74, v16, -v68 :: v_dual_add_f32 v60, v60, v81
	s_delay_alu instid0(VALU_DEP_3) | instskip(NEXT) | instid1(VALU_DEP_3)
	v_dual_fmac_f32 v9, v75, v16 :: v_dual_mul_f32 v78, v74, v19
	v_fma_f32 v16, v74, v18, -v17
	s_wait_dscnt 0x1
	s_delay_alu instid0(VALU_DEP_3) | instskip(NEXT) | instid1(VALU_DEP_3)
	v_dual_add_f32 v62, v62, v68 :: v_dual_mul_f32 v17, v11, v13
	v_dual_add_f32 v9, v66, v9 :: v_dual_fmac_f32 v78, v75, v18
	s_delay_alu instid0(VALU_DEP_3) | instskip(NEXT) | instid1(VALU_DEP_3)
	v_dual_add_f32 v66, v79, v16 :: v_dual_mul_f32 v68, v10, v13
	v_fma_f32 v74, v10, v12, -v17
	ds_load_2addr_b64 v[16:19], v72 offset0:64 offset1:80
	v_dual_mul_f32 v75, v11, v15 :: v_dual_add_f32 v64, v64, v78
	v_dual_fmac_f32 v68, v11, v12 :: v_dual_add_f32 v74, v80, v74
	s_delay_alu instid0(VALU_DEP_2)
	v_dual_mul_f32 v78, v10, v15 :: v_dual_fma_f32 v10, v10, v14, -v75
	v_dual_mul_f32 v75, v77, v13 :: v_dual_mul_f32 v13, v76, v13
	ds_load_b128 v[0:3], v61 offset:4240
	v_dual_add_f32 v58, v58, v68 :: v_dual_fmac_f32 v78, v11, v14
	v_dual_add_f32 v8, v8, v10 :: v_dual_fmac_f32 v13, v77, v12
	v_dual_fma_f32 v10, v76, v12, -v75 :: v_dual_mul_f32 v11, v77, v15
	v_mul_f32_e32 v68, v76, v15
	s_delay_alu instid0(VALU_DEP_3) | instskip(NEXT) | instid1(VALU_DEP_3)
	v_dual_add_f32 v60, v60, v78 :: v_dual_add_f32 v9, v9, v13
	v_add_f32_e32 v10, v62, v10
	s_wait_dscnt 0x1
	v_dual_fma_f32 v11, v76, v14, -v11 :: v_dual_mul_f32 v62, v5, v17
	v_dual_fmac_f32 v68, v77, v14 :: v_dual_mul_f32 v75, v4, v17
	ds_load_2addr_b64 v[12:15], v72 offset0:96 offset1:112
	v_dual_add_f32 v11, v66, v11 :: v_dual_fma_f32 v62, v4, v16, -v62
	v_dual_mul_f32 v66, v5, v19 :: v_dual_fmac_f32 v75, v5, v16
	v_mul_f32_e32 v76, v4, v19
	s_delay_alu instid0(VALU_DEP_3) | instskip(NEXT) | instid1(VALU_DEP_3)
	v_dual_add_f32 v64, v64, v68 :: v_dual_add_f32 v62, v74, v62
	v_fma_f32 v4, v4, v18, -v66
	s_wait_dscnt 0x1
	s_delay_alu instid0(VALU_DEP_3) | instskip(SKIP_1) | instid1(VALU_DEP_3)
	v_dual_mul_f32 v66, v0, v19 :: v_dual_fmac_f32 v76, v5, v18
	v_dual_mul_f32 v5, v1, v17 :: v_dual_mul_f32 v17, v0, v17
	v_dual_add_f32 v4, v8, v4 :: v_dual_mul_f32 v8, v1, v19
	s_delay_alu instid0(VALU_DEP_3) | instskip(NEXT) | instid1(VALU_DEP_3)
	v_add_f32_e32 v60, v60, v76
	v_fma_f32 v5, v0, v16, -v5
	s_delay_alu instid0(VALU_DEP_4) | instskip(SKIP_2) | instid1(VALU_DEP_3)
	v_dual_fmac_f32 v17, v1, v16 :: v_dual_fmac_f32 v66, v1, v18
	s_wait_dscnt 0x0
	v_dual_fma_f32 v0, v0, v18, -v8 :: v_dual_mul_f32 v8, v7, v13
	v_add_f32_e32 v5, v10, v5
	s_delay_alu instid0(VALU_DEP_3) | instskip(NEXT) | instid1(VALU_DEP_3)
	v_dual_add_f32 v68, v9, v17 :: v_dual_add_f32 v58, v58, v75
	v_add_f32_e32 v0, v11, v0
	s_delay_alu instid0(VALU_DEP_4)
	v_dual_fma_f32 v1, v6, v12, -v8 :: v_dual_mul_f32 v74, v6, v13
	ds_load_b128 v[8:11], v61 offset:160
	ds_load_2addr_b64 v[16:19], v72 offset0:128 offset1:144
	v_dual_mul_f32 v75, v7, v15 :: v_dual_add_f32 v64, v64, v66
	v_dual_mul_f32 v66, v6, v15 :: v_dual_fmac_f32 v74, v7, v12
	v_add_f32_e32 v1, v62, v1
	s_delay_alu instid0(VALU_DEP_3) | instskip(NEXT) | instid1(VALU_DEP_3)
	v_dual_fma_f32 v6, v6, v14, -v75 :: v_dual_mul_f32 v62, v3, v13
	v_fmac_f32_e32 v66, v7, v14
	s_delay_alu instid0(VALU_DEP_4) | instskip(NEXT) | instid1(VALU_DEP_3)
	v_add_f32_e32 v58, v58, v74
	v_dual_mul_f32 v13, v2, v13 :: v_dual_add_f32 v78, v4, v6
	s_delay_alu instid0(VALU_DEP_3) | instskip(NEXT) | instid1(VALU_DEP_2)
	v_dual_fma_f32 v4, v2, v12, -v62 :: v_dual_add_f32 v60, v60, v66
	v_dual_mul_f32 v6, v3, v15 :: v_dual_fmac_f32 v13, v3, v12
	ds_load_b128 v[74:77], v61 offset:4256
	v_dual_add_f32 v62, v5, v4 :: v_dual_fma_f32 v12, v2, v14, -v6
	s_wait_dscnt 0x1
	v_dual_mul_f32 v2, v2, v15 :: v_dual_mul_f32 v15, v9, v17
	v_add_f32_e32 v66, v68, v13
	v_mul_f32_e32 v68, v8, v17
	s_delay_alu instid0(VALU_DEP_3) | instskip(NEXT) | instid1(VALU_DEP_4)
	v_dual_add_f32 v79, v0, v12 :: v_dual_fmac_f32 v2, v3, v14
	v_fma_f32 v0, v8, v16, -v15
	ds_load_2addr_b64 v[12:15], v72 offset0:160 offset1:176
	v_mul_f32_e32 v3, v9, v19
	ds_load_b128 v[4:7], v61 offset:176
	v_dual_fmac_f32 v68, v9, v16 :: v_dual_mul_f32 v81, v8, v19
	v_dual_add_f32 v64, v64, v2 :: v_dual_add_f32 v80, v1, v0
	s_delay_alu instid0(VALU_DEP_2) | instskip(SKIP_1) | instid1(VALU_DEP_3)
	v_dual_fma_f32 v8, v8, v18, -v3 :: v_dual_add_f32 v58, v58, v68
	s_wait_dscnt 0x2
	v_dual_mul_f32 v68, v75, v17 :: v_dual_fmac_f32 v81, v9, v18
	v_mul_f32_e32 v9, v74, v17
	s_delay_alu instid0(VALU_DEP_3) | instskip(NEXT) | instid1(VALU_DEP_3)
	v_dual_add_f32 v8, v78, v8 :: v_dual_mul_f32 v17, v75, v19
	v_dual_fma_f32 v68, v74, v16, -v68 :: v_dual_add_f32 v60, v60, v81
	s_delay_alu instid0(VALU_DEP_3) | instskip(NEXT) | instid1(VALU_DEP_3)
	v_dual_fmac_f32 v9, v75, v16 :: v_dual_mul_f32 v78, v74, v19
	v_fma_f32 v16, v74, v18, -v17
	s_wait_dscnt 0x1
	s_delay_alu instid0(VALU_DEP_3) | instskip(NEXT) | instid1(VALU_DEP_3)
	v_dual_add_f32 v62, v62, v68 :: v_dual_mul_f32 v17, v11, v13
	v_dual_add_f32 v9, v66, v9 :: v_dual_fmac_f32 v78, v75, v18
	s_delay_alu instid0(VALU_DEP_3) | instskip(NEXT) | instid1(VALU_DEP_3)
	v_dual_add_f32 v66, v79, v16 :: v_dual_mul_f32 v68, v10, v13
	v_fma_f32 v74, v10, v12, -v17
	ds_load_2addr_b64 v[16:19], v72 offset0:192 offset1:208
	v_dual_mul_f32 v75, v11, v15 :: v_dual_add_f32 v64, v64, v78
	v_dual_fmac_f32 v68, v11, v12 :: v_dual_add_f32 v74, v80, v74
	s_delay_alu instid0(VALU_DEP_2)
	v_dual_mul_f32 v78, v10, v15 :: v_dual_fma_f32 v10, v10, v14, -v75
	v_dual_mul_f32 v75, v77, v13 :: v_dual_mul_f32 v13, v76, v13
	ds_load_b128 v[0:3], v61 offset:4272
	v_dual_add_f32 v58, v58, v68 :: v_dual_fmac_f32 v78, v11, v14
	v_dual_add_f32 v8, v8, v10 :: v_dual_fmac_f32 v13, v77, v12
	v_dual_fma_f32 v10, v76, v12, -v75 :: v_dual_mul_f32 v11, v77, v15
	v_mul_f32_e32 v68, v76, v15
	s_delay_alu instid0(VALU_DEP_3) | instskip(NEXT) | instid1(VALU_DEP_3)
	v_dual_add_f32 v60, v60, v78 :: v_dual_add_f32 v9, v9, v13
	v_add_f32_e32 v10, v62, v10
	s_wait_dscnt 0x1
	v_dual_fma_f32 v11, v76, v14, -v11 :: v_dual_mul_f32 v62, v5, v17
	v_dual_fmac_f32 v68, v77, v14 :: v_dual_mul_f32 v75, v4, v17
	ds_load_2addr_b64 v[12:15], v72 offset0:224 offset1:240
	v_dual_add_f32 v11, v66, v11 :: v_dual_fma_f32 v62, v4, v16, -v62
	v_dual_mul_f32 v66, v5, v19 :: v_dual_fmac_f32 v75, v5, v16
	v_mul_f32_e32 v76, v4, v19
	s_delay_alu instid0(VALU_DEP_3) | instskip(NEXT) | instid1(VALU_DEP_3)
	v_dual_add_f32 v64, v64, v68 :: v_dual_add_f32 v62, v74, v62
	v_fma_f32 v4, v4, v18, -v66
	s_wait_dscnt 0x1
	s_delay_alu instid0(VALU_DEP_3) | instskip(SKIP_1) | instid1(VALU_DEP_3)
	v_dual_mul_f32 v66, v0, v19 :: v_dual_fmac_f32 v76, v5, v18
	v_dual_mul_f32 v5, v1, v17 :: v_dual_mul_f32 v17, v0, v17
	v_dual_add_f32 v4, v8, v4 :: v_dual_mul_f32 v8, v1, v19
	s_delay_alu instid0(VALU_DEP_3) | instskip(NEXT) | instid1(VALU_DEP_3)
	v_add_f32_e32 v60, v60, v76
	v_fma_f32 v5, v0, v16, -v5
	s_delay_alu instid0(VALU_DEP_4) | instskip(SKIP_2) | instid1(VALU_DEP_3)
	v_dual_fmac_f32 v17, v1, v16 :: v_dual_fmac_f32 v66, v1, v18
	s_wait_dscnt 0x0
	v_dual_fma_f32 v0, v0, v18, -v8 :: v_dual_mul_f32 v8, v7, v13
	v_add_f32_e32 v5, v10, v5
	s_delay_alu instid0(VALU_DEP_3) | instskip(NEXT) | instid1(VALU_DEP_3)
	v_dual_add_f32 v68, v9, v17 :: v_dual_add_f32 v58, v58, v75
	v_add_f32_e32 v0, v11, v0
	s_delay_alu instid0(VALU_DEP_4)
	v_dual_fma_f32 v1, v6, v12, -v8 :: v_dual_mul_f32 v74, v6, v13
	ds_load_b128 v[8:11], v61 offset:192
	ds_load_2addr_b64 v[16:19], v73 offset1:16
	v_dual_mul_f32 v75, v7, v15 :: v_dual_add_f32 v64, v64, v66
	v_dual_mul_f32 v66, v6, v15 :: v_dual_fmac_f32 v74, v7, v12
	v_add_f32_e32 v1, v62, v1
	s_delay_alu instid0(VALU_DEP_3) | instskip(NEXT) | instid1(VALU_DEP_3)
	v_dual_fma_f32 v6, v6, v14, -v75 :: v_dual_mul_f32 v62, v3, v13
	v_fmac_f32_e32 v66, v7, v14
	s_delay_alu instid0(VALU_DEP_4) | instskip(NEXT) | instid1(VALU_DEP_3)
	v_add_f32_e32 v58, v58, v74
	v_dual_mul_f32 v13, v2, v13 :: v_dual_add_f32 v78, v4, v6
	s_delay_alu instid0(VALU_DEP_3) | instskip(NEXT) | instid1(VALU_DEP_2)
	v_dual_fma_f32 v4, v2, v12, -v62 :: v_dual_add_f32 v60, v60, v66
	v_dual_mul_f32 v6, v3, v15 :: v_dual_fmac_f32 v13, v3, v12
	ds_load_b128 v[74:77], v61 offset:4288
	v_dual_add_f32 v62, v5, v4 :: v_dual_fma_f32 v12, v2, v14, -v6
	s_wait_dscnt 0x1
	v_dual_mul_f32 v2, v2, v15 :: v_dual_mul_f32 v15, v9, v17
	v_add_f32_e32 v66, v68, v13
	v_mul_f32_e32 v68, v8, v17
	s_delay_alu instid0(VALU_DEP_3) | instskip(NEXT) | instid1(VALU_DEP_4)
	v_dual_add_f32 v79, v0, v12 :: v_dual_fmac_f32 v2, v3, v14
	v_fma_f32 v0, v8, v16, -v15
	ds_load_2addr_b64 v[12:15], v73 offset0:32 offset1:48
	v_mul_f32_e32 v3, v9, v19
	ds_load_b128 v[4:7], v61 offset:208
	v_dual_fmac_f32 v68, v9, v16 :: v_dual_mul_f32 v81, v8, v19
	v_dual_add_f32 v64, v64, v2 :: v_dual_add_f32 v80, v1, v0
	s_delay_alu instid0(VALU_DEP_2) | instskip(SKIP_1) | instid1(VALU_DEP_3)
	v_dual_fma_f32 v8, v8, v18, -v3 :: v_dual_add_f32 v58, v58, v68
	s_wait_dscnt 0x2
	v_dual_mul_f32 v68, v75, v17 :: v_dual_fmac_f32 v81, v9, v18
	v_mul_f32_e32 v9, v74, v17
	s_delay_alu instid0(VALU_DEP_3) | instskip(NEXT) | instid1(VALU_DEP_3)
	v_dual_add_f32 v8, v78, v8 :: v_dual_mul_f32 v17, v75, v19
	v_dual_fma_f32 v68, v74, v16, -v68 :: v_dual_add_f32 v60, v60, v81
	s_delay_alu instid0(VALU_DEP_3) | instskip(NEXT) | instid1(VALU_DEP_3)
	v_dual_fmac_f32 v9, v75, v16 :: v_dual_mul_f32 v78, v74, v19
	v_fma_f32 v16, v74, v18, -v17
	s_wait_dscnt 0x1
	s_delay_alu instid0(VALU_DEP_3) | instskip(NEXT) | instid1(VALU_DEP_3)
	v_dual_add_f32 v62, v62, v68 :: v_dual_mul_f32 v17, v11, v13
	v_dual_add_f32 v9, v66, v9 :: v_dual_fmac_f32 v78, v75, v18
	s_delay_alu instid0(VALU_DEP_3) | instskip(NEXT) | instid1(VALU_DEP_3)
	v_dual_add_f32 v66, v79, v16 :: v_dual_mul_f32 v68, v10, v13
	v_fma_f32 v74, v10, v12, -v17
	ds_load_2addr_b64 v[16:19], v73 offset0:64 offset1:80
	v_dual_mul_f32 v75, v11, v15 :: v_dual_add_f32 v64, v64, v78
	v_dual_fmac_f32 v68, v11, v12 :: v_dual_add_f32 v74, v80, v74
	s_delay_alu instid0(VALU_DEP_2)
	v_dual_mul_f32 v78, v10, v15 :: v_dual_fma_f32 v10, v10, v14, -v75
	v_dual_mul_f32 v75, v77, v13 :: v_dual_mul_f32 v13, v76, v13
	ds_load_b128 v[0:3], v61 offset:4304
	v_dual_add_f32 v58, v58, v68 :: v_dual_fmac_f32 v78, v11, v14
	v_dual_add_f32 v8, v8, v10 :: v_dual_fmac_f32 v13, v77, v12
	v_dual_fma_f32 v10, v76, v12, -v75 :: v_dual_mul_f32 v11, v77, v15
	v_mul_f32_e32 v68, v76, v15
	s_delay_alu instid0(VALU_DEP_3) | instskip(NEXT) | instid1(VALU_DEP_3)
	v_dual_add_f32 v60, v60, v78 :: v_dual_add_f32 v9, v9, v13
	v_add_f32_e32 v10, v62, v10
	s_wait_dscnt 0x1
	v_dual_fma_f32 v11, v76, v14, -v11 :: v_dual_mul_f32 v62, v5, v17
	v_dual_fmac_f32 v68, v77, v14 :: v_dual_mul_f32 v75, v4, v17
	ds_load_2addr_b64 v[12:15], v73 offset0:96 offset1:112
	v_dual_add_f32 v11, v66, v11 :: v_dual_fma_f32 v62, v4, v16, -v62
	v_dual_mul_f32 v66, v5, v19 :: v_dual_fmac_f32 v75, v5, v16
	v_mul_f32_e32 v76, v4, v19
	s_delay_alu instid0(VALU_DEP_3) | instskip(NEXT) | instid1(VALU_DEP_3)
	v_dual_add_f32 v64, v64, v68 :: v_dual_add_f32 v62, v74, v62
	v_fma_f32 v4, v4, v18, -v66
	s_wait_dscnt 0x1
	s_delay_alu instid0(VALU_DEP_3) | instskip(SKIP_1) | instid1(VALU_DEP_3)
	v_dual_mul_f32 v66, v0, v19 :: v_dual_fmac_f32 v76, v5, v18
	v_dual_mul_f32 v5, v1, v17 :: v_dual_mul_f32 v17, v0, v17
	v_dual_add_f32 v4, v8, v4 :: v_dual_mul_f32 v8, v1, v19
	s_delay_alu instid0(VALU_DEP_3) | instskip(NEXT) | instid1(VALU_DEP_3)
	v_add_f32_e32 v60, v60, v76
	v_fma_f32 v5, v0, v16, -v5
	s_delay_alu instid0(VALU_DEP_4) | instskip(SKIP_2) | instid1(VALU_DEP_3)
	v_dual_fmac_f32 v17, v1, v16 :: v_dual_fmac_f32 v66, v1, v18
	s_wait_dscnt 0x0
	v_dual_fma_f32 v0, v0, v18, -v8 :: v_dual_mul_f32 v8, v7, v13
	v_add_f32_e32 v5, v10, v5
	s_delay_alu instid0(VALU_DEP_3) | instskip(NEXT) | instid1(VALU_DEP_3)
	v_dual_add_f32 v68, v9, v17 :: v_dual_add_f32 v58, v58, v75
	v_add_f32_e32 v0, v11, v0
	s_delay_alu instid0(VALU_DEP_4)
	v_dual_fma_f32 v1, v6, v12, -v8 :: v_dual_mul_f32 v74, v6, v13
	ds_load_b128 v[8:11], v61 offset:224
	ds_load_2addr_b64 v[16:19], v73 offset0:128 offset1:144
	v_dual_mul_f32 v75, v7, v15 :: v_dual_add_f32 v64, v64, v66
	v_dual_mul_f32 v66, v6, v15 :: v_dual_fmac_f32 v74, v7, v12
	v_add_f32_e32 v62, v62, v1
	s_delay_alu instid0(VALU_DEP_3) | instskip(NEXT) | instid1(VALU_DEP_3)
	v_dual_fma_f32 v6, v6, v14, -v75 :: v_dual_mul_f32 v1, v3, v13
	v_fmac_f32_e32 v66, v7, v14
	s_delay_alu instid0(VALU_DEP_4) | instskip(NEXT) | instid1(VALU_DEP_3)
	v_add_f32_e32 v58, v58, v74
	v_dual_mul_f32 v13, v2, v13 :: v_dual_add_f32 v78, v4, v6
	s_delay_alu instid0(VALU_DEP_3)
	v_dual_fma_f32 v1, v2, v12, -v1 :: v_dual_add_f32 v60, v60, v66
	v_mul_f32_e32 v4, v3, v15
	ds_load_b128 v[74:77], v61 offset:4320
	v_dual_fmac_f32 v13, v3, v12 :: v_dual_add_f32 v66, v5, v1
	v_dual_mul_f32 v12, v2, v15 :: v_dual_fma_f32 v1, v2, v14, -v4
	s_wait_dscnt 0x1
	v_mul_f32_e32 v2, v9, v17
	s_delay_alu instid0(VALU_DEP_3)
	v_add_f32_e32 v68, v68, v13
	ds_load_b128 v[4:7], v61 offset:240
	v_dual_fmac_f32 v12, v3, v14 :: v_dual_mul_f32 v80, v8, v17
	v_fma_f32 v13, v8, v16, -v2
	v_add_f32_e32 v79, v0, v1
	ds_load_2addr_b64 v[0:3], v73 offset0:160 offset1:176
	v_dual_mul_f32 v14, v9, v19 :: v_dual_fmac_f32 v80, v9, v16
	v_mul_f32_e32 v81, v8, v19
	v_dual_add_f32 v64, v64, v12 :: v_dual_add_f32 v62, v62, v13
	s_delay_alu instid0(VALU_DEP_3) | instskip(SKIP_1) | instid1(VALU_DEP_3)
	v_dual_fma_f32 v8, v8, v18, -v14 :: v_dual_add_f32 v58, v58, v80
	s_wait_dscnt 0x2
	v_dual_mul_f32 v82, v75, v17 :: v_dual_fmac_f32 v81, v9, v18
	v_mul_f32_e32 v9, v74, v17
	s_delay_alu instid0(VALU_DEP_3) | instskip(NEXT) | instid1(VALU_DEP_3)
	v_dual_add_f32 v8, v78, v8 :: v_dual_mul_f32 v78, v75, v19
	v_dual_fma_f32 v17, v74, v16, -v82 :: v_dual_add_f32 v60, v60, v81
	s_delay_alu instid0(VALU_DEP_3) | instskip(NEXT) | instid1(VALU_DEP_3)
	v_dual_fmac_f32 v9, v75, v16 :: v_dual_mul_f32 v80, v74, v19
	v_fma_f32 v16, v74, v18, -v78
	s_delay_alu instid0(VALU_DEP_3)
	v_add_f32_e32 v66, v66, v17
	ds_load_b128 v[12:15], v61 offset:4336
	s_wait_dscnt 0x1
	v_mul_f32_e32 v17, v11, v1
	v_dual_add_f32 v9, v68, v9 :: v_dual_add_f32 v74, v79, v16
	v_dual_fmac_f32 v80, v75, v18 :: v_dual_mul_f32 v68, v10, v1
	s_delay_alu instid0(VALU_DEP_3) | instskip(SKIP_3) | instid1(VALU_DEP_2)
	v_fma_f32 v75, v10, v0, -v17
	ds_load_2addr_b64 v[16:19], v73 offset0:192 offset1:208
	v_dual_mul_f32 v78, v11, v3 :: v_dual_add_f32 v64, v64, v80
	v_dual_fmac_f32 v68, v11, v0 :: v_dual_add_f32 v62, v62, v75
	v_dual_mul_f32 v75, v10, v3 :: v_dual_fma_f32 v10, v10, v2, -v78
	s_delay_alu instid0(VALU_DEP_2) | instskip(NEXT) | instid1(VALU_DEP_2)
	v_dual_add_f32 v58, v58, v68 :: v_dual_mul_f32 v68, v77, v1
	v_dual_mul_f32 v1, v76, v1 :: v_dual_fmac_f32 v75, v11, v2
	s_delay_alu instid0(VALU_DEP_3) | instskip(NEXT) | instid1(VALU_DEP_2)
	v_dual_add_f32 v8, v8, v10 :: v_dual_mul_f32 v10, v77, v3
	v_dual_fma_f32 v11, v76, v0, -v68 :: v_dual_fmac_f32 v1, v77, v0
	v_mul_f32_e32 v68, v76, v3
	s_delay_alu instid0(VALU_DEP_4) | instskip(NEXT) | instid1(VALU_DEP_3)
	v_add_f32_e32 v60, v60, v75
	v_dual_fma_f32 v0, v76, v2, -v10 :: v_dual_add_f32 v10, v66, v11
	s_wait_dscnt 0x0
	v_mul_f32_e32 v11, v5, v17
	v_add_f32_e32 v9, v9, v1
	s_delay_alu instid0(VALU_DEP_3) | instskip(SKIP_3) | instid1(VALU_DEP_2)
	v_dual_fmac_f32 v68, v77, v2 :: v_dual_add_f32 v66, v74, v0
	ds_load_2addr_b64 v[0:3], v73 offset0:224 offset1:240
	v_dual_mul_f32 v74, v4, v17 :: v_dual_fma_f32 v11, v4, v16, -v11
	v_dual_add_f32 v64, v64, v68 :: v_dual_mul_f32 v68, v5, v19
	v_dual_mul_f32 v75, v4, v19 :: v_dual_fmac_f32 v74, v5, v16
	s_delay_alu instid0(VALU_DEP_3) | instskip(NEXT) | instid1(VALU_DEP_2)
	v_dual_add_f32 v11, v62, v11 :: v_dual_mul_f32 v62, v13, v17
	v_dual_fma_f32 v4, v4, v18, -v68 :: v_dual_fmac_f32 v75, v5, v18
	s_delay_alu instid0(VALU_DEP_3) | instskip(NEXT) | instid1(VALU_DEP_3)
	v_dual_add_f32 v58, v58, v74 :: v_dual_mul_f32 v5, v12, v17
	v_fma_f32 v17, v12, v16, -v62
	s_delay_alu instid0(VALU_DEP_3) | instskip(NEXT) | instid1(VALU_DEP_3)
	v_dual_add_f32 v4, v8, v4 :: v_dual_mul_f32 v8, v13, v19
	v_dual_add_f32 v60, v60, v75 :: v_dual_fmac_f32 v5, v13, v16
	s_delay_alu instid0(VALU_DEP_3) | instskip(SKIP_1) | instid1(VALU_DEP_3)
	v_dual_add_f32 v10, v10, v17 :: v_dual_mul_f32 v16, v12, v19
	s_wait_dscnt 0x0
	v_dual_fma_f32 v8, v12, v18, -v8 :: v_dual_mul_f32 v12, v7, v1
	v_mul_f32_e32 v17, v6, v1
	v_add_f32_e32 v5, v9, v5
	s_delay_alu instid0(VALU_DEP_3) | instskip(NEXT) | instid1(VALU_DEP_4)
	v_dual_fmac_f32 v16, v13, v18 :: v_dual_add_f32 v8, v66, v8
	v_dual_fma_f32 v9, v6, v0, -v12 :: v_dual_mul_f32 v12, v7, v3
	s_delay_alu instid0(VALU_DEP_4) | instskip(NEXT) | instid1(VALU_DEP_2)
	v_dual_fmac_f32 v17, v7, v0 :: v_dual_mul_f32 v13, v6, v3
	v_dual_add_f32 v16, v64, v16 :: v_dual_add_f32 v66, v11, v9
	s_delay_alu instid0(VALU_DEP_3) | instskip(NEXT) | instid1(VALU_DEP_3)
	v_fma_f32 v6, v6, v2, -v12
	v_dual_add_f32 v68, v58, v17 :: v_dual_fmac_f32 v13, v7, v2
	v_dual_mul_f32 v7, v15, v1 :: v_dual_mul_f32 v1, v14, v1
	v_dual_mul_f32 v9, v15, v3 :: v_dual_mul_f32 v3, v14, v3
	s_delay_alu instid0(VALU_DEP_2) | instskip(NEXT) | instid1(VALU_DEP_3)
	v_dual_add_f32 v62, v4, v6 :: v_dual_fma_f32 v4, v14, v0, -v7
	v_fmac_f32_e32 v1, v15, v0
	s_delay_alu instid0(VALU_DEP_3) | instskip(NEXT) | instid1(VALU_DEP_3)
	v_dual_fma_f32 v0, v14, v2, -v9 :: v_dual_add_f32 v64, v60, v13
	v_dual_fmac_f32 v3, v15, v2 :: v_dual_add_f32 v58, v10, v4
	s_delay_alu instid0(VALU_DEP_2) | instskip(NEXT) | instid1(VALU_DEP_2)
	v_dual_add_f32 v60, v5, v1 :: v_dual_add_f32 v18, v8, v0
	v_add_f32_e32 v16, v16, v3
	s_barrier_signal -1
	s_barrier_wait -1
	s_cbranch_scc1 .LBB84_56
.LBB84_11:                              ;   Parent Loop BB84_4 Depth=1
                                        ;     Parent Loop BB84_8 Depth=2
                                        ; =>    This Inner Loop Header: Depth=3
	v_add_nc_u64_e32 v[0:1], s[52:53], v[38:39]
	v_cmp_eq_u64_e64 s7, s[52:53], v[52:53]
	v_add_nc_u64_e32 v[2:3], v[44:45], v[54:55]
	s_delay_alu instid0(VALU_DEP_3) | instskip(SKIP_3) | instid1(SALU_CYCLE_1)
	v_cmp_lt_i64_e64 s5, v[0:1], v[40:41]
	v_cmp_le_i64_e64 s6, s[42:43], v[0:1]
	s_and_b32 s62, s56, s7
	s_or_b32 s8, vcc_lo, s5
	s_or_b32 s7, s6, s8
	s_delay_alu instid0(SALU_CYCLE_1) | instskip(NEXT) | instid1(SALU_CYCLE_1)
	s_nor_b32 s7, s7, s62
	s_and_saveexec_b32 s8, s7
	s_delay_alu instid0(SALU_CYCLE_1)
	s_xor_b32 s7, exec_lo, s8
	s_cbranch_execz .LBB84_13
; %bb.12:                               ;   in Loop: Header=BB84_11 Depth=3
	global_load_b64 v[4:5], v[2:3], off
	s_wait_loadcnt 0x0
	ds_store_b64 v63, v[4:5]
.LBB84_13:                              ;   in Loop: Header=BB84_11 Depth=3
	s_wait_xcnt 0x0
	s_or_saveexec_b32 s7, s7
	s_xor_b32 s61, s62, -1
	s_xor_b32 exec_lo, exec_lo, s7
	s_cbranch_execz .LBB84_19
; %bb.14:                               ;   in Loop: Header=BB84_11 Depth=3
	s_and_saveexec_b32 s8, s61
	s_delay_alu instid0(SALU_CYCLE_1)
	s_xor_b32 s8, exec_lo, s8
; %bb.15:                               ;   in Loop: Header=BB84_11 Depth=3
	ds_store_b64 v63, v[26:27]
; %bb.16:                               ;   in Loop: Header=BB84_11 Depth=3
	s_and_not1_saveexec_b32 s8, s8
; %bb.17:                               ;   in Loop: Header=BB84_11 Depth=3
	ds_store_b64 v63, v[28:29]
; %bb.18:                               ;   in Loop: Header=BB84_11 Depth=3
	s_or_b32 exec_lo, exec_lo, s8
.LBB84_19:                              ;   in Loop: Header=BB84_11 Depth=3
	s_delay_alu instid0(SALU_CYCLE_1) | instskip(SKIP_2) | instid1(VALU_DEP_2)
	s_or_b32 exec_lo, exec_lo, s7
	v_add_nc_u64_e32 v[4:5], 16, v[0:1]
	v_add_nc_u64_e32 v[6:7], -16, v[52:53]
	v_cmp_lt_i64_e64 s8, v[4:5], v[40:41]
	s_delay_alu instid0(VALU_DEP_2) | instskip(SKIP_4) | instid1(SALU_CYCLE_1)
	v_cmp_eq_u64_e64 s9, s[52:53], v[6:7]
	v_cmp_le_i64_e64 s7, s[42:43], v[4:5]
	s_or_b32 s8, vcc_lo, s8
	s_and_b32 s9, s56, s9
	s_or_b32 s8, s7, s8
	s_nor_b32 s8, s8, s9
	s_delay_alu instid0(SALU_CYCLE_1) | instskip(NEXT) | instid1(SALU_CYCLE_1)
	s_and_saveexec_b32 s63, s8
	s_xor_b32 s8, exec_lo, s63
	s_cbranch_execz .LBB84_21
; %bb.20:                               ;   in Loop: Header=BB84_11 Depth=3
	global_load_b64 v[2:3], v[2:3], off offset:128
	s_wait_loadcnt 0x0
	ds_store_b64 v63, v[2:3] offset:128
.LBB84_21:                              ;   in Loop: Header=BB84_11 Depth=3
	s_wait_xcnt 0x0
	s_and_not1_saveexec_b32 s8, s8
	s_cbranch_execz .LBB84_27
; %bb.22:                               ;   in Loop: Header=BB84_11 Depth=3
	s_xor_b32 s9, s9, -1
	s_delay_alu instid0(SALU_CYCLE_1) | instskip(NEXT) | instid1(SALU_CYCLE_1)
	s_and_saveexec_b32 s63, s9
	s_xor_b32 s9, exec_lo, s63
; %bb.23:                               ;   in Loop: Header=BB84_11 Depth=3
	ds_store_b64 v63, v[26:27] offset:128
; %bb.24:                               ;   in Loop: Header=BB84_11 Depth=3
	s_and_not1_saveexec_b32 s9, s9
; %bb.25:                               ;   in Loop: Header=BB84_11 Depth=3
	ds_store_b64 v63, v[28:29] offset:128
; %bb.26:                               ;   in Loop: Header=BB84_11 Depth=3
	s_or_b32 exec_lo, exec_lo, s9
.LBB84_27:                              ;   in Loop: Header=BB84_11 Depth=3
	s_delay_alu instid0(SALU_CYCLE_1) | instskip(SKIP_3) | instid1(VALU_DEP_3)
	s_or_b32 exec_lo, exec_lo, s8
	v_add_nc_u64_e32 v[2:3], 16, v[52:53]
	v_cmp_lt_i64_e64 s9, v[0:1], v[50:51]
	v_add_nc_u64_e32 v[0:1], v[46:47], v[54:55]
	v_cmp_eq_u64_e64 s8, s[52:53], v[2:3]
	s_or_b32 s9, s4, s9
	s_and_b32 s8, s56, s8
	s_delay_alu instid0(SALU_CYCLE_1) | instskip(NEXT) | instid1(SALU_CYCLE_1)
	s_or_b32 s9, s9, s8
	s_nor_b32 s6, s6, s9
	s_delay_alu instid0(SALU_CYCLE_1) | instskip(NEXT) | instid1(SALU_CYCLE_1)
	s_and_saveexec_b32 s9, s6
	s_xor_b32 s6, exec_lo, s9
	s_cbranch_execz .LBB84_29
; %bb.28:                               ;   in Loop: Header=BB84_11 Depth=3
	global_load_b64 v[2:3], v[0:1], off
	s_wait_loadcnt 0x0
	ds_store_b64 v63, v[2:3] offset:4096
.LBB84_29:                              ;   in Loop: Header=BB84_11 Depth=3
	s_wait_xcnt 0x0
	s_and_not1_saveexec_b32 s6, s6
	s_cbranch_execz .LBB84_35
; %bb.30:                               ;   in Loop: Header=BB84_11 Depth=3
	s_xor_b32 s8, s8, -1
	s_delay_alu instid0(SALU_CYCLE_1) | instskip(NEXT) | instid1(SALU_CYCLE_1)
	s_and_saveexec_b32 s9, s8
	s_xor_b32 s8, exec_lo, s9
; %bb.31:                               ;   in Loop: Header=BB84_11 Depth=3
	ds_store_b64 v63, v[26:27] offset:4096
; %bb.32:                               ;   in Loop: Header=BB84_11 Depth=3
	s_and_not1_saveexec_b32 s8, s8
; %bb.33:                               ;   in Loop: Header=BB84_11 Depth=3
	ds_store_b64 v63, v[28:29] offset:4096
; %bb.34:                               ;   in Loop: Header=BB84_11 Depth=3
	s_or_b32 exec_lo, exec_lo, s8
.LBB84_35:                              ;   in Loop: Header=BB84_11 Depth=3
	s_delay_alu instid0(SALU_CYCLE_1) | instskip(SKIP_1) | instid1(SALU_CYCLE_1)
	s_or_b32 exec_lo, exec_lo, s6
	s_or_b32 s5, s4, s5
	s_or_b32 s5, s7, s5
	s_delay_alu instid0(SALU_CYCLE_1) | instskip(NEXT) | instid1(SALU_CYCLE_1)
	s_nor_b32 s5, s5, s62
	s_and_saveexec_b32 s6, s5
	s_delay_alu instid0(SALU_CYCLE_1)
	s_xor_b32 s5, exec_lo, s6
	s_cbranch_execz .LBB84_37
; %bb.36:                               ;   in Loop: Header=BB84_11 Depth=3
	global_load_b64 v[0:1], v[0:1], off offset:128
	s_wait_loadcnt 0x0
	ds_store_b64 v63, v[0:1] offset:4224
.LBB84_37:                              ;   in Loop: Header=BB84_11 Depth=3
	s_wait_xcnt 0x0
	s_and_not1_saveexec_b32 s5, s5
	s_cbranch_execz .LBB84_43
; %bb.38:                               ;   in Loop: Header=BB84_11 Depth=3
	s_and_saveexec_b32 s6, s61
	s_delay_alu instid0(SALU_CYCLE_1)
	s_xor_b32 s6, exec_lo, s6
; %bb.39:                               ;   in Loop: Header=BB84_11 Depth=3
	ds_store_b64 v63, v[26:27] offset:4224
; %bb.40:                               ;   in Loop: Header=BB84_11 Depth=3
	s_and_not1_saveexec_b32 s6, s6
; %bb.41:                               ;   in Loop: Header=BB84_11 Depth=3
	ds_store_b64 v63, v[28:29] offset:4224
; %bb.42:                               ;   in Loop: Header=BB84_11 Depth=3
	s_or_b32 exec_lo, exec_lo, s6
.LBB84_43:                              ;   in Loop: Header=BB84_11 Depth=3
	s_delay_alu instid0(SALU_CYCLE_1) | instskip(SKIP_3) | instid1(VALU_DEP_3)
	s_or_b32 exec_lo, exec_lo, s5
	v_add_nc_u64_e32 v[0:1], s[52:53], v[36:37]
	v_add_nc_u64_e32 v[2:3], v[56:57], v[42:43]
	v_mov_b64_e32 v[4:5], 0
	v_cmp_le_i64_e64 s5, s[42:43], v[0:1]
	s_nor_b32 s7, s5, s2
	s_delay_alu instid0(SALU_CYCLE_1)
	s_and_saveexec_b32 s6, s7
	s_cbranch_execz .LBB84_45
; %bb.44:                               ;   in Loop: Header=BB84_11 Depth=3
	global_load_b64 v[4:5], v[2:3], off offset:-128
.LBB84_45:                              ;   in Loop: Header=BB84_11 Depth=3
	s_wait_xcnt 0x0
	s_or_b32 exec_lo, exec_lo, s6
	s_nor_b32 s5, s5, s3
	s_wait_loadcnt 0x0
	ds_store_b64 v67, v[4:5]
	s_and_saveexec_b32 s6, s5
	s_delay_alu instid0(SALU_CYCLE_1)
	s_xor_b32 s5, exec_lo, s6
	s_cbranch_execz .LBB84_47
; %bb.46:                               ;   in Loop: Header=BB84_11 Depth=3
	global_load_b64 v[2:3], v[2:3], off
	s_wait_loadcnt 0x0
	ds_store_b64 v67, v[2:3] offset:128
.LBB84_47:                              ;   in Loop: Header=BB84_11 Depth=3
	s_wait_xcnt 0x0
	s_and_not1_saveexec_b32 s5, s5
; %bb.48:                               ;   in Loop: Header=BB84_11 Depth=3
	ds_store_b64 v67, v[26:27] offset:128
; %bb.49:                               ;   in Loop: Header=BB84_11 Depth=3
	s_or_b32 exec_lo, exec_lo, s5
	v_cmp_le_i64_e64 s5, s[48:49], v[0:1]
	v_add_nc_u64_e32 v[0:1], v[56:57], v[48:49]
	v_mov_b64_e32 v[2:3], 0
	s_nor_b32 s7, s5, s2
	s_delay_alu instid0(SALU_CYCLE_1)
	s_and_saveexec_b32 s6, s7
	s_cbranch_execz .LBB84_51
; %bb.50:                               ;   in Loop: Header=BB84_11 Depth=3
	global_load_b64 v[2:3], v[0:1], off offset:-128
.LBB84_51:                              ;   in Loop: Header=BB84_11 Depth=3
	s_wait_xcnt 0x0
	s_or_b32 exec_lo, exec_lo, s6
	s_nor_b32 s5, s5, s3
	s_wait_loadcnt 0x0
	ds_store_b64 v67, v[2:3] offset:4096
	s_and_saveexec_b32 s6, s5
	s_delay_alu instid0(SALU_CYCLE_1)
	s_xor_b32 s5, exec_lo, s6
	s_cbranch_execz .LBB84_53
; %bb.52:                               ;   in Loop: Header=BB84_11 Depth=3
	global_load_b64 v[0:1], v[0:1], off
	s_wait_loadcnt 0x0
	ds_store_b64 v67, v[0:1] offset:4224
.LBB84_53:                              ;   in Loop: Header=BB84_11 Depth=3
	s_wait_xcnt 0x0
	s_and_not1_saveexec_b32 s5, s5
	s_cbranch_execz .LBB84_10
; %bb.54:                               ;   in Loop: Header=BB84_11 Depth=3
	ds_store_b64 v67, v[26:27] offset:4224
	s_branch .LBB84_10
.LBB84_55:                              ;   in Loop: Header=BB84_8 Depth=2
	v_dual_mov_b32 v66, 0 :: v_dual_mov_b32 v68, 0
	v_dual_mov_b32 v62, 0 :: v_dual_mov_b32 v64, 0
	;; [unrolled: 1-line block ×4, first 2 shown]
.LBB84_56:                              ;   in Loop: Header=BB84_8 Depth=2
	v_mul_u64_e32 v[0:1], s[28:29], v[40:41]
	v_cmp_gt_i32_e32 vcc_lo, s10, v40
	s_and_b32 s5, s0, vcc_lo
	s_delay_alu instid0(VALU_DEP_2)
	v_lshl_add_u64 v[0:1], v[0:1], 3, s[50:51]
	s_and_saveexec_b32 s4, s5
	s_cbranch_execz .LBB84_58
; %bb.57:                               ;   in Loop: Header=BB84_8 Depth=2
	s_delay_alu instid0(VALU_DEP_1) | instskip(SKIP_4) | instid1(VALU_DEP_2)
	v_lshl_add_u64 v[2:3], v[20:21], 3, v[0:1]
	v_pk_mul_f32 v[6:7], v[68:69], v[34:35] op_sel_hi:[0,1]
	global_load_b64 v[4:5], v[2:3], off
	v_pk_fma_f32 v[8:9], v[66:67], v[30:31], v[6:7] op_sel_hi:[0,1,1]
	v_pk_fma_f32 v[6:7], v[66:67], v[30:31], v[6:7] neg_lo:[0,0,1] neg_hi:[0,0,1]
	v_mov_b32_e32 v7, v9
	s_wait_loadcnt 0x0
	s_delay_alu instid0(VALU_DEP_1)
	v_pk_add_f32 v[4:5], v[4:5], v[6:7]
	global_store_b64 v[2:3], v[4:5], off
.LBB84_58:                              ;   in Loop: Header=BB84_8 Depth=2
	s_wait_xcnt 0x0
	s_or_b32 exec_lo, exec_lo, s4
	s_and_b32 s5, s1, vcc_lo
	s_delay_alu instid0(SALU_CYCLE_1)
	s_and_saveexec_b32 s4, s5
	s_cbranch_execz .LBB84_60
; %bb.59:                               ;   in Loop: Header=BB84_8 Depth=2
	v_lshl_add_u64 v[0:1], v[22:23], 3, v[0:1]
	v_pk_mul_f32 v[4:5], v[64:65], v[34:35] op_sel_hi:[0,1]
	global_load_b64 v[2:3], v[0:1], off
	v_pk_fma_f32 v[6:7], v[62:63], v[30:31], v[4:5] op_sel_hi:[0,1,1]
	v_pk_fma_f32 v[4:5], v[62:63], v[30:31], v[4:5] neg_lo:[0,0,1] neg_hi:[0,0,1]
	s_delay_alu instid0(VALU_DEP_2) | instskip(SKIP_1) | instid1(VALU_DEP_1)
	v_mov_b32_e32 v5, v7
	s_wait_loadcnt 0x0
	v_pk_add_f32 v[2:3], v[2:3], v[4:5]
	global_store_b64 v[0:1], v[2:3], off
.LBB84_60:                              ;   in Loop: Header=BB84_8 Depth=2
	s_wait_xcnt 0x0
	s_or_b32 exec_lo, exec_lo, s4
	v_add_nc_u32_e32 v0, 16, v40
	s_delay_alu instid0(VALU_DEP_1) | instskip(SKIP_1) | instid1(VALU_DEP_2)
	v_ashrrev_i32_e32 v1, 31, v0
	v_cmp_gt_i32_e32 vcc_lo, s10, v0
	v_mul_u64_e32 v[2:3], s[28:29], v[0:1]
	s_and_b32 s5, s0, vcc_lo
	s_delay_alu instid0(VALU_DEP_1)
	v_lshl_add_u64 v[0:1], v[2:3], 3, s[50:51]
	s_and_saveexec_b32 s4, s5
	s_cbranch_execz .LBB84_62
; %bb.61:                               ;   in Loop: Header=BB84_8 Depth=2
	s_delay_alu instid0(VALU_DEP_1) | instskip(SKIP_4) | instid1(VALU_DEP_2)
	v_lshl_add_u64 v[2:3], v[20:21], 3, v[0:1]
	v_pk_mul_f32 v[6:7], v[60:61], v[34:35] op_sel_hi:[0,1]
	global_load_b64 v[4:5], v[2:3], off
	v_pk_fma_f32 v[8:9], v[58:59], v[30:31], v[6:7] op_sel_hi:[0,1,1]
	v_pk_fma_f32 v[6:7], v[58:59], v[30:31], v[6:7] neg_lo:[0,0,1] neg_hi:[0,0,1]
	v_mov_b32_e32 v7, v9
	s_wait_loadcnt 0x0
	s_delay_alu instid0(VALU_DEP_1)
	v_pk_add_f32 v[4:5], v[4:5], v[6:7]
	global_store_b64 v[2:3], v[4:5], off
.LBB84_62:                              ;   in Loop: Header=BB84_8 Depth=2
	s_wait_xcnt 0x0
	s_or_b32 exec_lo, exec_lo, s4
	s_and_b32 s5, s1, vcc_lo
	s_delay_alu instid0(SALU_CYCLE_1)
	s_and_saveexec_b32 s4, s5
	s_cbranch_execz .LBB84_7
; %bb.63:                               ;   in Loop: Header=BB84_8 Depth=2
	v_lshl_add_u64 v[0:1], v[22:23], 3, v[0:1]
	v_pk_mul_f32 v[4:5], v[16:17], v[34:35] op_sel_hi:[0,1]
	global_load_b64 v[2:3], v[0:1], off
	v_pk_fma_f32 v[6:7], v[18:19], v[30:31], v[4:5] op_sel_hi:[0,1,1]
	v_pk_fma_f32 v[4:5], v[18:19], v[30:31], v[4:5] neg_lo:[0,0,1] neg_hi:[0,0,1]
	s_delay_alu instid0(VALU_DEP_2) | instskip(SKIP_1) | instid1(VALU_DEP_1)
	v_mov_b32_e32 v5, v7
	s_wait_loadcnt 0x0
	v_pk_add_f32 v[2:3], v[2:3], v[4:5]
	global_store_b64 v[0:1], v[2:3], off
	s_branch .LBB84_7
.LBB84_64:
	s_sendmsg sendmsg(MSG_DEALLOC_VGPRS)
	s_endpgm
	.section	.rodata,"a",@progbits
	.p2align	6, 0x0
	.amdhsa_kernel _ZL30rocblas_trmm_outofplace_kernelI19rocblas_complex_numIfELi32ELi2ELb0ELb0ELb0ELb0EPKS1_S2_S1_Ev17rocblas_diagonal_iiT6_lPT7_lllS7_lllPT8_llli
		.amdhsa_group_segment_fixed_size 16384
		.amdhsa_private_segment_fixed_size 0
		.amdhsa_kernarg_size 392
		.amdhsa_user_sgpr_count 2
		.amdhsa_user_sgpr_dispatch_ptr 0
		.amdhsa_user_sgpr_queue_ptr 0
		.amdhsa_user_sgpr_kernarg_segment_ptr 1
		.amdhsa_user_sgpr_dispatch_id 0
		.amdhsa_user_sgpr_kernarg_preload_length 0
		.amdhsa_user_sgpr_kernarg_preload_offset 0
		.amdhsa_user_sgpr_private_segment_size 0
		.amdhsa_wavefront_size32 1
		.amdhsa_uses_dynamic_stack 0
		.amdhsa_enable_private_segment 0
		.amdhsa_system_sgpr_workgroup_id_x 1
		.amdhsa_system_sgpr_workgroup_id_y 1
		.amdhsa_system_sgpr_workgroup_id_z 1
		.amdhsa_system_sgpr_workgroup_info 0
		.amdhsa_system_vgpr_workitem_id 1
		.amdhsa_next_free_vgpr 95
		.amdhsa_next_free_sgpr 64
		.amdhsa_named_barrier_count 0
		.amdhsa_reserve_vcc 1
		.amdhsa_float_round_mode_32 0
		.amdhsa_float_round_mode_16_64 0
		.amdhsa_float_denorm_mode_32 3
		.amdhsa_float_denorm_mode_16_64 3
		.amdhsa_fp16_overflow 0
		.amdhsa_memory_ordered 1
		.amdhsa_forward_progress 1
		.amdhsa_inst_pref_size 60
		.amdhsa_round_robin_scheduling 0
		.amdhsa_exception_fp_ieee_invalid_op 0
		.amdhsa_exception_fp_denorm_src 0
		.amdhsa_exception_fp_ieee_div_zero 0
		.amdhsa_exception_fp_ieee_overflow 0
		.amdhsa_exception_fp_ieee_underflow 0
		.amdhsa_exception_fp_ieee_inexact 0
		.amdhsa_exception_int_div_zero 0
	.end_amdhsa_kernel
	.section	.text._ZL30rocblas_trmm_outofplace_kernelI19rocblas_complex_numIfELi32ELi2ELb0ELb0ELb0ELb0EPKS1_S2_S1_Ev17rocblas_diagonal_iiT6_lPT7_lllS7_lllPT8_llli,"axG",@progbits,_ZL30rocblas_trmm_outofplace_kernelI19rocblas_complex_numIfELi32ELi2ELb0ELb0ELb0ELb0EPKS1_S2_S1_Ev17rocblas_diagonal_iiT6_lPT7_lllS7_lllPT8_llli,comdat
.Lfunc_end84:
	.size	_ZL30rocblas_trmm_outofplace_kernelI19rocblas_complex_numIfELi32ELi2ELb0ELb0ELb0ELb0EPKS1_S2_S1_Ev17rocblas_diagonal_iiT6_lPT7_lllS7_lllPT8_llli, .Lfunc_end84-_ZL30rocblas_trmm_outofplace_kernelI19rocblas_complex_numIfELi32ELi2ELb0ELb0ELb0ELb0EPKS1_S2_S1_Ev17rocblas_diagonal_iiT6_lPT7_lllS7_lllPT8_llli
                                        ; -- End function
	.set _ZL30rocblas_trmm_outofplace_kernelI19rocblas_complex_numIfELi32ELi2ELb0ELb0ELb0ELb0EPKS1_S2_S1_Ev17rocblas_diagonal_iiT6_lPT7_lllS7_lllPT8_llli.num_vgpr, 95
	.set _ZL30rocblas_trmm_outofplace_kernelI19rocblas_complex_numIfELi32ELi2ELb0ELb0ELb0ELb0EPKS1_S2_S1_Ev17rocblas_diagonal_iiT6_lPT7_lllS7_lllPT8_llli.num_agpr, 0
	.set _ZL30rocblas_trmm_outofplace_kernelI19rocblas_complex_numIfELi32ELi2ELb0ELb0ELb0ELb0EPKS1_S2_S1_Ev17rocblas_diagonal_iiT6_lPT7_lllS7_lllPT8_llli.numbered_sgpr, 64
	.set _ZL30rocblas_trmm_outofplace_kernelI19rocblas_complex_numIfELi32ELi2ELb0ELb0ELb0ELb0EPKS1_S2_S1_Ev17rocblas_diagonal_iiT6_lPT7_lllS7_lllPT8_llli.num_named_barrier, 0
	.set _ZL30rocblas_trmm_outofplace_kernelI19rocblas_complex_numIfELi32ELi2ELb0ELb0ELb0ELb0EPKS1_S2_S1_Ev17rocblas_diagonal_iiT6_lPT7_lllS7_lllPT8_llli.private_seg_size, 0
	.set _ZL30rocblas_trmm_outofplace_kernelI19rocblas_complex_numIfELi32ELi2ELb0ELb0ELb0ELb0EPKS1_S2_S1_Ev17rocblas_diagonal_iiT6_lPT7_lllS7_lllPT8_llli.uses_vcc, 1
	.set _ZL30rocblas_trmm_outofplace_kernelI19rocblas_complex_numIfELi32ELi2ELb0ELb0ELb0ELb0EPKS1_S2_S1_Ev17rocblas_diagonal_iiT6_lPT7_lllS7_lllPT8_llli.uses_flat_scratch, 0
	.set _ZL30rocblas_trmm_outofplace_kernelI19rocblas_complex_numIfELi32ELi2ELb0ELb0ELb0ELb0EPKS1_S2_S1_Ev17rocblas_diagonal_iiT6_lPT7_lllS7_lllPT8_llli.has_dyn_sized_stack, 0
	.set _ZL30rocblas_trmm_outofplace_kernelI19rocblas_complex_numIfELi32ELi2ELb0ELb0ELb0ELb0EPKS1_S2_S1_Ev17rocblas_diagonal_iiT6_lPT7_lllS7_lllPT8_llli.has_recursion, 0
	.set _ZL30rocblas_trmm_outofplace_kernelI19rocblas_complex_numIfELi32ELi2ELb0ELb0ELb0ELb0EPKS1_S2_S1_Ev17rocblas_diagonal_iiT6_lPT7_lllS7_lllPT8_llli.has_indirect_call, 0
	.section	.AMDGPU.csdata,"",@progbits
; Kernel info:
; codeLenInByte = 7588
; TotalNumSgprs: 66
; NumVgprs: 95
; ScratchSize: 0
; MemoryBound: 1
; FloatMode: 240
; IeeeMode: 1
; LDSByteSize: 16384 bytes/workgroup (compile time only)
; SGPRBlocks: 0
; VGPRBlocks: 5
; NumSGPRsForWavesPerEU: 66
; NumVGPRsForWavesPerEU: 95
; NamedBarCnt: 0
; Occupancy: 10
; WaveLimiterHint : 0
; COMPUTE_PGM_RSRC2:SCRATCH_EN: 0
; COMPUTE_PGM_RSRC2:USER_SGPR: 2
; COMPUTE_PGM_RSRC2:TRAP_HANDLER: 0
; COMPUTE_PGM_RSRC2:TGID_X_EN: 1
; COMPUTE_PGM_RSRC2:TGID_Y_EN: 1
; COMPUTE_PGM_RSRC2:TGID_Z_EN: 1
; COMPUTE_PGM_RSRC2:TIDIG_COMP_CNT: 1
	.section	.text._ZL30rocblas_trmm_outofplace_kernelI19rocblas_complex_numIfELi32ELi2ELb0ELb0ELb0ELb0ES1_KS1_S1_Ev17rocblas_diagonal_iiT6_lPT7_lllS6_lllPT8_llli,"axG",@progbits,_ZL30rocblas_trmm_outofplace_kernelI19rocblas_complex_numIfELi32ELi2ELb0ELb0ELb0ELb0ES1_KS1_S1_Ev17rocblas_diagonal_iiT6_lPT7_lllS6_lllPT8_llli,comdat
	.globl	_ZL30rocblas_trmm_outofplace_kernelI19rocblas_complex_numIfELi32ELi2ELb0ELb0ELb0ELb0ES1_KS1_S1_Ev17rocblas_diagonal_iiT6_lPT7_lllS6_lllPT8_llli ; -- Begin function _ZL30rocblas_trmm_outofplace_kernelI19rocblas_complex_numIfELi32ELi2ELb0ELb0ELb0ELb0ES1_KS1_S1_Ev17rocblas_diagonal_iiT6_lPT7_lllS6_lllPT8_llli
	.p2align	8
	.type	_ZL30rocblas_trmm_outofplace_kernelI19rocblas_complex_numIfELi32ELi2ELb0ELb0ELb0ELb0ES1_KS1_S1_Ev17rocblas_diagonal_iiT6_lPT7_lllS6_lllPT8_llli,@function
_ZL30rocblas_trmm_outofplace_kernelI19rocblas_complex_numIfELi32ELi2ELb0ELb0ELb0ELb0ES1_KS1_S1_Ev17rocblas_diagonal_iiT6_lPT7_lllS6_lllPT8_llli: ; @_ZL30rocblas_trmm_outofplace_kernelI19rocblas_complex_numIfELi32ELi2ELb0ELb0ELb0ELb0ES1_KS1_S1_Ev17rocblas_diagonal_iiT6_lPT7_lllS6_lllPT8_llli
; %bb.0:
	s_load_b32 s33, s[0:1], 0x80
	s_bfe_u32 s2, ttmp6, 0x40014
	s_lshr_b32 s3, ttmp7, 16
	s_add_co_i32 s2, s2, 1
	s_bfe_u32 s5, ttmp6, 0x40008
	s_mul_i32 s4, s3, s2
	s_getreg_b32 s2, hwreg(HW_REG_IB_STS2, 6, 4)
	s_add_co_i32 s5, s5, s4
	s_cmp_eq_u32 s2, 0
	s_cselect_b32 s34, s3, s5
	s_wait_kmcnt 0x0
	s_cmp_ge_u32 s34, s33
	s_cbranch_scc1 .LBB85_63
; %bb.1:
	s_load_b64 s[40:41], s[0:1], 0xc
	s_wait_kmcnt 0x0
	s_or_b32 s3, s40, s41
	s_delay_alu instid0(SALU_CYCLE_1) | instskip(NEXT) | instid1(SALU_CYCLE_1)
	s_bitset0_b32 s3, 31
	s_cmp_eq_u32 s3, 0
	s_cbranch_scc1 .LBB85_63
; %bb.2:
	s_clause 0x1
	s_load_b96 s[36:38], s[0:1], 0x0
	s_load_b512 s[8:23], s[0:1], 0x20
	s_bfe_u32 s4, ttmp6, 0x4000c
	s_and_b32 s3, ttmp6, 15
	s_add_co_i32 s4, s4, 1
	s_bfe_u32 s6, ttmp6, 0x40010
	s_add_nc_u64 s[42:43], s[0:1], 0x88
	s_load_b256 s[24:31], s[0:1], 0x60
	s_wait_xcnt 0x0
	s_mul_i32 s0, ttmp9, s4
	s_and_b32 s5, ttmp7, 0xffff
	s_add_co_i32 s6, s6, 1
	s_add_co_i32 s3, s3, s0
	s_bfe_u32 s7, ttmp6, 0x40004
	s_mul_i32 s1, s5, s6
	v_and_b32_e32 v2, 0x3ff, v0
	s_add_co_i32 s7, s7, s1
	v_bfe_u32 v63, v0, 10, 10
	v_mov_b64_e32 v[30:31], 0
	v_mov_b64_e32 v[32:33], 0x3f800000
	v_lshlrev_b32_e32 v0, 3, v2
	s_wait_kmcnt 0x0
	s_add_co_i32 s0, s38, -1
	v_lshlrev_b32_e32 v65, 8, v63
	s_ashr_i32 s4, s0, 31
	s_mov_b32 s44, s38
	s_lshr_b32 s1, s4, 27
	v_or_b32_e32 v67, 0x2000, v0
	s_add_co_i32 s0, s0, s1
	v_add_nc_u32_e32 v69, v65, v0
	s_ashr_i32 s39, s0, 5
	s_cmp_eq_u32 s2, 0
	v_add_nc_u32_e32 v71, v67, v65
	s_cselect_b32 s0, ttmp9, s3
	s_cselect_b32 s54, s5, s7
	v_lshl_add_u32 v24, s0, 5, v2
	s_cmp_le_i32 s54, s39
	s_mov_b32 s0, s37
	s_cselect_b32 s55, -1, 0
	s_cmp_eq_u32 s36, 0x84
	v_dual_ashrrev_i32 v25, 31, v24 :: v_dual_add_nc_u32 v26, 16, v24
	s_cselect_b32 s56, -1, 0
	s_ashr_i32 s1, s37, 31
	s_lshl_b64 s[2:3], s[26:27], 3
	s_delay_alu instid0(VALU_DEP_1)
	v_sub_nc_u64_e32 v[0:1], s[0:1], v[24:25]
	s_lshl_b64 s[4:5], s[18:19], 3
	s_add_nc_u64 s[24:25], s[24:25], s[2:3]
	s_lshl_b32 s6, s54, 5
	s_add_nc_u64 s[4:5], s[16:17], s[4:5]
	v_cmp_gt_i32_e64 s0, s37, v24
	v_cmp_gt_i32_e64 s1, s37, v26
	v_cmp_gt_i64_e64 s2, 1, v[0:1]
	v_cmp_gt_i64_e64 s3, 17, v[0:1]
	v_dual_ashrrev_i32 v27, 31, v26 :: v_dual_add_nc_u32 v75, s6, v63
	v_add_nc_u32_e32 v73, s6, v2
	v_lshl_add_u64 v[28:29], v[24:25], 3, s[4:5]
	v_add_nc_u32_e32 v77, 0x800, v67
	v_add_nc_u32_e32 v78, 0x1000, v67
	;; [unrolled: 1-line block ×3, first 2 shown]
	s_ashr_i32 s45, s38, 31
	s_lshl_b64 s[4:5], s[10:11], 3
	s_mov_b32 s35, 0
	s_lshl_b64 s[46:47], s[20:21], 8
	s_add_nc_u64 s[26:27], s[44:45], -16
	s_mov_b32 s36, s41
	s_mov_b32 s37, s40
	s_lshl_b64 s[16:17], s[20:21], 3
	s_lshl_b64 s[18:19], s[22:23], 3
	s_add_nc_u64 s[10:11], s[8:9], s[4:5]
	s_lshl_b64 s[14:15], s[14:15], 3
	s_lshl_b64 s[22:23], s[12:13], 3
	s_branch .LBB85_4
.LBB85_3:                               ;   in Loop: Header=BB85_4 Depth=1
	s_add_co_i32 s34, s34, 0x10000
	s_delay_alu instid0(SALU_CYCLE_1)
	s_cmp_ge_u32 s34, s33
	s_cbranch_scc1 .LBB85_63
.LBB85_4:                               ; =>This Loop Header: Depth=1
                                        ;     Child Loop BB85_7 Depth 2
                                        ;       Child Loop BB85_10 Depth 3
	s_and_not1_b32 vcc_lo, exec_lo, s55
	s_cbranch_vccnz .LBB85_3
; %bb.5:                                ;   in Loop: Header=BB85_4 Depth=1
	s_load_b32 s57, s[42:43], 0x4
	v_mad_nc_u64_u32 v[34:35], s18, s34, v[28:29]
	s_mul_u64 s[6:7], s[30:31], s[34:35]
	v_dual_mov_b32 v36, v75 :: v_dual_mov_b32 v38, v73
	s_mul_u64 s[4:5], s[14:15], s[34:35]
	s_lshl_b64 s[6:7], s[6:7], 3
	s_add_nc_u64 s[48:49], s[10:11], s[4:5]
	s_add_nc_u64 s[50:51], s[24:25], s[6:7]
	s_mov_b32 s59, s54
	s_delay_alu instid0(VALU_DEP_2)
	v_mad_u32 v35, s19, s34, v35
	s_wait_kmcnt 0x0
	s_lshl_b32 s58, s57, 5
	s_branch .LBB85_7
.LBB85_6:                               ;   in Loop: Header=BB85_7 Depth=2
	s_wait_xcnt 0x0
	s_or_b32 exec_lo, exec_lo, s4
	v_dual_add_nc_u32 v38, s58, v38 :: v_dual_add_nc_u32 v36, s58, v36
	s_add_co_i32 s59, s57, s59
	s_delay_alu instid0(SALU_CYCLE_1)
	s_cmp_gt_i32 s59, s39
	s_cbranch_scc1 .LBB85_3
.LBB85_7:                               ;   Parent Loop BB85_4 Depth=1
                                        ; =>  This Loop Header: Depth=2
                                        ;       Child Loop BB85_10 Depth 3
	s_lshl_b32 s4, s59, 5
	s_delay_alu instid0(SALU_CYCLE_1) | instskip(SKIP_2) | instid1(SALU_CYCLE_1)
	v_dual_ashrrev_i32 v37, 31, v36 :: v_dual_add_nc_u32 v40, s4, v63
	v_ashrrev_i32_e32 v39, 31, v38
	s_sub_co_i32 s60, s38, s4
	s_cmp_lt_i32 s60, 1
	s_delay_alu instid0(VALU_DEP_2)
	v_ashrrev_i32_e32 v41, 31, v40
	s_cbranch_scc1 .LBB85_54
; %bb.8:                                ;   in Loop: Header=BB85_7 Depth=2
	v_lshl_add_u64 v[0:1], v[36:37], 3, 0x80
	v_mad_nc_u64_u32 v[42:43], s16, v36, 0x80
	v_mad_nc_u64_u32 v[44:45], s22, v36, s[48:49]
	v_sub_nc_u64_e32 v[50:51], v[36:37], v[38:39]
	v_add_nc_u64_e32 v[52:53], 16, v[40:41]
	v_mad_nc_u64_u32 v[46:47], s12, v0, s[48:49]
	v_mad_nc_u64_u32 v[48:49], s20, v0, 0x80
	v_lshlrev_b64_e32 v[54:55], 3, v[38:39]
	v_mov_b64_e32 v[56:57], v[34:35]
	v_dual_mov_b32 v62, 0 :: v_dual_mov_b32 v64, 0
	v_cmp_le_i64_e64 s4, s[44:45], v[52:53]
	v_mad_u32 v2, s17, v36, v43
	v_mad_u32 v3, s23, v36, v45
	v_add_nc_u64_e32 v[58:59], 16, v[50:51]
	v_add_nc_u64_e32 v[60:61], -16, v[50:51]
	v_mad_u32 v4, s13, v0, v47
	v_mad_u32 v0, s21, v0, v49
	v_dual_mov_b32 v68, 0 :: v_dual_mov_b32 v66, 0
	v_dual_mov_b32 v72, 0 :: v_dual_mov_b32 v70, 0
	;; [unrolled: 1-line block ×3, first 2 shown]
	v_mad_u32 v43, s16, v37, v2
	v_mad_u32 v45, s22, v37, v3
	s_mov_b64 s[52:53], 0
	v_mad_u32 v47, s12, v1, v4
	v_mad_u32 v49, s20, v1, v0
	v_cmp_le_i32_e32 vcc_lo, s38, v40
	s_branch .LBB85_10
.LBB85_9:                               ;   in Loop: Header=BB85_10 Depth=3
	s_or_b32 exec_lo, exec_lo, s5
	s_wait_dscnt 0x0
	s_barrier_signal -1
	s_barrier_wait -1
	ds_load_b128 v[16:19], v65
	ds_load_2addr_b64 v[80:83], v67 offset1:16
	ds_load_b128 v[20:23], v65 offset:4096
	ds_load_b128 v[8:11], v65 offset:16
	ds_load_2addr_b64 v[84:87], v67 offset0:32 offset1:48
	ds_load_b128 v[12:15], v65 offset:4112
	ds_load_b128 v[4:7], v65 offset:32
	ds_load_b128 v[0:3], v65 offset:48
	v_add_nc_u64_e32 v[56:57], s[46:47], v[56:57]
	v_add_nc_u64_e32 v[46:47], 0x100, v[46:47]
	;; [unrolled: 1-line block ×3, first 2 shown]
	s_add_nc_u64 s[52:53], s[52:53], 32
	s_delay_alu instid0(SALU_CYCLE_1)
	s_cmp_ge_i32 s52, s60
	s_wait_dscnt 0x6
	v_dual_mul_f32 v88, v17, v81 :: v_dual_mul_f32 v89, v16, v81
	v_dual_mul_f32 v90, v17, v83 :: v_dual_mul_f32 v91, v16, v83
	s_wait_dscnt 0x5
	v_dual_mul_f32 v92, v21, v81 :: v_dual_mul_f32 v81, v20, v81
	v_dual_mul_f32 v93, v21, v83 :: v_dual_mul_f32 v94, v20, v83
	v_dual_fma_f32 v83, v16, v80, -v88 :: v_dual_fmac_f32 v89, v17, v80
	v_dual_fma_f32 v16, v16, v82, -v90 :: v_dual_fmac_f32 v91, v17, v82
	s_delay_alu instid0(VALU_DEP_4) | instskip(NEXT) | instid1(VALU_DEP_3)
	v_dual_fma_f32 v17, v20, v80, -v92 :: v_dual_fmac_f32 v81, v21, v80
	v_dual_fma_f32 v20, v20, v82, -v93 :: v_dual_add_f32 v74, v74, v83
	s_delay_alu instid0(VALU_DEP_3) | instskip(NEXT) | instid1(VALU_DEP_3)
	v_dual_add_f32 v76, v76, v89 :: v_dual_add_f32 v16, v70, v16
	v_dual_add_f32 v70, v72, v91 :: v_dual_add_f32 v17, v66, v17
	s_delay_alu instid0(VALU_DEP_4)
	v_dual_add_f32 v66, v68, v81 :: v_dual_fmac_f32 v94, v21, v82
	s_wait_dscnt 0x3
	v_dual_mul_f32 v68, v19, v85 :: v_dual_add_f32 v20, v64, v20
	ds_load_2addr_b64 v[80:83], v67 offset0:64 offset1:80
	v_mul_f32_e32 v21, v18, v85
	v_add_f32_e32 v62, v62, v94
	v_dual_fma_f32 v64, v18, v84, -v68 :: v_dual_mul_f32 v68, v19, v87
	s_delay_alu instid0(VALU_DEP_3) | instskip(NEXT) | instid1(VALU_DEP_2)
	v_dual_mul_f32 v72, v18, v87 :: v_dual_fmac_f32 v21, v19, v84
	v_add_f32_e32 v64, v74, v64
	s_delay_alu instid0(VALU_DEP_3) | instskip(NEXT) | instid1(VALU_DEP_3)
	v_dual_fma_f32 v18, v18, v86, -v68 :: v_dual_mul_f32 v68, v23, v85
	v_dual_add_f32 v21, v76, v21 :: v_dual_fmac_f32 v72, v19, v86
	s_delay_alu instid0(VALU_DEP_2) | instskip(NEXT) | instid1(VALU_DEP_3)
	v_dual_mul_f32 v19, v22, v85 :: v_dual_add_f32 v74, v16, v18
	v_dual_fma_f32 v16, v22, v84, -v68 :: v_dual_mul_f32 v18, v23, v87
	s_delay_alu instid0(VALU_DEP_3) | instskip(NEXT) | instid1(VALU_DEP_3)
	v_add_f32_e32 v68, v70, v72
	v_dual_fmac_f32 v19, v23, v84 :: v_dual_mul_f32 v70, v22, v87
	s_delay_alu instid0(VALU_DEP_3) | instskip(SKIP_1) | instid1(VALU_DEP_2)
	v_dual_add_f32 v72, v17, v16 :: v_dual_fma_f32 v16, v22, v86, -v18
	s_wait_dscnt 0x0
	v_dual_mul_f32 v17, v9, v81 :: v_dual_add_f32 v22, v66, v19
	s_delay_alu instid0(VALU_DEP_3) | instskip(NEXT) | instid1(VALU_DEP_3)
	v_dual_fmac_f32 v70, v23, v86 :: v_dual_mul_f32 v23, v8, v81
	v_dual_add_f32 v20, v20, v16 :: v_dual_mul_f32 v76, v9, v83
	s_delay_alu instid0(VALU_DEP_3) | instskip(SKIP_4) | instid1(VALU_DEP_3)
	v_fma_f32 v66, v8, v80, -v17
	ds_load_2addr_b64 v[16:19], v67 offset0:96 offset1:112
	v_dual_fmac_f32 v23, v9, v80 :: v_dual_add_f32 v62, v62, v70
	v_add_f32_e32 v64, v64, v66
	v_dual_mul_f32 v66, v8, v83 :: v_dual_fma_f32 v8, v8, v82, -v76
	v_add_f32_e32 v70, v21, v23
	v_dual_mul_f32 v21, v13, v81 :: v_dual_mul_f32 v23, v12, v81
	s_delay_alu instid0(VALU_DEP_3) | instskip(NEXT) | instid1(VALU_DEP_2)
	v_dual_fmac_f32 v66, v9, v82 :: v_dual_add_f32 v8, v74, v8
	v_dual_mul_f32 v9, v13, v83 :: v_dual_fma_f32 v21, v12, v80, -v21
	s_delay_alu instid0(VALU_DEP_3) | instskip(NEXT) | instid1(VALU_DEP_3)
	v_dual_fmac_f32 v23, v13, v80 :: v_dual_mul_f32 v74, v12, v83
	v_add_f32_e32 v66, v68, v66
	s_delay_alu instid0(VALU_DEP_3) | instskip(NEXT) | instid1(VALU_DEP_3)
	v_fma_f32 v9, v12, v82, -v9
	v_dual_add_f32 v12, v72, v21 :: v_dual_add_f32 v68, v22, v23
	s_wait_dscnt 0x0
	v_dual_fmac_f32 v74, v13, v82 :: v_dual_mul_f32 v13, v11, v17
	v_mul_f32_e32 v72, v10, v17
	v_dual_add_f32 v9, v20, v9 :: v_dual_mul_f32 v76, v11, v19
	ds_load_2addr_b64 v[20:23], v67 offset0:128 offset1:144
	v_fma_f32 v13, v10, v16, -v13
	v_dual_add_f32 v62, v62, v74 :: v_dual_fmac_f32 v72, v11, v16
	v_dual_mul_f32 v74, v10, v19 :: v_dual_fma_f32 v10, v10, v18, -v76
	s_delay_alu instid0(VALU_DEP_3)
	v_add_f32_e32 v64, v64, v13
	v_mul_f32_e32 v13, v15, v17
	ds_load_b128 v[80:83], v65 offset:4128
	v_dual_fmac_f32 v74, v11, v18 :: v_dual_add_f32 v11, v70, v72
	v_dual_add_f32 v70, v8, v10 :: v_dual_fma_f32 v10, v14, v16, -v13
	v_mul_f32_e32 v8, v14, v17
	s_delay_alu instid0(VALU_DEP_3) | instskip(NEXT) | instid1(VALU_DEP_2)
	v_dual_add_f32 v17, v66, v74 :: v_dual_mul_f32 v13, v15, v19
	v_dual_fmac_f32 v8, v15, v16 :: v_dual_add_f32 v16, v12, v10
	s_delay_alu instid0(VALU_DEP_2) | instskip(SKIP_1) | instid1(VALU_DEP_2)
	v_dual_mul_f32 v10, v14, v19 :: v_dual_fma_f32 v12, v14, v18, -v13
	s_wait_dscnt 0x1
	v_dual_mul_f32 v13, v5, v21 :: v_dual_add_f32 v19, v68, v8
	s_delay_alu instid0(VALU_DEP_2) | instskip(NEXT) | instid1(VALU_DEP_3)
	v_dual_mul_f32 v8, v4, v21 :: v_dual_fmac_f32 v10, v15, v18
	v_add_f32_e32 v18, v9, v12
	s_delay_alu instid0(VALU_DEP_3) | instskip(SKIP_3) | instid1(VALU_DEP_2)
	v_fma_f32 v9, v4, v20, -v13
	ds_load_2addr_b64 v[12:15], v67 offset0:160 offset1:176
	v_dual_fmac_f32 v8, v5, v20 :: v_dual_mul_f32 v66, v5, v23
	v_dual_add_f32 v62, v62, v10 :: v_dual_add_f32 v64, v64, v9
	v_dual_mul_f32 v68, v4, v23 :: v_dual_add_f32 v72, v11, v8
	ds_load_b128 v[8:11], v65 offset:4144
	s_wait_dscnt 0x2
	v_dual_fma_f32 v4, v4, v22, -v66 :: v_dual_mul_f32 v66, v81, v21
	v_dual_fmac_f32 v68, v5, v22 :: v_dual_mul_f32 v5, v80, v21
	s_delay_alu instid0(VALU_DEP_2) | instskip(NEXT) | instid1(VALU_DEP_3)
	v_dual_mul_f32 v21, v81, v23 :: v_dual_add_f32 v4, v70, v4
	v_fma_f32 v66, v80, v20, -v66
	s_delay_alu instid0(VALU_DEP_3) | instskip(NEXT) | instid1(VALU_DEP_4)
	v_dual_add_f32 v17, v17, v68 :: v_dual_mul_f32 v68, v80, v23
	v_fmac_f32_e32 v5, v81, v20
	s_delay_alu instid0(VALU_DEP_4) | instskip(SKIP_2) | instid1(VALU_DEP_3)
	v_fma_f32 v20, v80, v22, -v21
	s_wait_dscnt 0x1
	v_dual_add_f32 v16, v16, v66 :: v_dual_mul_f32 v21, v7, v13
	v_dual_fmac_f32 v68, v81, v22 :: v_dual_add_f32 v5, v19, v5
	s_delay_alu instid0(VALU_DEP_3) | instskip(NEXT) | instid1(VALU_DEP_3)
	v_add_f32_e32 v66, v18, v20
	v_dual_mul_f32 v18, v6, v13 :: v_dual_fma_f32 v19, v6, v12, -v21
	ds_load_2addr_b64 v[20:23], v67 offset0:192 offset1:208
	v_dual_mul_f32 v70, v7, v15 :: v_dual_add_f32 v62, v62, v68
	v_dual_fmac_f32 v18, v7, v12 :: v_dual_add_f32 v64, v64, v19
	s_delay_alu instid0(VALU_DEP_2) | instskip(SKIP_1) | instid1(VALU_DEP_3)
	v_dual_mul_f32 v19, v6, v15 :: v_dual_fma_f32 v6, v6, v14, -v70
	v_dual_mul_f32 v68, v83, v13 :: v_dual_mul_f32 v13, v82, v13
	v_add_f32_e32 v70, v72, v18
	s_delay_alu instid0(VALU_DEP_3) | instskip(NEXT) | instid1(VALU_DEP_3)
	v_fmac_f32_e32 v19, v7, v14
	v_dual_add_f32 v4, v4, v6 :: v_dual_fma_f32 v6, v82, v12, -v68
	s_delay_alu instid0(VALU_DEP_4) | instskip(NEXT) | instid1(VALU_DEP_2)
	v_dual_mul_f32 v7, v83, v15 :: v_dual_fmac_f32 v13, v83, v12
	v_dual_mul_f32 v15, v82, v15 :: v_dual_add_f32 v6, v16, v6
	s_delay_alu instid0(VALU_DEP_2)
	v_dual_add_f32 v12, v17, v19 :: v_dual_fma_f32 v7, v82, v14, -v7
	ds_load_2addr_b64 v[16:19], v67 offset0:224 offset1:240
	v_dual_add_f32 v5, v5, v13 :: v_dual_fmac_f32 v15, v83, v14
	s_wait_dscnt 0x1
	v_dual_mul_f32 v13, v1, v21 :: v_dual_mul_f32 v14, v0, v21
	v_add_f32_e32 v7, v66, v7
	s_delay_alu instid0(VALU_DEP_2) | instskip(NEXT) | instid1(VALU_DEP_3)
	v_dual_mul_f32 v66, v1, v23 :: v_dual_fma_f32 v13, v0, v20, -v13
	v_dual_fmac_f32 v14, v1, v20 :: v_dual_mul_f32 v68, v0, v23
	s_delay_alu instid0(VALU_DEP_2) | instskip(NEXT) | instid1(VALU_DEP_2)
	v_dual_fma_f32 v0, v0, v22, -v66 :: v_dual_add_f32 v62, v62, v15
	v_dual_add_f32 v64, v64, v13 :: v_dual_add_f32 v66, v70, v14
	s_delay_alu instid0(VALU_DEP_3) | instskip(NEXT) | instid1(VALU_DEP_3)
	v_dual_fmac_f32 v68, v1, v22 :: v_dual_mul_f32 v13, v8, v21
	v_dual_mul_f32 v1, v9, v21 :: v_dual_add_f32 v0, v4, v0
	s_delay_alu instid0(VALU_DEP_2) | instskip(NEXT) | instid1(VALU_DEP_3)
	v_dual_mul_f32 v4, v9, v23 :: v_dual_add_f32 v68, v12, v68
	v_fmac_f32_e32 v13, v9, v20
	s_delay_alu instid0(VALU_DEP_3) | instskip(SKIP_1) | instid1(VALU_DEP_3)
	v_dual_fma_f32 v1, v8, v20, -v1 :: v_dual_mul_f32 v70, v8, v23
	s_wait_dscnt 0x0
	v_dual_fma_f32 v4, v8, v22, -v4 :: v_dual_mul_f32 v8, v3, v17
	s_delay_alu instid0(VALU_DEP_3) | instskip(NEXT) | instid1(VALU_DEP_3)
	v_add_f32_e32 v72, v5, v13
	v_dual_add_f32 v1, v6, v1 :: v_dual_fmac_f32 v70, v9, v22
	s_delay_alu instid0(VALU_DEP_3) | instskip(NEXT) | instid1(VALU_DEP_4)
	v_add_f32_e32 v9, v7, v4
	v_dual_fma_f32 v4, v2, v16, -v8 :: v_dual_mul_f32 v5, v2, v17
	s_delay_alu instid0(VALU_DEP_3)
	v_dual_mul_f32 v6, v3, v19 :: v_dual_add_f32 v62, v62, v70
	ds_load_b128 v[12:15], v65 offset:64
	ds_load_2addr_b64 v[20:23], v77 offset1:16
	v_dual_mul_f32 v7, v2, v19 :: v_dual_fmac_f32 v5, v3, v16
	v_dual_add_f32 v64, v64, v4 :: v_dual_fma_f32 v2, v2, v18, -v6
	v_mul_f32_e32 v4, v11, v17
	s_delay_alu instid0(VALU_DEP_3) | instskip(NEXT) | instid1(VALU_DEP_3)
	v_dual_fmac_f32 v7, v3, v18 :: v_dual_add_f32 v66, v66, v5
	v_dual_mul_f32 v3, v10, v17 :: v_dual_add_f32 v17, v0, v2
	s_delay_alu instid0(VALU_DEP_3)
	v_dual_fma_f32 v0, v10, v16, -v4 :: v_dual_mul_f32 v2, v11, v19
	ds_load_b128 v[80:83], v65 offset:4160
	v_dual_add_f32 v68, v68, v7 :: v_dual_fmac_f32 v3, v11, v16
	v_dual_add_f32 v16, v1, v0 :: v_dual_fma_f32 v0, v10, v18, -v2
	v_mul_f32_e32 v1, v10, v19
	ds_load_b128 v[4:7], v65 offset:80
	s_wait_dscnt 0x2
	v_dual_add_f32 v19, v72, v3 :: v_dual_mul_f32 v2, v13, v21
	v_dual_mul_f32 v3, v12, v21 :: v_dual_fmac_f32 v1, v11, v18
	v_add_f32_e32 v18, v9, v0
	ds_load_2addr_b64 v[8:11], v77 offset0:32 offset1:48
	v_dual_fma_f32 v0, v12, v20, -v2 :: v_dual_fmac_f32 v3, v13, v20
	v_dual_mul_f32 v2, v13, v23 :: v_dual_add_f32 v62, v62, v1
	s_delay_alu instid0(VALU_DEP_2) | instskip(NEXT) | instid1(VALU_DEP_2)
	v_add_f32_e32 v64, v64, v0
	v_dual_mul_f32 v70, v12, v23 :: v_dual_fma_f32 v12, v12, v22, -v2
	s_wait_dscnt 0x2
	v_dual_add_f32 v66, v66, v3 :: v_dual_mul_f32 v72, v81, v21
	ds_load_b128 v[0:3], v65 offset:4176
	v_dual_fmac_f32 v70, v13, v22 :: v_dual_mul_f32 v13, v80, v21
	v_add_f32_e32 v12, v17, v12
	v_dual_mul_f32 v17, v81, v23 :: v_dual_fma_f32 v21, v80, v20, -v72
	s_delay_alu instid0(VALU_DEP_3) | instskip(NEXT) | instid1(VALU_DEP_2)
	v_dual_add_f32 v68, v68, v70 :: v_dual_fmac_f32 v13, v81, v20
	v_dual_mul_f32 v20, v80, v23 :: v_dual_fma_f32 v17, v80, v22, -v17
	s_delay_alu instid0(VALU_DEP_3) | instskip(SKIP_2) | instid1(VALU_DEP_3)
	v_add_f32_e32 v21, v16, v21
	s_wait_dscnt 0x1
	v_mul_f32_e32 v16, v15, v9
	v_dual_add_f32 v13, v19, v13 :: v_dual_fmac_f32 v20, v81, v22
	v_dual_add_f32 v22, v18, v17 :: v_dual_mul_f32 v72, v15, v11
	s_delay_alu instid0(VALU_DEP_3) | instskip(SKIP_4) | instid1(VALU_DEP_2)
	v_dual_fma_f32 v70, v14, v8, -v16 :: v_dual_mul_f32 v23, v14, v9
	ds_load_2addr_b64 v[16:19], v77 offset0:64 offset1:80
	v_dual_add_f32 v20, v62, v20 :: v_dual_add_f32 v62, v64, v70
	v_dual_fmac_f32 v23, v15, v8 :: v_dual_mul_f32 v64, v14, v11
	v_dual_mul_f32 v70, v83, v9 :: v_dual_mul_f32 v9, v82, v9
	v_fmac_f32_e32 v64, v15, v10
	s_delay_alu instid0(VALU_DEP_2) | instskip(NEXT) | instid1(VALU_DEP_2)
	v_dual_fma_f32 v14, v14, v10, -v72 :: v_dual_fmac_f32 v9, v83, v8
	v_dual_add_f32 v23, v66, v23 :: v_dual_add_f32 v64, v68, v64
	s_delay_alu instid0(VALU_DEP_2) | instskip(SKIP_1) | instid1(VALU_DEP_4)
	v_dual_add_f32 v66, v12, v14 :: v_dual_fma_f32 v12, v82, v8, -v70
	v_dual_mul_f32 v8, v83, v11 :: v_dual_mul_f32 v11, v82, v11
	v_add_f32_e32 v9, v13, v9
	s_wait_dscnt 0x0
	v_mul_f32_e32 v68, v5, v17
	s_delay_alu instid0(VALU_DEP_3) | instskip(SKIP_4) | instid1(VALU_DEP_3)
	v_dual_add_f32 v21, v21, v12 :: v_dual_fma_f32 v8, v82, v10, -v8
	ds_load_2addr_b64 v[12:15], v77 offset0:96 offset1:112
	v_dual_fmac_f32 v11, v83, v10 :: v_dual_mul_f32 v10, v4, v17
	v_add_f32_e32 v8, v22, v8
	v_dual_fma_f32 v22, v4, v16, -v68 :: v_dual_mul_f32 v68, v5, v19
	v_dual_fmac_f32 v10, v5, v16 :: v_dual_mul_f32 v70, v4, v19
	s_delay_alu instid0(VALU_DEP_2) | instskip(NEXT) | instid1(VALU_DEP_3)
	v_dual_add_f32 v20, v20, v11 :: v_dual_add_f32 v22, v62, v22
	v_fma_f32 v4, v4, v18, -v68
	s_delay_alu instid0(VALU_DEP_3) | instskip(NEXT) | instid1(VALU_DEP_4)
	v_add_f32_e32 v23, v23, v10
	v_fmac_f32_e32 v70, v5, v18
	v_dual_mul_f32 v5, v1, v17 :: v_dual_mul_f32 v10, v0, v17
	s_delay_alu instid0(VALU_DEP_4) | instskip(NEXT) | instid1(VALU_DEP_3)
	v_dual_add_f32 v4, v66, v4 :: v_dual_mul_f32 v11, v1, v19
	v_add_f32_e32 v62, v64, v70
	s_delay_alu instid0(VALU_DEP_3) | instskip(NEXT) | instid1(VALU_DEP_3)
	v_dual_fma_f32 v5, v0, v16, -v5 :: v_dual_mul_f32 v64, v0, v19
	v_dual_fmac_f32 v10, v1, v16 :: v_dual_fma_f32 v0, v0, v18, -v11
	s_wait_dscnt 0x0
	v_mul_f32_e32 v11, v7, v13
	s_delay_alu instid0(VALU_DEP_3) | instskip(SKIP_1) | instid1(VALU_DEP_3)
	v_add_f32_e32 v5, v21, v5
	v_dual_fmac_f32 v64, v1, v18 :: v_dual_mul_f32 v21, v6, v13
	v_dual_add_f32 v66, v9, v10 :: v_dual_fma_f32 v1, v6, v12, -v11
	v_add_f32_e32 v0, v8, v0
	ds_load_b128 v[8:11], v65 offset:96
	ds_load_2addr_b64 v[16:19], v77 offset0:128 offset1:144
	v_dual_mul_f32 v68, v7, v15 :: v_dual_add_f32 v64, v20, v64
	v_dual_fmac_f32 v21, v7, v12 :: v_dual_mul_f32 v20, v6, v15
	v_add_f32_e32 v1, v22, v1
	s_delay_alu instid0(VALU_DEP_3) | instskip(NEXT) | instid1(VALU_DEP_3)
	v_dual_fma_f32 v6, v6, v14, -v68 :: v_dual_mul_f32 v22, v3, v13
	v_add_f32_e32 v68, v23, v21
	s_delay_alu instid0(VALU_DEP_4) | instskip(NEXT) | instid1(VALU_DEP_3)
	v_dual_fmac_f32 v20, v7, v14 :: v_dual_mul_f32 v13, v2, v13
	v_dual_add_f32 v70, v4, v6 :: v_dual_fma_f32 v4, v2, v12, -v22
	s_delay_alu instid0(VALU_DEP_2) | instskip(NEXT) | instid1(VALU_DEP_3)
	v_dual_mul_f32 v6, v3, v15 :: v_dual_add_f32 v62, v62, v20
	v_fmac_f32_e32 v13, v3, v12
	ds_load_b128 v[20:23], v65 offset:4192
	v_dual_add_f32 v72, v5, v4 :: v_dual_fma_f32 v12, v2, v14, -v6
	s_wait_dscnt 0x1
	v_dual_mul_f32 v2, v2, v15 :: v_dual_mul_f32 v15, v9, v17
	v_mul_f32_e32 v74, v8, v17
	s_delay_alu instid0(VALU_DEP_3) | instskip(NEXT) | instid1(VALU_DEP_3)
	v_dual_add_f32 v66, v66, v13 :: v_dual_add_f32 v76, v0, v12
	v_dual_fmac_f32 v2, v3, v14 :: v_dual_fma_f32 v0, v8, v16, -v15
	s_delay_alu instid0(VALU_DEP_3)
	v_fmac_f32_e32 v74, v9, v16
	ds_load_2addr_b64 v[12:15], v77 offset0:160 offset1:176
	v_dual_mul_f32 v3, v9, v19 :: v_dual_mul_f32 v81, v8, v19
	ds_load_b128 v[4:7], v65 offset:112
	v_add_f32_e32 v68, v68, v74
	v_dual_add_f32 v64, v64, v2 :: v_dual_add_f32 v80, v1, v0
	v_dual_fma_f32 v8, v8, v18, -v3 :: v_dual_fmac_f32 v81, v9, v18
	s_wait_dscnt 0x2
	v_dual_mul_f32 v9, v20, v17 :: v_dual_mul_f32 v74, v21, v17
	s_delay_alu instid0(VALU_DEP_2) | instskip(NEXT) | instid1(VALU_DEP_2)
	v_dual_mul_f32 v17, v21, v19 :: v_dual_add_f32 v8, v70, v8
	v_dual_add_f32 v62, v62, v81 :: v_dual_fmac_f32 v9, v21, v16
	s_delay_alu instid0(VALU_DEP_3) | instskip(NEXT) | instid1(VALU_DEP_3)
	v_dual_fma_f32 v70, v20, v16, -v74 :: v_dual_mul_f32 v74, v20, v19
	v_fma_f32 v16, v20, v18, -v17
	ds_load_b128 v[0:3], v65 offset:4208
	v_dual_add_f32 v9, v66, v9 :: v_dual_add_f32 v20, v72, v70
	s_wait_dscnt 0x2
	v_dual_mul_f32 v17, v11, v13 :: v_dual_fmac_f32 v74, v21, v18
	v_dual_add_f32 v21, v76, v16 :: v_dual_mul_f32 v66, v10, v13
	s_delay_alu instid0(VALU_DEP_2)
	v_dual_mul_f32 v72, v11, v15 :: v_dual_fma_f32 v70, v10, v12, -v17
	ds_load_2addr_b64 v[16:19], v77 offset0:192 offset1:208
	v_dual_add_f32 v64, v64, v74 :: v_dual_fmac_f32 v66, v11, v12
	v_dual_mul_f32 v74, v10, v15 :: v_dual_fma_f32 v10, v10, v14, -v72
	v_dual_mul_f32 v72, v23, v13 :: v_dual_mul_f32 v13, v22, v13
	v_add_f32_e32 v70, v80, v70
	s_delay_alu instid0(VALU_DEP_4) | instskip(NEXT) | instid1(VALU_DEP_4)
	v_add_f32_e32 v66, v68, v66
	v_dual_fmac_f32 v74, v11, v14 :: v_dual_mul_f32 v68, v22, v15
	s_delay_alu instid0(VALU_DEP_4) | instskip(SKIP_1) | instid1(VALU_DEP_3)
	v_dual_add_f32 v8, v8, v10 :: v_dual_fmac_f32 v13, v23, v12
	v_dual_fma_f32 v10, v22, v12, -v72 :: v_dual_mul_f32 v11, v23, v15
	v_add_f32_e32 v62, v62, v74
	s_delay_alu instid0(VALU_DEP_3) | instskip(NEXT) | instid1(VALU_DEP_3)
	v_dual_fmac_f32 v68, v23, v14 :: v_dual_add_f32 v9, v9, v13
	v_add_f32_e32 v10, v20, v10
	s_wait_dscnt 0x0
	v_dual_fma_f32 v11, v22, v14, -v11 :: v_dual_mul_f32 v20, v5, v17
	ds_load_2addr_b64 v[12:15], v77 offset0:224 offset1:240
	v_dual_mul_f32 v22, v4, v17 :: v_dual_add_f32 v11, v21, v11
	v_dual_fma_f32 v20, v4, v16, -v20 :: v_dual_mul_f32 v21, v5, v19
	s_delay_alu instid0(VALU_DEP_2) | instskip(SKIP_1) | instid1(VALU_DEP_3)
	v_dual_fmac_f32 v22, v5, v16 :: v_dual_mul_f32 v23, v4, v19
	v_add_f32_e32 v64, v64, v68
	v_dual_add_f32 v20, v70, v20 :: v_dual_fma_f32 v4, v4, v18, -v21
	s_delay_alu instid0(VALU_DEP_3) | instskip(NEXT) | instid1(VALU_DEP_4)
	v_add_f32_e32 v21, v66, v22
	v_fmac_f32_e32 v23, v5, v18
	v_dual_mul_f32 v5, v1, v17 :: v_dual_mul_f32 v17, v0, v17
	s_delay_alu instid0(VALU_DEP_4) | instskip(NEXT) | instid1(VALU_DEP_2)
	v_dual_add_f32 v4, v8, v4 :: v_dual_mul_f32 v8, v1, v19
	v_dual_add_f32 v22, v62, v23 :: v_dual_fma_f32 v5, v0, v16, -v5
	s_delay_alu instid0(VALU_DEP_3) | instskip(SKIP_1) | instid1(VALU_DEP_3)
	v_dual_fmac_f32 v17, v1, v16 :: v_dual_mul_f32 v23, v0, v19
	s_wait_dscnt 0x0
	v_dual_fma_f32 v0, v0, v18, -v8 :: v_dual_mul_f32 v8, v7, v13
	s_delay_alu instid0(VALU_DEP_3) | instskip(NEXT) | instid1(VALU_DEP_3)
	v_add_f32_e32 v5, v10, v5
	v_add_f32_e32 v62, v9, v17
	s_delay_alu instid0(VALU_DEP_3) | instskip(NEXT) | instid1(VALU_DEP_4)
	v_dual_fmac_f32 v23, v1, v18 :: v_dual_add_f32 v0, v11, v0
	v_dual_fma_f32 v1, v6, v12, -v8 :: v_dual_mul_f32 v66, v6, v13
	ds_load_b128 v[8:11], v65 offset:128
	ds_load_2addr_b64 v[16:19], v78 offset1:16
	v_dual_mul_f32 v68, v7, v15 :: v_dual_add_f32 v1, v20, v1
	v_dual_fmac_f32 v66, v7, v12 :: v_dual_add_f32 v64, v64, v23
	s_delay_alu instid0(VALU_DEP_2) | instskip(NEXT) | instid1(VALU_DEP_2)
	v_dual_mul_f32 v23, v6, v15 :: v_dual_fma_f32 v6, v6, v14, -v68
	v_dual_mul_f32 v20, v3, v13 :: v_dual_add_f32 v66, v21, v66
	s_delay_alu instid0(VALU_DEP_2) | instskip(NEXT) | instid1(VALU_DEP_2)
	v_dual_mul_f32 v13, v2, v13 :: v_dual_fmac_f32 v23, v7, v14
	v_dual_add_f32 v68, v4, v6 :: v_dual_fma_f32 v4, v2, v12, -v20
	s_delay_alu instid0(VALU_DEP_2) | instskip(NEXT) | instid1(VALU_DEP_3)
	v_dual_mul_f32 v6, v3, v15 :: v_dual_fmac_f32 v13, v3, v12
	v_add_f32_e32 v70, v22, v23
	ds_load_b128 v[20:23], v65 offset:4224
	v_dual_add_f32 v72, v5, v4 :: v_dual_fma_f32 v12, v2, v14, -v6
	s_wait_dscnt 0x1
	v_dual_mul_f32 v2, v2, v15 :: v_dual_mul_f32 v15, v9, v17
	v_mul_f32_e32 v74, v8, v17
	s_delay_alu instid0(VALU_DEP_3) | instskip(NEXT) | instid1(VALU_DEP_3)
	v_dual_add_f32 v62, v62, v13 :: v_dual_add_f32 v76, v0, v12
	v_dual_fmac_f32 v2, v3, v14 :: v_dual_fma_f32 v0, v8, v16, -v15
	s_delay_alu instid0(VALU_DEP_3)
	v_fmac_f32_e32 v74, v9, v16
	ds_load_2addr_b64 v[12:15], v78 offset0:32 offset1:48
	v_dual_mul_f32 v3, v9, v19 :: v_dual_mul_f32 v81, v8, v19
	ds_load_b128 v[4:7], v65 offset:144
	v_add_f32_e32 v66, v66, v74
	v_dual_add_f32 v64, v64, v2 :: v_dual_add_f32 v80, v1, v0
	v_dual_fma_f32 v8, v8, v18, -v3 :: v_dual_fmac_f32 v81, v9, v18
	s_wait_dscnt 0x2
	v_dual_mul_f32 v9, v20, v17 :: v_dual_mul_f32 v74, v21, v17
	s_delay_alu instid0(VALU_DEP_2) | instskip(NEXT) | instid1(VALU_DEP_2)
	v_dual_mul_f32 v17, v21, v19 :: v_dual_add_f32 v8, v68, v8
	v_dual_add_f32 v70, v70, v81 :: v_dual_fmac_f32 v9, v21, v16
	s_delay_alu instid0(VALU_DEP_3) | instskip(NEXT) | instid1(VALU_DEP_3)
	v_dual_fma_f32 v68, v20, v16, -v74 :: v_dual_mul_f32 v74, v20, v19
	v_fma_f32 v16, v20, v18, -v17
	ds_load_b128 v[0:3], v65 offset:4240
	v_dual_add_f32 v9, v62, v9 :: v_dual_add_f32 v20, v72, v68
	s_wait_dscnt 0x2
	v_dual_mul_f32 v17, v11, v13 :: v_dual_fmac_f32 v74, v21, v18
	v_dual_add_f32 v21, v76, v16 :: v_dual_mul_f32 v62, v10, v13
	s_delay_alu instid0(VALU_DEP_2) | instskip(SKIP_4) | instid1(VALU_DEP_2)
	v_dual_mul_f32 v72, v11, v15 :: v_dual_fma_f32 v68, v10, v12, -v17
	ds_load_2addr_b64 v[16:19], v78 offset0:64 offset1:80
	v_dual_add_f32 v64, v64, v74 :: v_dual_fmac_f32 v62, v11, v12
	v_dual_mul_f32 v74, v10, v15 :: v_dual_add_f32 v68, v80, v68
	v_dual_fma_f32 v10, v10, v14, -v72 :: v_dual_mul_f32 v72, v23, v13
	v_dual_mul_f32 v13, v22, v13 :: v_dual_fmac_f32 v74, v11, v14
	s_delay_alu instid0(VALU_DEP_4) | instskip(NEXT) | instid1(VALU_DEP_3)
	v_add_f32_e32 v62, v66, v62
	v_dual_add_f32 v8, v8, v10 :: v_dual_mul_f32 v11, v23, v15
	s_delay_alu instid0(VALU_DEP_3) | instskip(NEXT) | instid1(VALU_DEP_4)
	v_dual_fma_f32 v10, v22, v12, -v72 :: v_dual_fmac_f32 v13, v23, v12
	v_add_f32_e32 v66, v70, v74
	s_delay_alu instid0(VALU_DEP_3) | instskip(NEXT) | instid1(VALU_DEP_3)
	v_dual_mul_f32 v70, v22, v15 :: v_dual_fma_f32 v11, v22, v14, -v11
	v_dual_add_f32 v10, v20, v10 :: v_dual_add_f32 v9, v9, v13
	s_wait_dscnt 0x0
	s_delay_alu instid0(VALU_DEP_2) | instskip(SKIP_4) | instid1(VALU_DEP_3)
	v_dual_fmac_f32 v70, v23, v14 :: v_dual_mul_f32 v22, v4, v17
	ds_load_2addr_b64 v[12:15], v78 offset0:96 offset1:112
	v_mul_f32_e32 v20, v5, v17
	v_add_f32_e32 v11, v21, v11
	v_dual_mul_f32 v21, v5, v19 :: v_dual_fmac_f32 v22, v5, v16
	v_dual_mul_f32 v23, v4, v19 :: v_dual_fma_f32 v20, v4, v16, -v20
	v_add_f32_e32 v64, v64, v70
	s_delay_alu instid0(VALU_DEP_3) | instskip(NEXT) | instid1(VALU_DEP_4)
	v_fma_f32 v4, v4, v18, -v21
	v_add_f32_e32 v21, v62, v22
	s_delay_alu instid0(VALU_DEP_4) | instskip(SKIP_1) | instid1(VALU_DEP_4)
	v_fmac_f32_e32 v23, v5, v18
	v_dual_mul_f32 v5, v1, v17 :: v_dual_mul_f32 v17, v0, v17
	v_dual_add_f32 v4, v8, v4 :: v_dual_mul_f32 v8, v1, v19
	s_delay_alu instid0(VALU_DEP_3) | instskip(NEXT) | instid1(VALU_DEP_3)
	v_dual_add_f32 v20, v68, v20 :: v_dual_add_f32 v22, v66, v23
	v_fma_f32 v5, v0, v16, -v5
	s_delay_alu instid0(VALU_DEP_4) | instskip(SKIP_2) | instid1(VALU_DEP_3)
	v_dual_fmac_f32 v17, v1, v16 :: v_dual_mul_f32 v23, v0, v19
	s_wait_dscnt 0x0
	v_dual_fma_f32 v0, v0, v18, -v8 :: v_dual_mul_f32 v8, v7, v13
	v_add_f32_e32 v5, v10, v5
	s_delay_alu instid0(VALU_DEP_3) | instskip(NEXT) | instid1(VALU_DEP_3)
	v_add_f32_e32 v62, v9, v17
	v_dual_fmac_f32 v23, v1, v18 :: v_dual_add_f32 v0, v11, v0
	s_delay_alu instid0(VALU_DEP_4) | instskip(SKIP_4) | instid1(VALU_DEP_2)
	v_dual_fma_f32 v1, v6, v12, -v8 :: v_dual_mul_f32 v66, v6, v13
	ds_load_b128 v[8:11], v65 offset:160
	ds_load_2addr_b64 v[16:19], v78 offset0:128 offset1:144
	v_dual_mul_f32 v68, v7, v15 :: v_dual_add_f32 v1, v20, v1
	v_dual_fmac_f32 v66, v7, v12 :: v_dual_add_f32 v64, v64, v23
	v_dual_mul_f32 v23, v6, v15 :: v_dual_fma_f32 v6, v6, v14, -v68
	s_delay_alu instid0(VALU_DEP_2) | instskip(NEXT) | instid1(VALU_DEP_2)
	v_dual_mul_f32 v20, v3, v13 :: v_dual_add_f32 v66, v21, v66
	v_dual_mul_f32 v13, v2, v13 :: v_dual_fmac_f32 v23, v7, v14
	s_delay_alu instid0(VALU_DEP_2) | instskip(NEXT) | instid1(VALU_DEP_2)
	v_dual_add_f32 v68, v4, v6 :: v_dual_fma_f32 v4, v2, v12, -v20
	v_dual_mul_f32 v6, v3, v15 :: v_dual_fmac_f32 v13, v3, v12
	s_delay_alu instid0(VALU_DEP_3)
	v_add_f32_e32 v70, v22, v23
	ds_load_b128 v[20:23], v65 offset:4256
	v_dual_add_f32 v72, v5, v4 :: v_dual_fma_f32 v12, v2, v14, -v6
	s_wait_dscnt 0x1
	v_dual_mul_f32 v2, v2, v15 :: v_dual_mul_f32 v15, v9, v17
	v_mul_f32_e32 v74, v8, v17
	s_delay_alu instid0(VALU_DEP_3) | instskip(NEXT) | instid1(VALU_DEP_3)
	v_dual_add_f32 v62, v62, v13 :: v_dual_add_f32 v76, v0, v12
	v_dual_fmac_f32 v2, v3, v14 :: v_dual_fma_f32 v0, v8, v16, -v15
	s_delay_alu instid0(VALU_DEP_3)
	v_fmac_f32_e32 v74, v9, v16
	ds_load_2addr_b64 v[12:15], v78 offset0:160 offset1:176
	v_dual_mul_f32 v3, v9, v19 :: v_dual_mul_f32 v81, v8, v19
	ds_load_b128 v[4:7], v65 offset:176
	v_add_f32_e32 v66, v66, v74
	v_dual_add_f32 v64, v64, v2 :: v_dual_add_f32 v80, v1, v0
	v_dual_fma_f32 v8, v8, v18, -v3 :: v_dual_fmac_f32 v81, v9, v18
	s_wait_dscnt 0x2
	v_dual_mul_f32 v9, v20, v17 :: v_dual_mul_f32 v74, v21, v17
	s_delay_alu instid0(VALU_DEP_2) | instskip(NEXT) | instid1(VALU_DEP_2)
	v_dual_mul_f32 v17, v21, v19 :: v_dual_add_f32 v8, v68, v8
	v_dual_add_f32 v70, v70, v81 :: v_dual_fmac_f32 v9, v21, v16
	s_delay_alu instid0(VALU_DEP_3) | instskip(NEXT) | instid1(VALU_DEP_3)
	v_dual_fma_f32 v68, v20, v16, -v74 :: v_dual_mul_f32 v74, v20, v19
	v_fma_f32 v16, v20, v18, -v17
	ds_load_b128 v[0:3], v65 offset:4272
	v_dual_add_f32 v9, v62, v9 :: v_dual_add_f32 v20, v72, v68
	s_wait_dscnt 0x2
	v_dual_mul_f32 v17, v11, v13 :: v_dual_fmac_f32 v74, v21, v18
	v_dual_add_f32 v21, v76, v16 :: v_dual_mul_f32 v62, v10, v13
	s_delay_alu instid0(VALU_DEP_2) | instskip(SKIP_4) | instid1(VALU_DEP_2)
	v_dual_mul_f32 v72, v11, v15 :: v_dual_fma_f32 v68, v10, v12, -v17
	ds_load_2addr_b64 v[16:19], v78 offset0:192 offset1:208
	v_dual_add_f32 v64, v64, v74 :: v_dual_fmac_f32 v62, v11, v12
	v_dual_mul_f32 v74, v10, v15 :: v_dual_add_f32 v68, v80, v68
	v_dual_fma_f32 v10, v10, v14, -v72 :: v_dual_mul_f32 v72, v23, v13
	v_dual_mul_f32 v13, v22, v13 :: v_dual_fmac_f32 v74, v11, v14
	s_delay_alu instid0(VALU_DEP_4) | instskip(NEXT) | instid1(VALU_DEP_3)
	v_add_f32_e32 v62, v66, v62
	v_dual_add_f32 v8, v8, v10 :: v_dual_mul_f32 v11, v23, v15
	s_delay_alu instid0(VALU_DEP_3) | instskip(NEXT) | instid1(VALU_DEP_4)
	v_dual_fma_f32 v10, v22, v12, -v72 :: v_dual_fmac_f32 v13, v23, v12
	v_add_f32_e32 v66, v70, v74
	s_delay_alu instid0(VALU_DEP_3) | instskip(NEXT) | instid1(VALU_DEP_3)
	v_dual_mul_f32 v70, v22, v15 :: v_dual_fma_f32 v11, v22, v14, -v11
	v_dual_add_f32 v10, v20, v10 :: v_dual_add_f32 v9, v9, v13
	s_wait_dscnt 0x0
	s_delay_alu instid0(VALU_DEP_2) | instskip(SKIP_4) | instid1(VALU_DEP_3)
	v_dual_fmac_f32 v70, v23, v14 :: v_dual_mul_f32 v22, v4, v17
	ds_load_2addr_b64 v[12:15], v78 offset0:224 offset1:240
	v_mul_f32_e32 v20, v5, v17
	v_add_f32_e32 v11, v21, v11
	v_dual_mul_f32 v21, v5, v19 :: v_dual_fmac_f32 v22, v5, v16
	v_dual_mul_f32 v23, v4, v19 :: v_dual_fma_f32 v20, v4, v16, -v20
	v_add_f32_e32 v64, v64, v70
	s_delay_alu instid0(VALU_DEP_3) | instskip(NEXT) | instid1(VALU_DEP_4)
	v_fma_f32 v4, v4, v18, -v21
	v_add_f32_e32 v21, v62, v22
	s_delay_alu instid0(VALU_DEP_4) | instskip(SKIP_1) | instid1(VALU_DEP_4)
	v_fmac_f32_e32 v23, v5, v18
	v_dual_mul_f32 v5, v1, v17 :: v_dual_mul_f32 v17, v0, v17
	v_dual_add_f32 v4, v8, v4 :: v_dual_mul_f32 v8, v1, v19
	s_delay_alu instid0(VALU_DEP_3) | instskip(NEXT) | instid1(VALU_DEP_3)
	v_dual_add_f32 v20, v68, v20 :: v_dual_add_f32 v22, v66, v23
	v_fma_f32 v5, v0, v16, -v5
	s_delay_alu instid0(VALU_DEP_4) | instskip(SKIP_2) | instid1(VALU_DEP_3)
	v_dual_fmac_f32 v17, v1, v16 :: v_dual_mul_f32 v23, v0, v19
	s_wait_dscnt 0x0
	v_dual_fma_f32 v0, v0, v18, -v8 :: v_dual_mul_f32 v8, v7, v13
	v_add_f32_e32 v5, v10, v5
	s_delay_alu instid0(VALU_DEP_3) | instskip(NEXT) | instid1(VALU_DEP_3)
	v_add_f32_e32 v62, v9, v17
	v_dual_fmac_f32 v23, v1, v18 :: v_dual_add_f32 v0, v11, v0
	s_delay_alu instid0(VALU_DEP_4) | instskip(SKIP_4) | instid1(VALU_DEP_2)
	v_dual_fma_f32 v1, v6, v12, -v8 :: v_dual_mul_f32 v66, v6, v13
	ds_load_b128 v[8:11], v65 offset:192
	ds_load_2addr_b64 v[16:19], v79 offset1:16
	v_dual_mul_f32 v68, v7, v15 :: v_dual_add_f32 v1, v20, v1
	v_dual_fmac_f32 v66, v7, v12 :: v_dual_add_f32 v64, v64, v23
	v_dual_mul_f32 v23, v6, v15 :: v_dual_fma_f32 v6, v6, v14, -v68
	s_delay_alu instid0(VALU_DEP_2) | instskip(NEXT) | instid1(VALU_DEP_2)
	v_dual_mul_f32 v20, v3, v13 :: v_dual_add_f32 v66, v21, v66
	v_dual_mul_f32 v13, v2, v13 :: v_dual_fmac_f32 v23, v7, v14
	s_delay_alu instid0(VALU_DEP_2) | instskip(NEXT) | instid1(VALU_DEP_2)
	v_dual_add_f32 v68, v4, v6 :: v_dual_fma_f32 v4, v2, v12, -v20
	v_dual_mul_f32 v6, v3, v15 :: v_dual_fmac_f32 v13, v3, v12
	s_delay_alu instid0(VALU_DEP_3)
	v_add_f32_e32 v70, v22, v23
	ds_load_b128 v[20:23], v65 offset:4288
	v_dual_add_f32 v72, v5, v4 :: v_dual_fma_f32 v12, v2, v14, -v6
	s_wait_dscnt 0x1
	v_dual_mul_f32 v2, v2, v15 :: v_dual_mul_f32 v15, v9, v17
	v_mul_f32_e32 v74, v8, v17
	s_delay_alu instid0(VALU_DEP_3) | instskip(NEXT) | instid1(VALU_DEP_3)
	v_dual_add_f32 v62, v62, v13 :: v_dual_add_f32 v76, v0, v12
	v_dual_fmac_f32 v2, v3, v14 :: v_dual_fma_f32 v0, v8, v16, -v15
	s_delay_alu instid0(VALU_DEP_3)
	v_fmac_f32_e32 v74, v9, v16
	ds_load_2addr_b64 v[12:15], v79 offset0:32 offset1:48
	v_dual_mul_f32 v3, v9, v19 :: v_dual_mul_f32 v81, v8, v19
	ds_load_b128 v[4:7], v65 offset:208
	v_add_f32_e32 v66, v66, v74
	v_dual_add_f32 v64, v64, v2 :: v_dual_add_f32 v80, v1, v0
	v_dual_fma_f32 v8, v8, v18, -v3 :: v_dual_fmac_f32 v81, v9, v18
	s_wait_dscnt 0x2
	v_dual_mul_f32 v9, v20, v17 :: v_dual_mul_f32 v74, v21, v17
	s_delay_alu instid0(VALU_DEP_2) | instskip(NEXT) | instid1(VALU_DEP_2)
	v_dual_mul_f32 v17, v21, v19 :: v_dual_add_f32 v8, v68, v8
	v_dual_add_f32 v70, v70, v81 :: v_dual_fmac_f32 v9, v21, v16
	s_delay_alu instid0(VALU_DEP_3) | instskip(NEXT) | instid1(VALU_DEP_3)
	v_dual_fma_f32 v68, v20, v16, -v74 :: v_dual_mul_f32 v74, v20, v19
	v_fma_f32 v16, v20, v18, -v17
	ds_load_b128 v[0:3], v65 offset:4304
	v_dual_add_f32 v9, v62, v9 :: v_dual_add_f32 v20, v72, v68
	s_wait_dscnt 0x2
	v_dual_mul_f32 v17, v11, v13 :: v_dual_fmac_f32 v74, v21, v18
	v_dual_add_f32 v21, v76, v16 :: v_dual_mul_f32 v62, v10, v13
	s_delay_alu instid0(VALU_DEP_2) | instskip(SKIP_4) | instid1(VALU_DEP_2)
	v_dual_mul_f32 v72, v11, v15 :: v_dual_fma_f32 v68, v10, v12, -v17
	ds_load_2addr_b64 v[16:19], v79 offset0:64 offset1:80
	v_dual_add_f32 v64, v64, v74 :: v_dual_fmac_f32 v62, v11, v12
	v_dual_mul_f32 v74, v10, v15 :: v_dual_add_f32 v68, v80, v68
	v_dual_fma_f32 v10, v10, v14, -v72 :: v_dual_mul_f32 v72, v23, v13
	v_dual_mul_f32 v13, v22, v13 :: v_dual_fmac_f32 v74, v11, v14
	s_delay_alu instid0(VALU_DEP_4) | instskip(NEXT) | instid1(VALU_DEP_3)
	v_add_f32_e32 v62, v66, v62
	v_dual_add_f32 v8, v8, v10 :: v_dual_mul_f32 v11, v23, v15
	s_delay_alu instid0(VALU_DEP_3) | instskip(NEXT) | instid1(VALU_DEP_4)
	v_dual_fma_f32 v10, v22, v12, -v72 :: v_dual_fmac_f32 v13, v23, v12
	v_add_f32_e32 v66, v70, v74
	s_delay_alu instid0(VALU_DEP_3) | instskip(NEXT) | instid1(VALU_DEP_3)
	v_dual_mul_f32 v70, v22, v15 :: v_dual_fma_f32 v11, v22, v14, -v11
	v_dual_add_f32 v10, v20, v10 :: v_dual_add_f32 v9, v9, v13
	s_wait_dscnt 0x0
	s_delay_alu instid0(VALU_DEP_2) | instskip(SKIP_4) | instid1(VALU_DEP_3)
	v_dual_fmac_f32 v70, v23, v14 :: v_dual_mul_f32 v22, v4, v17
	ds_load_2addr_b64 v[12:15], v79 offset0:96 offset1:112
	v_mul_f32_e32 v20, v5, v17
	v_add_f32_e32 v11, v21, v11
	v_dual_mul_f32 v21, v5, v19 :: v_dual_fmac_f32 v22, v5, v16
	v_dual_mul_f32 v23, v4, v19 :: v_dual_fma_f32 v20, v4, v16, -v20
	v_add_f32_e32 v64, v64, v70
	s_delay_alu instid0(VALU_DEP_3) | instskip(NEXT) | instid1(VALU_DEP_4)
	v_fma_f32 v4, v4, v18, -v21
	v_add_f32_e32 v21, v62, v22
	s_delay_alu instid0(VALU_DEP_4) | instskip(SKIP_1) | instid1(VALU_DEP_4)
	v_fmac_f32_e32 v23, v5, v18
	v_dual_mul_f32 v5, v1, v17 :: v_dual_mul_f32 v17, v0, v17
	v_dual_add_f32 v4, v8, v4 :: v_dual_mul_f32 v8, v1, v19
	s_delay_alu instid0(VALU_DEP_3) | instskip(NEXT) | instid1(VALU_DEP_3)
	v_dual_add_f32 v20, v68, v20 :: v_dual_add_f32 v22, v66, v23
	v_fma_f32 v5, v0, v16, -v5
	s_delay_alu instid0(VALU_DEP_4) | instskip(SKIP_2) | instid1(VALU_DEP_3)
	v_dual_fmac_f32 v17, v1, v16 :: v_dual_mul_f32 v23, v0, v19
	s_wait_dscnt 0x0
	v_dual_fma_f32 v0, v0, v18, -v8 :: v_dual_mul_f32 v8, v7, v13
	v_add_f32_e32 v5, v10, v5
	s_delay_alu instid0(VALU_DEP_3) | instskip(NEXT) | instid1(VALU_DEP_3)
	v_add_f32_e32 v62, v9, v17
	v_dual_fmac_f32 v23, v1, v18 :: v_dual_add_f32 v0, v11, v0
	s_delay_alu instid0(VALU_DEP_4)
	v_dual_fma_f32 v1, v6, v12, -v8 :: v_dual_mul_f32 v66, v6, v13
	ds_load_b128 v[8:11], v65 offset:224
	ds_load_2addr_b64 v[16:19], v79 offset0:128 offset1:144
	v_mul_f32_e32 v68, v7, v15
	v_add_f32_e32 v64, v64, v23
	v_dual_mul_f32 v23, v6, v15 :: v_dual_fmac_f32 v66, v7, v12
	s_delay_alu instid0(VALU_DEP_3) | instskip(NEXT) | instid1(VALU_DEP_2)
	v_dual_fma_f32 v6, v6, v14, -v68 :: v_dual_add_f32 v68, v20, v1
	v_dual_mul_f32 v1, v3, v13 :: v_dual_add_f32 v66, v21, v66
	s_delay_alu instid0(VALU_DEP_3) | instskip(NEXT) | instid1(VALU_DEP_2)
	v_dual_fmac_f32 v23, v7, v14 :: v_dual_mul_f32 v13, v2, v13
	v_dual_add_f32 v70, v4, v6 :: v_dual_fma_f32 v1, v2, v12, -v1
	v_mul_f32_e32 v4, v3, v15
	s_delay_alu instid0(VALU_DEP_3)
	v_dual_add_f32 v72, v22, v23 :: v_dual_fmac_f32 v13, v3, v12
	ds_load_b128 v[20:23], v65 offset:4320
	v_dual_add_f32 v74, v5, v1 :: v_dual_mul_f32 v12, v2, v15
	s_wait_dscnt 0x1
	v_dual_fma_f32 v1, v2, v14, -v4 :: v_dual_mul_f32 v2, v9, v17
	v_dual_mul_f32 v80, v8, v17 :: v_dual_mul_f32 v81, v8, v19
	s_delay_alu instid0(VALU_DEP_3) | instskip(NEXT) | instid1(VALU_DEP_3)
	v_dual_fmac_f32 v12, v3, v14 :: v_dual_add_f32 v62, v62, v13
	v_fma_f32 v13, v8, v16, -v2
	s_delay_alu instid0(VALU_DEP_4)
	v_dual_add_f32 v76, v0, v1 :: v_dual_mul_f32 v14, v9, v19
	ds_load_2addr_b64 v[0:3], v79 offset0:160 offset1:176
	ds_load_b128 v[4:7], v65 offset:240
	v_add_f32_e32 v64, v64, v12
	v_dual_fmac_f32 v80, v9, v16 :: v_dual_add_f32 v68, v68, v13
	v_dual_fma_f32 v8, v8, v18, -v14 :: v_dual_fmac_f32 v81, v9, v18
	ds_load_b128 v[12:15], v65 offset:4336
	s_wait_dscnt 0x3
	v_dual_mul_f32 v82, v21, v17 :: v_dual_add_f32 v66, v66, v80
	v_dual_mul_f32 v9, v20, v17 :: v_dual_add_f32 v8, v70, v8
	s_delay_alu instid0(VALU_DEP_2) | instskip(NEXT) | instid1(VALU_DEP_2)
	v_dual_mul_f32 v70, v21, v19 :: v_dual_fma_f32 v17, v20, v16, -v82
	v_dual_fmac_f32 v9, v21, v16 :: v_dual_mul_f32 v80, v20, v19
	s_delay_alu instid0(VALU_DEP_2)
	v_dual_fma_f32 v16, v20, v18, -v70 :: v_dual_add_f32 v74, v74, v17
	v_add_f32_e32 v72, v72, v81
	s_wait_dscnt 0x2
	v_mul_f32_e32 v17, v11, v1
	v_dual_add_f32 v9, v62, v9 :: v_dual_fmac_f32 v80, v21, v18
	v_dual_mul_f32 v20, v10, v1 :: v_dual_add_f32 v21, v76, v16
	s_delay_alu instid0(VALU_DEP_3) | instskip(SKIP_4) | instid1(VALU_DEP_3)
	v_fma_f32 v62, v10, v0, -v17
	ds_load_2addr_b64 v[16:19], v79 offset0:192 offset1:208
	v_dual_mul_f32 v70, v11, v3 :: v_dual_fmac_f32 v20, v11, v0
	v_add_f32_e32 v64, v64, v80
	v_dual_add_f32 v62, v68, v62 :: v_dual_mul_f32 v68, v10, v3
	v_fma_f32 v10, v10, v2, -v70
	s_delay_alu instid0(VALU_DEP_4) | instskip(NEXT) | instid1(VALU_DEP_3)
	v_dual_add_f32 v20, v66, v20 :: v_dual_mul_f32 v66, v23, v1
	v_dual_mul_f32 v1, v22, v1 :: v_dual_fmac_f32 v68, v11, v2
	s_delay_alu instid0(VALU_DEP_3) | instskip(NEXT) | instid1(VALU_DEP_2)
	v_dual_add_f32 v8, v8, v10 :: v_dual_mul_f32 v10, v23, v3
	v_dual_fma_f32 v11, v22, v0, -v66 :: v_dual_fmac_f32 v1, v23, v0
	s_delay_alu instid0(VALU_DEP_3) | instskip(NEXT) | instid1(VALU_DEP_3)
	v_dual_add_f32 v66, v72, v68 :: v_dual_mul_f32 v68, v22, v3
	v_fma_f32 v0, v22, v2, -v10
	s_delay_alu instid0(VALU_DEP_3) | instskip(SKIP_1) | instid1(VALU_DEP_3)
	v_dual_add_f32 v10, v74, v11 :: v_dual_add_f32 v9, v9, v1
	s_wait_dscnt 0x0
	v_dual_mul_f32 v11, v5, v17 :: v_dual_fmac_f32 v68, v23, v2
	s_delay_alu instid0(VALU_DEP_3) | instskip(SKIP_4) | instid1(VALU_DEP_3)
	v_dual_add_f32 v21, v21, v0 :: v_dual_mul_f32 v22, v4, v17
	ds_load_2addr_b64 v[0:3], v79 offset0:224 offset1:240
	v_fma_f32 v11, v4, v16, -v11
	v_dual_add_f32 v23, v64, v68 :: v_dual_mul_f32 v64, v5, v19
	v_dual_fmac_f32 v22, v5, v16 :: v_dual_mul_f32 v68, v4, v19
	v_dual_add_f32 v11, v62, v11 :: v_dual_mul_f32 v62, v13, v17
	s_delay_alu instid0(VALU_DEP_3) | instskip(SKIP_1) | instid1(VALU_DEP_3)
	v_fma_f32 v4, v4, v18, -v64
	s_wait_dscnt 0x0
	v_dual_fmac_f32 v68, v5, v18 :: v_dual_mul_f32 v5, v12, v17
	s_delay_alu instid0(VALU_DEP_3) | instskip(SKIP_2) | instid1(VALU_DEP_3)
	v_fma_f32 v17, v12, v16, -v62
	v_add_f32_e32 v20, v20, v22
	s_barrier_signal -1
	v_add_f32_e32 v22, v66, v68
	v_fmac_f32_e32 v5, v13, v16
	v_dual_add_f32 v4, v8, v4 :: v_dual_add_f32 v10, v10, v17
	v_dual_mul_f32 v8, v13, v19 :: v_dual_mul_f32 v16, v12, v19
	v_mul_f32_e32 v17, v6, v1
	s_barrier_wait -1
	s_delay_alu instid0(VALU_DEP_2) | instskip(SKIP_1) | instid1(VALU_DEP_3)
	v_dual_fma_f32 v8, v12, v18, -v8 :: v_dual_mul_f32 v12, v7, v1
	v_add_f32_e32 v5, v9, v5
	v_dual_fmac_f32 v16, v13, v18 :: v_dual_fmac_f32 v17, v7, v0
	s_delay_alu instid0(VALU_DEP_3) | instskip(NEXT) | instid1(VALU_DEP_4)
	v_add_f32_e32 v8, v21, v8
	v_dual_fma_f32 v9, v6, v0, -v12 :: v_dual_mul_f32 v12, v7, v3
	s_delay_alu instid0(VALU_DEP_3) | instskip(NEXT) | instid1(VALU_DEP_4)
	v_dual_mul_f32 v13, v6, v3 :: v_dual_add_f32 v16, v23, v16
	v_add_f32_e32 v76, v20, v17
	s_delay_alu instid0(VALU_DEP_3) | instskip(NEXT) | instid1(VALU_DEP_3)
	v_dual_add_f32 v74, v11, v9 :: v_dual_fma_f32 v6, v6, v2, -v12
	v_fmac_f32_e32 v13, v7, v2
	v_dual_mul_f32 v7, v15, v1 :: v_dual_mul_f32 v1, v14, v1
	v_dual_mul_f32 v9, v15, v3 :: v_dual_mul_f32 v3, v14, v3
	s_delay_alu instid0(VALU_DEP_2) | instskip(NEXT) | instid1(VALU_DEP_2)
	v_dual_add_f32 v70, v4, v6 :: v_dual_fma_f32 v4, v14, v0, -v7
	v_dual_fmac_f32 v1, v15, v0 :: v_dual_fmac_f32 v3, v15, v2
	s_delay_alu instid0(VALU_DEP_3) | instskip(NEXT) | instid1(VALU_DEP_2)
	v_fma_f32 v0, v14, v2, -v9
	v_dual_add_f32 v66, v10, v4 :: v_dual_add_f32 v68, v5, v1
	s_delay_alu instid0(VALU_DEP_3) | instskip(NEXT) | instid1(VALU_DEP_3)
	v_dual_add_f32 v72, v22, v13 :: v_dual_add_f32 v62, v16, v3
	v_add_f32_e32 v64, v8, v0
	s_cbranch_scc1 .LBB85_55
.LBB85_10:                              ;   Parent Loop BB85_4 Depth=1
                                        ;     Parent Loop BB85_7 Depth=2
                                        ; =>    This Inner Loop Header: Depth=3
	v_add_nc_u64_e32 v[0:1], s[52:53], v[38:39]
	v_cmp_eq_u64_e64 s7, s[52:53], v[50:51]
	v_add_nc_u64_e32 v[2:3], v[44:45], v[54:55]
	s_delay_alu instid0(VALU_DEP_3) | instskip(SKIP_3) | instid1(SALU_CYCLE_1)
	v_cmp_lt_i64_e64 s5, v[0:1], v[40:41]
	v_cmp_le_i64_e64 s6, s[44:45], v[0:1]
	s_and_b32 s62, s56, s7
	s_or_b32 s8, vcc_lo, s5
	s_or_b32 s7, s6, s8
	s_delay_alu instid0(SALU_CYCLE_1) | instskip(NEXT) | instid1(SALU_CYCLE_1)
	s_nor_b32 s7, s7, s62
	s_and_saveexec_b32 s8, s7
	s_delay_alu instid0(SALU_CYCLE_1)
	s_xor_b32 s7, exec_lo, s8
	s_cbranch_execz .LBB85_12
; %bb.11:                               ;   in Loop: Header=BB85_10 Depth=3
	global_load_b64 v[4:5], v[2:3], off
	s_wait_loadcnt 0x0
	ds_store_b64 v69, v[4:5]
.LBB85_12:                              ;   in Loop: Header=BB85_10 Depth=3
	s_wait_xcnt 0x0
	s_or_saveexec_b32 s7, s7
	s_xor_b32 s61, s62, -1
	s_xor_b32 exec_lo, exec_lo, s7
	s_cbranch_execz .LBB85_18
; %bb.13:                               ;   in Loop: Header=BB85_10 Depth=3
	s_and_saveexec_b32 s8, s61
	s_delay_alu instid0(SALU_CYCLE_1)
	s_xor_b32 s8, exec_lo, s8
; %bb.14:                               ;   in Loop: Header=BB85_10 Depth=3
	ds_store_b64 v69, v[30:31]
; %bb.15:                               ;   in Loop: Header=BB85_10 Depth=3
	s_and_not1_saveexec_b32 s8, s8
; %bb.16:                               ;   in Loop: Header=BB85_10 Depth=3
	ds_store_b64 v69, v[32:33]
; %bb.17:                               ;   in Loop: Header=BB85_10 Depth=3
	s_or_b32 exec_lo, exec_lo, s8
.LBB85_18:                              ;   in Loop: Header=BB85_10 Depth=3
	s_delay_alu instid0(SALU_CYCLE_1) | instskip(SKIP_2) | instid1(VALU_DEP_2)
	s_or_b32 exec_lo, exec_lo, s7
	v_add_nc_u64_e32 v[4:5], 16, v[0:1]
	v_cmp_eq_u64_e64 s9, s[52:53], v[60:61]
	v_cmp_lt_i64_e64 s8, v[4:5], v[40:41]
	v_cmp_le_i64_e64 s7, s[44:45], v[4:5]
	s_and_b32 s9, s56, s9
	s_or_b32 s8, vcc_lo, s8
	s_delay_alu instid0(SALU_CYCLE_1) | instskip(NEXT) | instid1(SALU_CYCLE_1)
	s_or_b32 s8, s7, s8
	s_nor_b32 s8, s8, s9
	s_delay_alu instid0(SALU_CYCLE_1) | instskip(NEXT) | instid1(SALU_CYCLE_1)
	s_and_saveexec_b32 s63, s8
	s_xor_b32 s8, exec_lo, s63
	s_cbranch_execz .LBB85_20
; %bb.19:                               ;   in Loop: Header=BB85_10 Depth=3
	global_load_b64 v[2:3], v[2:3], off offset:128
	s_wait_loadcnt 0x0
	ds_store_b64 v69, v[2:3] offset:128
.LBB85_20:                              ;   in Loop: Header=BB85_10 Depth=3
	s_wait_xcnt 0x0
	s_and_not1_saveexec_b32 s8, s8
	s_cbranch_execz .LBB85_26
; %bb.21:                               ;   in Loop: Header=BB85_10 Depth=3
	s_xor_b32 s9, s9, -1
	s_delay_alu instid0(SALU_CYCLE_1) | instskip(NEXT) | instid1(SALU_CYCLE_1)
	s_and_saveexec_b32 s63, s9
	s_xor_b32 s9, exec_lo, s63
; %bb.22:                               ;   in Loop: Header=BB85_10 Depth=3
	ds_store_b64 v69, v[30:31] offset:128
; %bb.23:                               ;   in Loop: Header=BB85_10 Depth=3
	s_and_not1_saveexec_b32 s9, s9
; %bb.24:                               ;   in Loop: Header=BB85_10 Depth=3
	ds_store_b64 v69, v[32:33] offset:128
; %bb.25:                               ;   in Loop: Header=BB85_10 Depth=3
	s_or_b32 exec_lo, exec_lo, s9
.LBB85_26:                              ;   in Loop: Header=BB85_10 Depth=3
	s_delay_alu instid0(SALU_CYCLE_1)
	s_or_b32 exec_lo, exec_lo, s8
	v_cmp_eq_u64_e64 s8, s[52:53], v[58:59]
	v_cmp_lt_i64_e64 s9, v[0:1], v[52:53]
	v_add_nc_u64_e32 v[0:1], v[46:47], v[54:55]
	s_and_b32 s8, s56, s8
	s_or_b32 s9, s4, s9
	s_delay_alu instid0(SALU_CYCLE_1) | instskip(NEXT) | instid1(SALU_CYCLE_1)
	s_or_b32 s9, s9, s8
	s_nor_b32 s6, s6, s9
	s_delay_alu instid0(SALU_CYCLE_1) | instskip(NEXT) | instid1(SALU_CYCLE_1)
	s_and_saveexec_b32 s9, s6
	s_xor_b32 s6, exec_lo, s9
	s_cbranch_execz .LBB85_28
; %bb.27:                               ;   in Loop: Header=BB85_10 Depth=3
	global_load_b64 v[2:3], v[0:1], off
	s_wait_loadcnt 0x0
	ds_store_b64 v69, v[2:3] offset:4096
.LBB85_28:                              ;   in Loop: Header=BB85_10 Depth=3
	s_wait_xcnt 0x0
	s_and_not1_saveexec_b32 s6, s6
	s_cbranch_execz .LBB85_34
; %bb.29:                               ;   in Loop: Header=BB85_10 Depth=3
	s_xor_b32 s8, s8, -1
	s_delay_alu instid0(SALU_CYCLE_1) | instskip(NEXT) | instid1(SALU_CYCLE_1)
	s_and_saveexec_b32 s9, s8
	s_xor_b32 s8, exec_lo, s9
; %bb.30:                               ;   in Loop: Header=BB85_10 Depth=3
	ds_store_b64 v69, v[30:31] offset:4096
; %bb.31:                               ;   in Loop: Header=BB85_10 Depth=3
	s_and_not1_saveexec_b32 s8, s8
; %bb.32:                               ;   in Loop: Header=BB85_10 Depth=3
	ds_store_b64 v69, v[32:33] offset:4096
; %bb.33:                               ;   in Loop: Header=BB85_10 Depth=3
	s_or_b32 exec_lo, exec_lo, s8
.LBB85_34:                              ;   in Loop: Header=BB85_10 Depth=3
	s_delay_alu instid0(SALU_CYCLE_1) | instskip(SKIP_1) | instid1(SALU_CYCLE_1)
	s_or_b32 exec_lo, exec_lo, s6
	s_or_b32 s5, s4, s5
	s_or_b32 s5, s7, s5
	s_delay_alu instid0(SALU_CYCLE_1) | instskip(NEXT) | instid1(SALU_CYCLE_1)
	s_nor_b32 s5, s5, s62
	s_and_saveexec_b32 s6, s5
	s_delay_alu instid0(SALU_CYCLE_1)
	s_xor_b32 s5, exec_lo, s6
	s_cbranch_execz .LBB85_36
; %bb.35:                               ;   in Loop: Header=BB85_10 Depth=3
	global_load_b64 v[0:1], v[0:1], off offset:128
	s_wait_loadcnt 0x0
	ds_store_b64 v69, v[0:1] offset:4224
.LBB85_36:                              ;   in Loop: Header=BB85_10 Depth=3
	s_wait_xcnt 0x0
	s_and_not1_saveexec_b32 s5, s5
	s_cbranch_execz .LBB85_42
; %bb.37:                               ;   in Loop: Header=BB85_10 Depth=3
	s_and_saveexec_b32 s6, s61
	s_delay_alu instid0(SALU_CYCLE_1)
	s_xor_b32 s6, exec_lo, s6
; %bb.38:                               ;   in Loop: Header=BB85_10 Depth=3
	ds_store_b64 v69, v[30:31] offset:4224
; %bb.39:                               ;   in Loop: Header=BB85_10 Depth=3
	s_and_not1_saveexec_b32 s6, s6
; %bb.40:                               ;   in Loop: Header=BB85_10 Depth=3
	ds_store_b64 v69, v[32:33] offset:4224
; %bb.41:                               ;   in Loop: Header=BB85_10 Depth=3
	s_or_b32 exec_lo, exec_lo, s6
.LBB85_42:                              ;   in Loop: Header=BB85_10 Depth=3
	s_delay_alu instid0(SALU_CYCLE_1) | instskip(SKIP_3) | instid1(VALU_DEP_3)
	s_or_b32 exec_lo, exec_lo, s5
	v_add_nc_u64_e32 v[0:1], s[52:53], v[36:37]
	v_add_nc_u64_e32 v[2:3], v[56:57], v[42:43]
	v_mov_b64_e32 v[4:5], 0
	v_cmp_le_i64_e64 s5, s[44:45], v[0:1]
	s_nor_b32 s7, s5, s2
	s_delay_alu instid0(SALU_CYCLE_1)
	s_and_saveexec_b32 s6, s7
	s_cbranch_execz .LBB85_44
; %bb.43:                               ;   in Loop: Header=BB85_10 Depth=3
	global_load_b64 v[4:5], v[2:3], off offset:-128
.LBB85_44:                              ;   in Loop: Header=BB85_10 Depth=3
	s_wait_xcnt 0x0
	s_or_b32 exec_lo, exec_lo, s6
	s_nor_b32 s5, s5, s3
	s_wait_loadcnt 0x0
	ds_store_b64 v71, v[4:5]
	s_and_saveexec_b32 s6, s5
	s_delay_alu instid0(SALU_CYCLE_1)
	s_xor_b32 s5, exec_lo, s6
	s_cbranch_execz .LBB85_46
; %bb.45:                               ;   in Loop: Header=BB85_10 Depth=3
	global_load_b64 v[2:3], v[2:3], off
	s_wait_loadcnt 0x0
	ds_store_b64 v71, v[2:3] offset:128
.LBB85_46:                              ;   in Loop: Header=BB85_10 Depth=3
	s_wait_xcnt 0x0
	s_and_not1_saveexec_b32 s5, s5
; %bb.47:                               ;   in Loop: Header=BB85_10 Depth=3
	ds_store_b64 v71, v[30:31] offset:128
; %bb.48:                               ;   in Loop: Header=BB85_10 Depth=3
	s_or_b32 exec_lo, exec_lo, s5
	v_cmp_le_i64_e64 s5, s[26:27], v[0:1]
	v_add_nc_u64_e32 v[0:1], v[56:57], v[48:49]
	v_mov_b64_e32 v[2:3], 0
	s_nor_b32 s7, s5, s2
	s_delay_alu instid0(SALU_CYCLE_1)
	s_and_saveexec_b32 s6, s7
	s_cbranch_execz .LBB85_50
; %bb.49:                               ;   in Loop: Header=BB85_10 Depth=3
	global_load_b64 v[2:3], v[0:1], off offset:-128
.LBB85_50:                              ;   in Loop: Header=BB85_10 Depth=3
	s_wait_xcnt 0x0
	s_or_b32 exec_lo, exec_lo, s6
	s_nor_b32 s5, s5, s3
	s_wait_loadcnt 0x0
	ds_store_b64 v71, v[2:3] offset:4096
	s_and_saveexec_b32 s6, s5
	s_delay_alu instid0(SALU_CYCLE_1)
	s_xor_b32 s5, exec_lo, s6
	s_cbranch_execz .LBB85_52
; %bb.51:                               ;   in Loop: Header=BB85_10 Depth=3
	global_load_b64 v[0:1], v[0:1], off
	s_wait_loadcnt 0x0
	ds_store_b64 v71, v[0:1] offset:4224
.LBB85_52:                              ;   in Loop: Header=BB85_10 Depth=3
	s_wait_xcnt 0x0
	s_and_not1_saveexec_b32 s5, s5
	s_cbranch_execz .LBB85_9
; %bb.53:                               ;   in Loop: Header=BB85_10 Depth=3
	ds_store_b64 v71, v[30:31] offset:4224
	s_branch .LBB85_9
.LBB85_54:                              ;   in Loop: Header=BB85_7 Depth=2
	v_dual_mov_b32 v74, 0 :: v_dual_mov_b32 v76, 0
	v_dual_mov_b32 v70, 0 :: v_dual_mov_b32 v72, 0
	;; [unrolled: 1-line block ×4, first 2 shown]
.LBB85_55:                              ;   in Loop: Header=BB85_7 Depth=2
	v_mul_u64_e32 v[0:1], s[28:29], v[40:41]
	v_cmp_gt_i32_e32 vcc_lo, s38, v40
	s_and_b32 s5, s0, vcc_lo
	s_delay_alu instid0(VALU_DEP_2)
	v_lshl_add_u64 v[0:1], v[0:1], 3, s[50:51]
	s_and_saveexec_b32 s4, s5
	s_cbranch_execz .LBB85_57
; %bb.56:                               ;   in Loop: Header=BB85_7 Depth=2
	s_delay_alu instid0(VALU_DEP_1) | instskip(SKIP_4) | instid1(VALU_DEP_1)
	v_lshl_add_u64 v[2:3], v[24:25], 3, v[0:1]
	v_mov_b64_e32 v[6:7], s[36:37]
	v_mov_b64_e32 v[8:9], s[40:41]
	global_load_b64 v[4:5], v[2:3], off
	v_pk_mul_f32 v[6:7], v[76:77], v[6:7] op_sel_hi:[0,1]
	v_pk_fma_f32 v[10:11], v[74:75], v[8:9], v[6:7] op_sel_hi:[0,1,1]
	v_pk_fma_f32 v[6:7], v[74:75], v[8:9], v[6:7] neg_lo:[0,0,1] neg_hi:[0,0,1]
	s_delay_alu instid0(VALU_DEP_2) | instskip(SKIP_1) | instid1(VALU_DEP_1)
	v_mov_b32_e32 v7, v11
	s_wait_loadcnt 0x0
	v_pk_add_f32 v[4:5], v[4:5], v[6:7]
	global_store_b64 v[2:3], v[4:5], off
.LBB85_57:                              ;   in Loop: Header=BB85_7 Depth=2
	s_wait_xcnt 0x0
	s_or_b32 exec_lo, exec_lo, s4
	s_and_b32 s5, s1, vcc_lo
	s_delay_alu instid0(SALU_CYCLE_1)
	s_and_saveexec_b32 s4, s5
	s_cbranch_execz .LBB85_59
; %bb.58:                               ;   in Loop: Header=BB85_7 Depth=2
	v_lshl_add_u64 v[0:1], v[26:27], 3, v[0:1]
	v_mov_b64_e32 v[4:5], s[36:37]
	v_mov_b64_e32 v[6:7], s[40:41]
	global_load_b64 v[2:3], v[0:1], off
	v_pk_mul_f32 v[4:5], v[72:73], v[4:5] op_sel_hi:[0,1]
	s_delay_alu instid0(VALU_DEP_1) | instskip(SKIP_1) | instid1(VALU_DEP_2)
	v_pk_fma_f32 v[8:9], v[70:71], v[6:7], v[4:5] op_sel_hi:[0,1,1]
	v_pk_fma_f32 v[4:5], v[70:71], v[6:7], v[4:5] neg_lo:[0,0,1] neg_hi:[0,0,1]
	v_mov_b32_e32 v5, v9
	s_wait_loadcnt 0x0
	s_delay_alu instid0(VALU_DEP_1)
	v_pk_add_f32 v[2:3], v[2:3], v[4:5]
	global_store_b64 v[0:1], v[2:3], off
.LBB85_59:                              ;   in Loop: Header=BB85_7 Depth=2
	s_wait_xcnt 0x0
	s_or_b32 exec_lo, exec_lo, s4
	v_add_nc_u32_e32 v0, 16, v40
	s_delay_alu instid0(VALU_DEP_1) | instskip(SKIP_1) | instid1(VALU_DEP_2)
	v_ashrrev_i32_e32 v1, 31, v0
	v_cmp_gt_i32_e32 vcc_lo, s38, v0
	v_mul_u64_e32 v[2:3], s[28:29], v[0:1]
	s_and_b32 s5, s0, vcc_lo
	s_delay_alu instid0(VALU_DEP_1)
	v_lshl_add_u64 v[0:1], v[2:3], 3, s[50:51]
	s_and_saveexec_b32 s4, s5
	s_cbranch_execz .LBB85_61
; %bb.60:                               ;   in Loop: Header=BB85_7 Depth=2
	s_delay_alu instid0(VALU_DEP_1) | instskip(SKIP_4) | instid1(VALU_DEP_1)
	v_lshl_add_u64 v[2:3], v[24:25], 3, v[0:1]
	v_mov_b64_e32 v[6:7], s[36:37]
	v_mov_b64_e32 v[8:9], s[40:41]
	global_load_b64 v[4:5], v[2:3], off
	v_pk_mul_f32 v[6:7], v[68:69], v[6:7] op_sel_hi:[0,1]
	v_pk_fma_f32 v[10:11], v[66:67], v[8:9], v[6:7] op_sel_hi:[0,1,1]
	v_pk_fma_f32 v[6:7], v[66:67], v[8:9], v[6:7] neg_lo:[0,0,1] neg_hi:[0,0,1]
	s_delay_alu instid0(VALU_DEP_2) | instskip(SKIP_1) | instid1(VALU_DEP_1)
	v_mov_b32_e32 v7, v11
	s_wait_loadcnt 0x0
	v_pk_add_f32 v[4:5], v[4:5], v[6:7]
	global_store_b64 v[2:3], v[4:5], off
.LBB85_61:                              ;   in Loop: Header=BB85_7 Depth=2
	s_wait_xcnt 0x0
	s_or_b32 exec_lo, exec_lo, s4
	s_and_b32 s5, s1, vcc_lo
	s_delay_alu instid0(SALU_CYCLE_1)
	s_and_saveexec_b32 s4, s5
	s_cbranch_execz .LBB85_6
; %bb.62:                               ;   in Loop: Header=BB85_7 Depth=2
	v_lshl_add_u64 v[0:1], v[26:27], 3, v[0:1]
	v_mov_b64_e32 v[4:5], s[36:37]
	v_mov_b64_e32 v[6:7], s[40:41]
	global_load_b64 v[2:3], v[0:1], off
	v_pk_mul_f32 v[4:5], v[62:63], v[4:5] op_sel_hi:[0,1]
	s_delay_alu instid0(VALU_DEP_1) | instskip(SKIP_1) | instid1(VALU_DEP_2)
	v_pk_fma_f32 v[8:9], v[64:65], v[6:7], v[4:5] op_sel_hi:[0,1,1]
	v_pk_fma_f32 v[4:5], v[64:65], v[6:7], v[4:5] neg_lo:[0,0,1] neg_hi:[0,0,1]
	v_mov_b32_e32 v5, v9
	s_wait_loadcnt 0x0
	s_delay_alu instid0(VALU_DEP_1)
	v_pk_add_f32 v[2:3], v[2:3], v[4:5]
	global_store_b64 v[0:1], v[2:3], off
	s_branch .LBB85_6
.LBB85_63:
	s_sendmsg sendmsg(MSG_DEALLOC_VGPRS)
	s_endpgm
	.section	.rodata,"a",@progbits
	.p2align	6, 0x0
	.amdhsa_kernel _ZL30rocblas_trmm_outofplace_kernelI19rocblas_complex_numIfELi32ELi2ELb0ELb0ELb0ELb0ES1_KS1_S1_Ev17rocblas_diagonal_iiT6_lPT7_lllS6_lllPT8_llli
		.amdhsa_group_segment_fixed_size 16384
		.amdhsa_private_segment_fixed_size 0
		.amdhsa_kernarg_size 392
		.amdhsa_user_sgpr_count 2
		.amdhsa_user_sgpr_dispatch_ptr 0
		.amdhsa_user_sgpr_queue_ptr 0
		.amdhsa_user_sgpr_kernarg_segment_ptr 1
		.amdhsa_user_sgpr_dispatch_id 0
		.amdhsa_user_sgpr_kernarg_preload_length 0
		.amdhsa_user_sgpr_kernarg_preload_offset 0
		.amdhsa_user_sgpr_private_segment_size 0
		.amdhsa_wavefront_size32 1
		.amdhsa_uses_dynamic_stack 0
		.amdhsa_enable_private_segment 0
		.amdhsa_system_sgpr_workgroup_id_x 1
		.amdhsa_system_sgpr_workgroup_id_y 1
		.amdhsa_system_sgpr_workgroup_id_z 1
		.amdhsa_system_sgpr_workgroup_info 0
		.amdhsa_system_vgpr_workitem_id 1
		.amdhsa_next_free_vgpr 95
		.amdhsa_next_free_sgpr 64
		.amdhsa_named_barrier_count 0
		.amdhsa_reserve_vcc 1
		.amdhsa_float_round_mode_32 0
		.amdhsa_float_round_mode_16_64 0
		.amdhsa_float_denorm_mode_32 3
		.amdhsa_float_denorm_mode_16_64 3
		.amdhsa_fp16_overflow 0
		.amdhsa_memory_ordered 1
		.amdhsa_forward_progress 1
		.amdhsa_inst_pref_size 59
		.amdhsa_round_robin_scheduling 0
		.amdhsa_exception_fp_ieee_invalid_op 0
		.amdhsa_exception_fp_denorm_src 0
		.amdhsa_exception_fp_ieee_div_zero 0
		.amdhsa_exception_fp_ieee_overflow 0
		.amdhsa_exception_fp_ieee_underflow 0
		.amdhsa_exception_fp_ieee_inexact 0
		.amdhsa_exception_int_div_zero 0
	.end_amdhsa_kernel
	.section	.text._ZL30rocblas_trmm_outofplace_kernelI19rocblas_complex_numIfELi32ELi2ELb0ELb0ELb0ELb0ES1_KS1_S1_Ev17rocblas_diagonal_iiT6_lPT7_lllS6_lllPT8_llli,"axG",@progbits,_ZL30rocblas_trmm_outofplace_kernelI19rocblas_complex_numIfELi32ELi2ELb0ELb0ELb0ELb0ES1_KS1_S1_Ev17rocblas_diagonal_iiT6_lPT7_lllS6_lllPT8_llli,comdat
.Lfunc_end85:
	.size	_ZL30rocblas_trmm_outofplace_kernelI19rocblas_complex_numIfELi32ELi2ELb0ELb0ELb0ELb0ES1_KS1_S1_Ev17rocblas_diagonal_iiT6_lPT7_lllS6_lllPT8_llli, .Lfunc_end85-_ZL30rocblas_trmm_outofplace_kernelI19rocblas_complex_numIfELi32ELi2ELb0ELb0ELb0ELb0ES1_KS1_S1_Ev17rocblas_diagonal_iiT6_lPT7_lllS6_lllPT8_llli
                                        ; -- End function
	.set _ZL30rocblas_trmm_outofplace_kernelI19rocblas_complex_numIfELi32ELi2ELb0ELb0ELb0ELb0ES1_KS1_S1_Ev17rocblas_diagonal_iiT6_lPT7_lllS6_lllPT8_llli.num_vgpr, 95
	.set _ZL30rocblas_trmm_outofplace_kernelI19rocblas_complex_numIfELi32ELi2ELb0ELb0ELb0ELb0ES1_KS1_S1_Ev17rocblas_diagonal_iiT6_lPT7_lllS6_lllPT8_llli.num_agpr, 0
	.set _ZL30rocblas_trmm_outofplace_kernelI19rocblas_complex_numIfELi32ELi2ELb0ELb0ELb0ELb0ES1_KS1_S1_Ev17rocblas_diagonal_iiT6_lPT7_lllS6_lllPT8_llli.numbered_sgpr, 64
	.set _ZL30rocblas_trmm_outofplace_kernelI19rocblas_complex_numIfELi32ELi2ELb0ELb0ELb0ELb0ES1_KS1_S1_Ev17rocblas_diagonal_iiT6_lPT7_lllS6_lllPT8_llli.num_named_barrier, 0
	.set _ZL30rocblas_trmm_outofplace_kernelI19rocblas_complex_numIfELi32ELi2ELb0ELb0ELb0ELb0ES1_KS1_S1_Ev17rocblas_diagonal_iiT6_lPT7_lllS6_lllPT8_llli.private_seg_size, 0
	.set _ZL30rocblas_trmm_outofplace_kernelI19rocblas_complex_numIfELi32ELi2ELb0ELb0ELb0ELb0ES1_KS1_S1_Ev17rocblas_diagonal_iiT6_lPT7_lllS6_lllPT8_llli.uses_vcc, 1
	.set _ZL30rocblas_trmm_outofplace_kernelI19rocblas_complex_numIfELi32ELi2ELb0ELb0ELb0ELb0ES1_KS1_S1_Ev17rocblas_diagonal_iiT6_lPT7_lllS6_lllPT8_llli.uses_flat_scratch, 0
	.set _ZL30rocblas_trmm_outofplace_kernelI19rocblas_complex_numIfELi32ELi2ELb0ELb0ELb0ELb0ES1_KS1_S1_Ev17rocblas_diagonal_iiT6_lPT7_lllS6_lllPT8_llli.has_dyn_sized_stack, 0
	.set _ZL30rocblas_trmm_outofplace_kernelI19rocblas_complex_numIfELi32ELi2ELb0ELb0ELb0ELb0ES1_KS1_S1_Ev17rocblas_diagonal_iiT6_lPT7_lllS6_lllPT8_llli.has_recursion, 0
	.set _ZL30rocblas_trmm_outofplace_kernelI19rocblas_complex_numIfELi32ELi2ELb0ELb0ELb0ELb0ES1_KS1_S1_Ev17rocblas_diagonal_iiT6_lPT7_lllS6_lllPT8_llli.has_indirect_call, 0
	.section	.AMDGPU.csdata,"",@progbits
; Kernel info:
; codeLenInByte = 7536
; TotalNumSgprs: 66
; NumVgprs: 95
; ScratchSize: 0
; MemoryBound: 1
; FloatMode: 240
; IeeeMode: 1
; LDSByteSize: 16384 bytes/workgroup (compile time only)
; SGPRBlocks: 0
; VGPRBlocks: 5
; NumSGPRsForWavesPerEU: 66
; NumVGPRsForWavesPerEU: 95
; NamedBarCnt: 0
; Occupancy: 10
; WaveLimiterHint : 0
; COMPUTE_PGM_RSRC2:SCRATCH_EN: 0
; COMPUTE_PGM_RSRC2:USER_SGPR: 2
; COMPUTE_PGM_RSRC2:TRAP_HANDLER: 0
; COMPUTE_PGM_RSRC2:TGID_X_EN: 1
; COMPUTE_PGM_RSRC2:TGID_Y_EN: 1
; COMPUTE_PGM_RSRC2:TGID_Z_EN: 1
; COMPUTE_PGM_RSRC2:TIDIG_COMP_CNT: 1
	.section	.text._ZL30rocblas_trmm_outofplace_kernelI19rocblas_complex_numIfELi32ELi2ELb0ELb1ELb0ELb0EPKS1_S2_S1_Ev17rocblas_diagonal_iiT6_lPT7_lllS7_lllPT8_llli,"axG",@progbits,_ZL30rocblas_trmm_outofplace_kernelI19rocblas_complex_numIfELi32ELi2ELb0ELb1ELb0ELb0EPKS1_S2_S1_Ev17rocblas_diagonal_iiT6_lPT7_lllS7_lllPT8_llli,comdat
	.globl	_ZL30rocblas_trmm_outofplace_kernelI19rocblas_complex_numIfELi32ELi2ELb0ELb1ELb0ELb0EPKS1_S2_S1_Ev17rocblas_diagonal_iiT6_lPT7_lllS7_lllPT8_llli ; -- Begin function _ZL30rocblas_trmm_outofplace_kernelI19rocblas_complex_numIfELi32ELi2ELb0ELb1ELb0ELb0EPKS1_S2_S1_Ev17rocblas_diagonal_iiT6_lPT7_lllS7_lllPT8_llli
	.p2align	8
	.type	_ZL30rocblas_trmm_outofplace_kernelI19rocblas_complex_numIfELi32ELi2ELb0ELb1ELb0ELb0EPKS1_S2_S1_Ev17rocblas_diagonal_iiT6_lPT7_lllS7_lllPT8_llli,@function
_ZL30rocblas_trmm_outofplace_kernelI19rocblas_complex_numIfELi32ELi2ELb0ELb1ELb0ELb0EPKS1_S2_S1_Ev17rocblas_diagonal_iiT6_lPT7_lllS7_lllPT8_llli: ; @_ZL30rocblas_trmm_outofplace_kernelI19rocblas_complex_numIfELi32ELi2ELb0ELb1ELb0ELb0EPKS1_S2_S1_Ev17rocblas_diagonal_iiT6_lPT7_lllS7_lllPT8_llli
; %bb.0:
	s_load_b32 s33, s[0:1], 0x80
	s_bfe_u32 s2, ttmp6, 0x40014
	s_lshr_b32 s3, ttmp7, 16
	s_add_co_i32 s2, s2, 1
	s_bfe_u32 s5, ttmp6, 0x40008
	s_mul_i32 s4, s3, s2
	s_getreg_b32 s2, hwreg(HW_REG_IB_STS2, 6, 4)
	s_add_co_i32 s5, s5, s4
	s_cmp_eq_u32 s2, 0
	s_mov_b32 s35, 0
	s_cselect_b32 s34, s3, s5
	s_wait_kmcnt 0x0
	s_cmp_ge_u32 s34, s33
	s_cbranch_scc1 .LBB86_63
; %bb.1:
	s_clause 0x3
	s_load_b96 s[36:38], s[0:1], 0x0
	s_load_b512 s[12:27], s[0:1], 0x10
	s_load_b128 s[28:31], s[0:1], 0x70
	s_load_b256 s[4:11], s[0:1], 0x50
	v_bfe_u32 v22, v0, 10, 10
	v_mov_b32_e32 v21, 0
	v_and_b32_e32 v20, 0x3ff, v0
	s_bfe_u32 s39, ttmp6, 0x4000c
	s_and_b32 s3, ttmp6, 15
	s_delay_alu instid0(VALU_DEP_2)
	v_dual_mov_b32 v23, v21 :: v_dual_lshlrev_b32 v0, 3, v22
	v_mov_b32_e32 v1, v21
	s_add_co_i32 s39, s39, 1
	s_bfe_u32 s41, ttmp6, 0x40010
	s_mul_i32 s39, ttmp9, s39
	s_and_b32 s40, ttmp7, 0xffff
	v_add_nc_u64_e32 v[0:1], 0x80, v[0:1]
	s_add_co_i32 s41, s41, 1
	s_add_co_i32 s3, s3, s39
	s_bfe_u32 s42, ttmp6, 0x40004
	s_wait_kmcnt 0x0
	s_add_co_i32 s43, s38, -1
	s_mul_i32 s41, s40, s41
	s_ashr_i32 s44, s43, 31
	v_mul_u64_e32 v[2:3], s[4:5], v[22:23]
	s_lshr_b32 s39, s44, 27
	v_mul_u64_e32 v[28:29], s[4:5], v[0:1]
	s_add_co_i32 s43, s43, s39
	s_add_co_i32 s42, s42, s41
	s_lshl_b64 s[10:11], s[10:11], 3
	s_ashr_i32 s39, s43, 5
	s_cmp_eq_u32 s2, 0
	v_dual_lshlrev_b32 v63, 8, v22 :: v_dual_mov_b32 v25, v21
	s_cselect_b32 s2, ttmp9, s3
	s_cselect_b32 s50, s40, s42
	v_lshl_add_u32 v26, s2, 5, v20
	s_cmp_le_i32 s50, s39
	v_lshlrev_b32_e32 v24, 3, v20
	s_cselect_b32 s51, -1, 0
	s_cmp_eq_u32 s36, 0x84
	v_ashrrev_i32_e32 v27, 31, v26
	s_cselect_b32 s52, -1, 0
	s_ashr_i32 s3, s37, 31
	s_mov_b32 s2, s37
	v_or_b32_e32 v65, 0x2000, v24
	v_sub_nc_u64_e32 v[4:5], s[2:3], v[26:27]
	s_lshl_b64 s[2:3], s[26:27], 3
	v_add_nc_u32_e32 v30, 16, v26
	s_add_nc_u64 s[2:3], s[24:25], s[2:3]
	s_add_nc_u64 s[44:45], s[0:1], 0x88
	v_lshl_add_u64 v[0:1], v[26:27], 3, s[2:3]
	v_mov_b64_e32 v[36:37], 0
	v_cmp_gt_i64_e64 s0, 1, v[4:5]
	v_cmp_gt_i64_e64 s1, 17, v[4:5]
	v_mov_b64_e32 v[38:39], 0x3f800000
	v_lshlrev_b64_e32 v[32:33], 3, v[2:3]
	v_add_nc_u64_e32 v[34:35], 0x80, v[0:1]
	v_dual_add_nc_u32 v67, v63, v24 :: v_dual_add_nc_u32 v69, v65, v63
	v_cmp_gt_i32_e64 s2, s37, v26
	v_cmp_gt_i32_e64 s3, s37, v30
	v_ashrrev_i32_e32 v31, 31, v30
	v_add_nc_u32_e32 v71, 0x800, v65
	v_add_nc_u32_e32 v72, 0x1000, v65
	;; [unrolled: 1-line block ×3, first 2 shown]
	s_ashr_i32 s41, s38, 31
	s_mov_b32 s40, s38
	s_lshl_b64 s[42:43], s[4:5], 8
	s_lshl_b64 s[4:5], s[18:19], 3
	s_add_nc_u64 s[10:11], s[8:9], s[10:11]
	s_add_nc_u64 s[24:25], s[40:41], -16
	s_lshl_b64 s[26:27], s[6:7], 3
	s_add_nc_u64 s[16:17], s[16:17], s[4:5]
	s_lshl_b64 s[18:19], s[22:23], 3
	s_lshl_b64 s[22:23], s[20:21], 3
	s_branch .LBB86_4
.LBB86_2:                               ;   in Loop: Header=BB86_4 Depth=1
	s_add_co_i32 s34, s34, 0x10000
	s_delay_alu instid0(SALU_CYCLE_1)
	s_cmp_ge_u32 s34, s33
	s_cselect_b32 s4, -1, 0
.LBB86_3:                               ;   in Loop: Header=BB86_4 Depth=1
	s_delay_alu instid0(SALU_CYCLE_1)
	s_and_b32 vcc_lo, exec_lo, s4
	s_cbranch_vccnz .LBB86_63
.LBB86_4:                               ; =>This Loop Header: Depth=1
                                        ;     Child Loop BB86_8 Depth 2
                                        ;       Child Loop BB86_11 Depth 3
	s_mul_u64 s[4:5], s[14:15], s[34:35]
	s_delay_alu instid0(SALU_CYCLE_1) | instskip(NEXT) | instid1(SALU_CYCLE_1)
	s_lshl_b64 s[4:5], s[4:5], 3
	s_add_nc_u64 s[4:5], s[12:13], s[4:5]
	global_load_b64 v[40:41], v21, s[4:5]
	s_wait_xcnt 0x0
	s_mov_b32 s4, -1
	s_wait_loadcnt 0x0
	v_or_b32_e32 v0, v40, v41
	s_delay_alu instid0(VALU_DEP_1) | instskip(NEXT) | instid1(VALU_DEP_1)
	v_and_b32_e32 v0, 0x7fffffff, v0
	v_cmp_eq_u32_e32 vcc_lo, 0, v0
	s_cbranch_vccnz .LBB86_3
; %bb.5:                                ;   in Loop: Header=BB86_4 Depth=1
	s_and_not1_b32 vcc_lo, exec_lo, s51
	s_cbranch_vccnz .LBB86_2
; %bb.6:                                ;   in Loop: Header=BB86_4 Depth=1
	s_load_b32 s53, s[44:45], 0x4
	v_mad_nc_u64_u32 v[42:43], s26, s34, v[34:35]
	s_mul_u64 s[6:7], s[30:31], s[34:35]
	v_lshl_add_u32 v46, s50, 5, v22
	v_dual_mov_b32 v44, v41 :: v_dual_mov_b32 v45, v40
	s_mul_u64 s[4:5], s[18:19], s[34:35]
	s_lshl_b64 s[6:7], s[6:7], 3
	s_add_nc_u64 s[36:37], s[16:17], s[4:5]
	s_add_nc_u64 s[46:47], s[10:11], s[6:7]
	s_mov_b32 s55, s50
	s_delay_alu instid0(VALU_DEP_3)
	v_mad_u32 v43, s27, s34, v43
	s_wait_kmcnt 0x0
	s_lshl_b32 s54, s53, 5
	s_branch .LBB86_8
.LBB86_7:                               ;   in Loop: Header=BB86_8 Depth=2
	s_wait_xcnt 0x0
	s_or_b32 exec_lo, exec_lo, s4
	v_add_nc_u32_e32 v46, s54, v46
	s_add_co_i32 s55, s53, s55
	s_delay_alu instid0(SALU_CYCLE_1)
	s_cmp_gt_i32 s55, s39
	s_cbranch_scc1 .LBB86_2
.LBB86_8:                               ;   Parent Loop BB86_4 Depth=1
                                        ; =>  This Loop Header: Depth=2
                                        ;       Child Loop BB86_11 Depth 3
	s_lshl_b32 s56, s55, 5
	s_delay_alu instid0(SALU_CYCLE_1) | instskip(SKIP_2) | instid1(VALU_DEP_3)
	v_dual_mov_b32 v2, 0 :: v_dual_add_nc_u32 v48, s56, v22
	v_dual_mov_b32 v4, 0 :: v_dual_mov_b32 v0, 0
	v_dual_mov_b32 v70, 0 :: v_dual_mov_b32 v66, 0
	v_dual_mov_b32 v68, 0 :: v_dual_ashrrev_i32 v49, 31, v48
	v_dual_mov_b32 v64, 0 :: v_dual_mov_b32 v62, 0
	s_cmp_lt_i32 s55, 0
	s_cbranch_scc1 .LBB86_55
; %bb.9:                                ;   in Loop: Header=BB86_8 Depth=2
	v_dual_mov_b32 v62, 0 :: v_dual_ashrrev_i32 v47, 31, v46
	v_mad_nc_u64_u32 v[50:51], s22, v46, s[36:37]
	v_sub_nc_u64_e32 v[2:3], 0, v[20:21]
	v_add_nc_u64_e32 v[54:55], 16, v[48:49]
	s_delay_alu instid0(VALU_DEP_4) | instskip(SKIP_3) | instid1(VALU_DEP_4)
	v_lshl_add_u64 v[0:1], v[46:47], 3, 0x80
	v_mov_b64_e32 v[58:59], v[42:43]
	v_dual_mov_b32 v64, 0 :: v_dual_mov_b32 v68, 0
	v_dual_mov_b32 v66, 0 :: v_dual_mov_b32 v70, 0
	v_mad_nc_u64_u32 v[52:53], s20, v0, s[36:37]
	v_add_nc_u64_e32 v[56:57], v[2:3], v[46:47]
	v_mad_u32 v4, s23, v46, v51
	v_cmp_le_i64_e64 s4, s[40:41], v[54:55]
	v_mov_b32_e32 v2, 0
	s_mov_b64 s[48:49], 0
	v_cmp_le_i32_e32 vcc_lo, s38, v48
	v_add_nc_u64_e32 v[60:61], -16, v[56:57]
	v_mad_u32 v0, s21, v0, v53
	v_mad_u32 v51, s22, v47, v4
	v_mov_b32_e32 v4, 0
	s_delay_alu instid0(VALU_DEP_3)
	v_mad_u32 v53, s20, v1, v0
	v_mov_b32_e32 v0, 0
	s_branch .LBB86_11
.LBB86_10:                              ;   in Loop: Header=BB86_11 Depth=3
	s_or_b32 exec_lo, exec_lo, s5
	s_wait_dscnt 0x0
	s_barrier_signal -1
	s_barrier_wait -1
	ds_load_b128 v[16:19], v63
	ds_load_2addr_b64 v[74:77], v65 offset1:16
	ds_load_b128 v[78:81], v63 offset:4096
	ds_load_b128 v[8:11], v63 offset:16
	ds_load_2addr_b64 v[82:85], v65 offset0:32 offset1:48
	ds_load_b128 v[12:15], v63 offset:4112
	v_add_nc_u64_e32 v[58:59], s[42:43], v[58:59]
	v_add_nc_u64_e32 v[52:53], 0x100, v[52:53]
	;; [unrolled: 1-line block ×3, first 2 shown]
	s_add_nc_u64 s[48:49], s[48:49], 32
	s_delay_alu instid0(SALU_CYCLE_1) | instskip(NEXT) | instid1(SALU_CYCLE_1)
	s_sub_co_i32 s5, s48, 32
	s_cmp_ge_i32 s5, s56
	s_wait_dscnt 0x4
	v_dual_mul_f32 v1, v17, v75 :: v_dual_mul_f32 v3, v16, v75
	v_dual_mul_f32 v5, v17, v77 :: v_dual_mul_f32 v47, v16, v77
	s_wait_dscnt 0x3
	s_delay_alu instid0(VALU_DEP_2) | instskip(NEXT) | instid1(VALU_DEP_2)
	v_dual_mul_f32 v86, v79, v75 :: v_dual_fma_f32 v1, v16, v74, -v1
	v_dual_fmac_f32 v3, v17, v74 :: v_dual_fma_f32 v5, v16, v76, -v5
	s_delay_alu instid0(VALU_DEP_3) | instskip(NEXT) | instid1(VALU_DEP_3)
	v_dual_mul_f32 v16, v78, v75 :: v_dual_fmac_f32 v47, v17, v76
	v_dual_mul_f32 v75, v79, v77 :: v_dual_fma_f32 v86, v78, v74, -v86
	s_delay_alu instid0(VALU_DEP_2) | instskip(NEXT) | instid1(VALU_DEP_3)
	v_dual_add_f32 v88, v0, v5 :: v_dual_fmac_f32 v16, v79, v74
	v_add_f32_e32 v47, v70, v47
	s_delay_alu instid0(VALU_DEP_3)
	v_dual_mul_f32 v70, v78, v77 :: v_dual_fma_f32 v74, v78, v76, -v75
	v_dual_add_f32 v17, v2, v1 :: v_dual_add_f32 v87, v4, v3
	ds_load_b128 v[4:7], v63 offset:32
	ds_load_b128 v[0:3], v63 offset:48
	v_dual_add_f32 v66, v66, v86 :: v_dual_add_f32 v16, v68, v16
	s_wait_dscnt 0x3
	v_mul_f32_e32 v68, v19, v83
	v_dual_fmac_f32 v70, v79, v76 :: v_dual_add_f32 v64, v64, v74
	ds_load_2addr_b64 v[74:77], v65 offset0:64 offset1:80
	v_dual_mul_f32 v78, v18, v83 :: v_dual_fma_f32 v68, v18, v82, -v68
	v_dual_mul_f32 v79, v19, v85 :: v_dual_add_f32 v62, v62, v70
	s_delay_alu instid0(VALU_DEP_2) | instskip(NEXT) | instid1(VALU_DEP_3)
	v_dual_mul_f32 v70, v18, v85 :: v_dual_fmac_f32 v78, v19, v82
	v_add_f32_e32 v68, v17, v68
	s_delay_alu instid0(VALU_DEP_3) | instskip(NEXT) | instid1(VALU_DEP_3)
	v_dual_fma_f32 v17, v18, v84, -v79 :: v_dual_mul_f32 v18, v81, v83
	v_dual_fmac_f32 v70, v19, v84 :: v_dual_mul_f32 v19, v80, v83
	s_delay_alu instid0(VALU_DEP_2) | instskip(NEXT) | instid1(VALU_DEP_3)
	v_dual_add_f32 v78, v87, v78 :: v_dual_add_f32 v79, v88, v17
	v_dual_fma_f32 v17, v80, v82, -v18 :: v_dual_mul_f32 v18, v81, v85
	s_delay_alu instid0(VALU_DEP_3) | instskip(NEXT) | instid1(VALU_DEP_4)
	v_add_f32_e32 v47, v47, v70
	v_dual_fmac_f32 v19, v81, v82 :: v_dual_mul_f32 v70, v80, v85
	s_delay_alu instid0(VALU_DEP_3) | instskip(SKIP_2) | instid1(VALU_DEP_3)
	v_dual_add_f32 v66, v66, v17 :: v_dual_fma_f32 v17, v80, v84, -v18
	s_wait_dscnt 0x0
	v_mul_f32_e32 v18, v9, v75
	v_dual_add_f32 v80, v16, v19 :: v_dual_fmac_f32 v70, v81, v84
	v_mul_f32_e32 v81, v8, v75
	v_add_f32_e32 v64, v64, v17
	s_delay_alu instid0(VALU_DEP_4) | instskip(SKIP_4) | instid1(VALU_DEP_3)
	v_dual_fma_f32 v82, v8, v74, -v18 :: v_dual_mul_f32 v83, v9, v77
	ds_load_2addr_b64 v[16:19], v65 offset0:96 offset1:112
	v_fmac_f32_e32 v81, v9, v74
	v_dual_add_f32 v62, v62, v70 :: v_dual_mul_f32 v70, v8, v77
	v_add_f32_e32 v68, v68, v82
	v_dual_fma_f32 v8, v8, v76, -v83 :: v_dual_add_f32 v78, v78, v81
	v_dual_mul_f32 v81, v13, v75 :: v_dual_mul_f32 v75, v12, v75
	s_delay_alu instid0(VALU_DEP_4) | instskip(NEXT) | instid1(VALU_DEP_3)
	v_fmac_f32_e32 v70, v9, v76
	v_dual_add_f32 v8, v79, v8 :: v_dual_mul_f32 v9, v13, v77
	s_delay_alu instid0(VALU_DEP_3) | instskip(NEXT) | instid1(VALU_DEP_3)
	v_dual_fma_f32 v79, v12, v74, -v81 :: v_dual_fmac_f32 v75, v13, v74
	v_dual_mul_f32 v81, v12, v77 :: v_dual_add_f32 v47, v47, v70
	s_delay_alu instid0(VALU_DEP_2) | instskip(NEXT) | instid1(VALU_DEP_2)
	v_dual_fma_f32 v9, v12, v76, -v9 :: v_dual_add_f32 v12, v66, v79
	v_dual_add_f32 v66, v80, v75 :: v_dual_fmac_f32 v81, v13, v76
	s_wait_dscnt 0x0
	v_mul_f32_e32 v13, v11, v17
	ds_load_2addr_b64 v[74:77], v65 offset0:128 offset1:144
	v_dual_add_f32 v9, v64, v9 :: v_dual_mul_f32 v70, v11, v19
	v_dual_mul_f32 v64, v10, v17 :: v_dual_fma_f32 v13, v10, v16, -v13
	v_mul_f32_e32 v79, v10, v19
	v_add_f32_e32 v62, v62, v81
	s_delay_alu instid0(VALU_DEP_3) | instskip(NEXT) | instid1(VALU_DEP_4)
	v_dual_fma_f32 v10, v10, v18, -v70 :: v_dual_fmac_f32 v64, v11, v16
	v_add_f32_e32 v68, v68, v13
	v_mul_f32_e32 v13, v15, v17
	s_delay_alu instid0(VALU_DEP_3) | instskip(NEXT) | instid1(VALU_DEP_2)
	v_dual_fmac_f32 v79, v11, v18 :: v_dual_add_f32 v11, v78, v64
	v_dual_add_f32 v64, v8, v10 :: v_dual_fma_f32 v10, v14, v16, -v13
	s_delay_alu instid0(VALU_DEP_2)
	v_dual_mul_f32 v8, v14, v17 :: v_dual_add_f32 v17, v47, v79
	v_mul_f32_e32 v13, v15, v19
	ds_load_b128 v[78:81], v63 offset:4128
	s_wait_dscnt 0x1
	v_dual_mul_f32 v47, v5, v77 :: v_dual_fmac_f32 v8, v15, v16
	v_dual_add_f32 v16, v12, v10 :: v_dual_mul_f32 v10, v14, v19
	v_dual_fma_f32 v12, v14, v18, -v13 :: v_dual_mul_f32 v13, v5, v75
	s_delay_alu instid0(VALU_DEP_3) | instskip(NEXT) | instid1(VALU_DEP_2)
	v_dual_add_f32 v19, v66, v8 :: v_dual_mul_f32 v8, v4, v75
	v_dual_fmac_f32 v10, v15, v18 :: v_dual_add_f32 v18, v9, v12
	s_delay_alu instid0(VALU_DEP_3) | instskip(SKIP_3) | instid1(VALU_DEP_2)
	v_fma_f32 v9, v4, v74, -v13
	ds_load_2addr_b64 v[12:15], v65 offset0:160 offset1:176
	v_fmac_f32_e32 v8, v5, v74
	v_dual_add_f32 v62, v62, v10 :: v_dual_add_f32 v66, v68, v9
	v_dual_mul_f32 v68, v4, v77 :: v_dual_add_f32 v70, v11, v8
	ds_load_b128 v[8:11], v63 offset:4144
	s_wait_dscnt 0x2
	v_dual_fma_f32 v4, v4, v76, -v47 :: v_dual_mul_f32 v47, v79, v75
	v_dual_fmac_f32 v68, v5, v76 :: v_dual_mul_f32 v5, v78, v75
	s_delay_alu instid0(VALU_DEP_2) | instskip(NEXT) | instid1(VALU_DEP_2)
	v_dual_add_f32 v4, v64, v4 :: v_dual_mul_f32 v64, v79, v77
	v_dual_fma_f32 v47, v78, v74, -v47 :: v_dual_add_f32 v17, v17, v68
	s_delay_alu instid0(VALU_DEP_3) | instskip(NEXT) | instid1(VALU_DEP_2)
	v_dual_fmac_f32 v5, v79, v74 :: v_dual_mul_f32 v68, v78, v77
	v_dual_fma_f32 v64, v78, v76, -v64 :: v_dual_add_f32 v16, v16, v47
	s_wait_dscnt 0x1
	v_mul_f32_e32 v47, v7, v13
	s_delay_alu instid0(VALU_DEP_3) | instskip(SKIP_4) | instid1(VALU_DEP_2)
	v_fmac_f32_e32 v68, v79, v76
	ds_load_2addr_b64 v[74:77], v65 offset0:192 offset1:208
	v_dual_add_f32 v64, v18, v64 :: v_dual_add_f32 v5, v19, v5
	v_dual_fma_f32 v19, v6, v12, -v47 :: v_dual_mul_f32 v18, v6, v13
	v_dual_mul_f32 v47, v7, v15 :: v_dual_add_f32 v62, v62, v68
	v_dual_add_f32 v66, v66, v19 :: v_dual_fmac_f32 v18, v7, v12
	s_delay_alu instid0(VALU_DEP_2) | instskip(SKIP_1) | instid1(VALU_DEP_3)
	v_dual_mul_f32 v19, v6, v15 :: v_dual_fma_f32 v6, v6, v14, -v47
	v_dual_mul_f32 v47, v81, v13 :: v_dual_mul_f32 v13, v80, v13
	v_add_f32_e32 v68, v70, v18
	s_delay_alu instid0(VALU_DEP_3) | instskip(NEXT) | instid1(VALU_DEP_4)
	v_fmac_f32_e32 v19, v7, v14
	v_dual_add_f32 v4, v4, v6 :: v_dual_mul_f32 v7, v81, v15
	s_delay_alu instid0(VALU_DEP_4) | instskip(NEXT) | instid1(VALU_DEP_3)
	v_dual_fma_f32 v6, v80, v12, -v47 :: v_dual_fmac_f32 v13, v81, v12
	v_add_f32_e32 v12, v17, v19
	s_delay_alu instid0(VALU_DEP_3) | instskip(NEXT) | instid1(VALU_DEP_3)
	v_dual_mul_f32 v15, v80, v15 :: v_dual_fma_f32 v7, v80, v14, -v7
	v_dual_add_f32 v6, v16, v6 :: v_dual_add_f32 v5, v5, v13
	s_wait_dscnt 0x0
	v_mul_f32_e32 v13, v1, v75
	ds_load_2addr_b64 v[16:19], v65 offset0:224 offset1:240
	v_dual_fmac_f32 v15, v81, v14 :: v_dual_mul_f32 v14, v0, v75
	v_dual_add_f32 v7, v64, v7 :: v_dual_mul_f32 v47, v1, v77
	v_dual_fma_f32 v13, v0, v74, -v13 :: v_dual_mul_f32 v64, v0, v77
	s_delay_alu instid0(VALU_DEP_3) | instskip(NEXT) | instid1(VALU_DEP_2)
	v_dual_add_f32 v62, v62, v15 :: v_dual_fmac_f32 v14, v1, v74
	v_dual_fma_f32 v0, v0, v76, -v47 :: v_dual_add_f32 v66, v66, v13
	s_delay_alu instid0(VALU_DEP_3) | instskip(SKIP_1) | instid1(VALU_DEP_4)
	v_fmac_f32_e32 v64, v1, v76
	v_dual_mul_f32 v1, v9, v75 :: v_dual_mul_f32 v13, v8, v75
	v_add_f32_e32 v47, v68, v14
	s_delay_alu instid0(VALU_DEP_4) | instskip(NEXT) | instid1(VALU_DEP_3)
	v_dual_add_f32 v0, v4, v0 :: v_dual_mul_f32 v4, v9, v77
	v_dual_add_f32 v64, v12, v64 :: v_dual_fmac_f32 v13, v9, v74
	s_delay_alu instid0(VALU_DEP_4) | instskip(SKIP_1) | instid1(VALU_DEP_3)
	v_dual_fma_f32 v1, v8, v74, -v1 :: v_dual_mul_f32 v68, v8, v77
	s_wait_dscnt 0x0
	v_dual_fma_f32 v4, v8, v76, -v4 :: v_dual_mul_f32 v8, v3, v17
	s_delay_alu instid0(VALU_DEP_3) | instskip(NEXT) | instid1(VALU_DEP_3)
	v_add_f32_e32 v70, v5, v13
	v_dual_add_f32 v1, v6, v1 :: v_dual_fmac_f32 v68, v9, v76
	s_delay_alu instid0(VALU_DEP_3) | instskip(NEXT) | instid1(VALU_DEP_4)
	v_add_f32_e32 v9, v7, v4
	v_dual_fma_f32 v4, v2, v16, -v8 :: v_dual_mul_f32 v5, v2, v17
	s_delay_alu instid0(VALU_DEP_3) | instskip(SKIP_4) | instid1(VALU_DEP_2)
	v_dual_mul_f32 v6, v3, v19 :: v_dual_add_f32 v62, v62, v68
	ds_load_b128 v[12:15], v63 offset:64
	ds_load_2addr_b64 v[74:77], v71 offset1:16
	v_dual_mul_f32 v7, v2, v19 :: v_dual_fmac_f32 v5, v3, v16
	v_dual_add_f32 v66, v66, v4 :: v_dual_mul_f32 v4, v11, v17
	v_dual_fma_f32 v2, v2, v18, -v6 :: v_dual_fmac_f32 v7, v3, v18
	v_mul_f32_e32 v3, v10, v17
	s_delay_alu instid0(VALU_DEP_4)
	v_add_f32_e32 v47, v47, v5
	ds_load_b128 v[78:81], v63 offset:4160
	v_dual_add_f32 v17, v0, v2 :: v_dual_fma_f32 v0, v10, v16, -v4
	v_dual_mul_f32 v2, v11, v19 :: v_dual_fmac_f32 v3, v11, v16
	v_add_f32_e32 v64, v64, v7
	ds_load_b128 v[4:7], v63 offset:80
	v_dual_add_f32 v16, v1, v0 :: v_dual_fma_f32 v0, v10, v18, -v2
	v_mul_f32_e32 v1, v10, v19
	v_add_f32_e32 v19, v70, v3
	s_wait_dscnt 0x2
	v_dual_mul_f32 v2, v13, v75 :: v_dual_mul_f32 v3, v12, v75
	s_delay_alu instid0(VALU_DEP_3) | instskip(NEXT) | instid1(VALU_DEP_2)
	v_dual_mul_f32 v68, v12, v77 :: v_dual_fmac_f32 v1, v11, v18
	v_dual_add_f32 v18, v9, v0 :: v_dual_fma_f32 v0, v12, v74, -v2
	ds_load_2addr_b64 v[8:11], v71 offset0:32 offset1:48
	v_dual_fmac_f32 v3, v13, v74 :: v_dual_mul_f32 v2, v13, v77
	s_wait_dscnt 0x2
	v_dual_mul_f32 v70, v79, v75 :: v_dual_add_f32 v66, v66, v0
	v_dual_fmac_f32 v68, v13, v76 :: v_dual_mul_f32 v13, v78, v75
	s_delay_alu instid0(VALU_DEP_3) | instskip(NEXT) | instid1(VALU_DEP_3)
	v_fma_f32 v12, v12, v76, -v2
	v_fma_f32 v70, v78, v74, -v70
	v_dual_add_f32 v62, v62, v1 :: v_dual_add_f32 v47, v47, v3
	s_delay_alu instid0(VALU_DEP_4) | instskip(NEXT) | instid1(VALU_DEP_4)
	v_add_f32_e32 v64, v64, v68
	v_dual_add_f32 v12, v17, v12 :: v_dual_mul_f32 v17, v79, v77
	v_dual_fmac_f32 v13, v79, v74 :: v_dual_mul_f32 v68, v78, v77
	v_add_f32_e32 v70, v16, v70
	ds_load_b128 v[0:3], v63 offset:4176
	s_wait_dscnt 0x1
	v_dual_fma_f32 v17, v78, v76, -v17 :: v_dual_mul_f32 v16, v15, v9
	v_mul_f32_e32 v75, v14, v9
	v_add_f32_e32 v13, v19, v13
	s_delay_alu instid0(VALU_DEP_3) | instskip(NEXT) | instid1(VALU_DEP_4)
	v_dual_fmac_f32 v68, v79, v76 :: v_dual_add_f32 v74, v18, v17
	v_fma_f32 v76, v14, v8, -v16
	ds_load_2addr_b64 v[16:19], v71 offset0:64 offset1:80
	v_dual_mul_f32 v77, v15, v11 :: v_dual_add_f32 v62, v62, v68
	v_dual_fmac_f32 v75, v15, v8 :: v_dual_mul_f32 v68, v14, v11
	v_dual_add_f32 v66, v66, v76 :: v_dual_mul_f32 v76, v81, v9
	s_delay_alu instid0(VALU_DEP_3) | instskip(NEXT) | instid1(VALU_DEP_3)
	v_dual_fma_f32 v14, v14, v10, -v77 :: v_dual_mul_f32 v9, v80, v9
	v_add_f32_e32 v47, v47, v75
	s_delay_alu instid0(VALU_DEP_4) | instskip(NEXT) | instid1(VALU_DEP_3)
	v_fmac_f32_e32 v68, v15, v10
	v_add_f32_e32 v75, v12, v14
	s_delay_alu instid0(VALU_DEP_4) | instskip(NEXT) | instid1(VALU_DEP_3)
	v_dual_fma_f32 v12, v80, v8, -v76 :: v_dual_fmac_f32 v9, v81, v8
	v_dual_mul_f32 v8, v81, v11 :: v_dual_add_f32 v64, v64, v68
	s_delay_alu instid0(VALU_DEP_2) | instskip(NEXT) | instid1(VALU_DEP_2)
	v_dual_mul_f32 v11, v80, v11 :: v_dual_add_f32 v68, v70, v12
	v_dual_add_f32 v9, v13, v9 :: v_dual_fma_f32 v8, v80, v10, -v8
	s_wait_dscnt 0x0
	v_mul_f32_e32 v70, v5, v17
	ds_load_2addr_b64 v[12:15], v71 offset0:96 offset1:112
	v_dual_fmac_f32 v11, v81, v10 :: v_dual_mul_f32 v10, v4, v17
	v_dual_add_f32 v8, v74, v8 :: v_dual_mul_f32 v74, v5, v19
	v_dual_fma_f32 v70, v4, v16, -v70 :: v_dual_mul_f32 v76, v4, v19
	s_delay_alu instid0(VALU_DEP_3) | instskip(NEXT) | instid1(VALU_DEP_3)
	v_dual_fmac_f32 v10, v5, v16 :: v_dual_add_f32 v62, v62, v11
	v_fma_f32 v4, v4, v18, -v74
	s_delay_alu instid0(VALU_DEP_3) | instskip(NEXT) | instid1(VALU_DEP_4)
	v_add_f32_e32 v66, v66, v70
	v_fmac_f32_e32 v76, v5, v18
	s_delay_alu instid0(VALU_DEP_4) | instskip(NEXT) | instid1(VALU_DEP_4)
	v_dual_add_f32 v47, v47, v10 :: v_dual_mul_f32 v10, v0, v17
	v_dual_mul_f32 v5, v1, v17 :: v_dual_add_f32 v4, v75, v4
	s_delay_alu instid0(VALU_DEP_3) | instskip(NEXT) | instid1(VALU_DEP_2)
	v_dual_mul_f32 v11, v1, v19 :: v_dual_add_f32 v64, v64, v76
	v_dual_fmac_f32 v10, v1, v16 :: v_dual_fma_f32 v5, v0, v16, -v5
	s_delay_alu instid0(VALU_DEP_2) | instskip(SKIP_2) | instid1(VALU_DEP_3)
	v_dual_mul_f32 v70, v0, v19 :: v_dual_fma_f32 v0, v0, v18, -v11
	s_wait_dscnt 0x0
	v_dual_mul_f32 v11, v7, v13 :: v_dual_mul_f32 v74, v6, v13
	v_dual_add_f32 v5, v68, v5 :: v_dual_add_f32 v68, v9, v10
	s_delay_alu instid0(VALU_DEP_3) | instskip(NEXT) | instid1(VALU_DEP_3)
	v_dual_fmac_f32 v70, v1, v18 :: v_dual_add_f32 v0, v8, v0
	v_fma_f32 v1, v6, v12, -v11
	ds_load_b128 v[8:11], v63 offset:96
	ds_load_2addr_b64 v[16:19], v71 offset0:128 offset1:144
	v_dual_mul_f32 v75, v7, v15 :: v_dual_add_f32 v62, v62, v70
	v_dual_fmac_f32 v74, v7, v12 :: v_dual_mul_f32 v70, v6, v15
	v_add_f32_e32 v1, v66, v1
	s_delay_alu instid0(VALU_DEP_3) | instskip(NEXT) | instid1(VALU_DEP_3)
	v_dual_fma_f32 v6, v6, v14, -v75 :: v_dual_mul_f32 v66, v3, v13
	v_dual_mul_f32 v13, v2, v13 :: v_dual_fmac_f32 v70, v7, v14
	s_delay_alu instid0(VALU_DEP_4) | instskip(NEXT) | instid1(VALU_DEP_3)
	v_add_f32_e32 v47, v47, v74
	v_dual_add_f32 v78, v4, v6 :: v_dual_fma_f32 v4, v2, v12, -v66
	s_delay_alu instid0(VALU_DEP_3) | instskip(NEXT) | instid1(VALU_DEP_4)
	v_dual_mul_f32 v6, v3, v15 :: v_dual_add_f32 v64, v64, v70
	v_fmac_f32_e32 v13, v3, v12
	ds_load_b128 v[74:77], v63 offset:4192
	v_dual_add_f32 v66, v5, v4 :: v_dual_fma_f32 v12, v2, v14, -v6
	s_wait_dscnt 0x1
	v_dual_mul_f32 v2, v2, v15 :: v_dual_mul_f32 v15, v9, v17
	v_mul_f32_e32 v70, v8, v17
	v_add_f32_e32 v68, v68, v13
	s_delay_alu instid0(VALU_DEP_3) | instskip(NEXT) | instid1(VALU_DEP_3)
	v_dual_add_f32 v79, v0, v12 :: v_dual_fmac_f32 v2, v3, v14
	v_dual_fma_f32 v0, v8, v16, -v15 :: v_dual_fmac_f32 v70, v9, v16
	ds_load_2addr_b64 v[12:15], v71 offset0:160 offset1:176
	v_mul_f32_e32 v3, v9, v19
	ds_load_b128 v[4:7], v63 offset:112
	v_dual_mul_f32 v81, v8, v19 :: v_dual_add_f32 v47, v47, v70
	v_dual_add_f32 v62, v62, v2 :: v_dual_add_f32 v80, v1, v0
	s_delay_alu instid0(VALU_DEP_2) | instskip(SKIP_2) | instid1(VALU_DEP_2)
	v_dual_fma_f32 v8, v8, v18, -v3 :: v_dual_fmac_f32 v81, v9, v18
	s_wait_dscnt 0x2
	v_dual_mul_f32 v9, v74, v17 :: v_dual_mul_f32 v70, v75, v17
	v_dual_mul_f32 v17, v75, v19 :: v_dual_add_f32 v8, v78, v8
	s_delay_alu instid0(VALU_DEP_2) | instskip(NEXT) | instid1(VALU_DEP_3)
	v_dual_mul_f32 v78, v74, v19 :: v_dual_fmac_f32 v9, v75, v16
	v_dual_fma_f32 v70, v74, v16, -v70 :: v_dual_add_f32 v64, v64, v81
	s_delay_alu instid0(VALU_DEP_2) | instskip(NEXT) | instid1(VALU_DEP_2)
	v_dual_fma_f32 v16, v74, v18, -v17 :: v_dual_fmac_f32 v78, v75, v18
	v_dual_add_f32 v9, v68, v9 :: v_dual_add_f32 v66, v66, v70
	s_wait_dscnt 0x1
	v_dual_mul_f32 v17, v11, v13 :: v_dual_mul_f32 v70, v10, v13
	s_delay_alu instid0(VALU_DEP_3) | instskip(NEXT) | instid1(VALU_DEP_2)
	v_dual_add_f32 v68, v79, v16 :: v_dual_add_f32 v62, v62, v78
	v_dual_mul_f32 v75, v11, v15 :: v_dual_fma_f32 v74, v10, v12, -v17
	ds_load_2addr_b64 v[16:19], v71 offset0:192 offset1:208
	v_dual_fmac_f32 v70, v11, v12 :: v_dual_mul_f32 v78, v10, v15
	v_dual_fma_f32 v10, v10, v14, -v75 :: v_dual_mul_f32 v75, v77, v13
	v_mul_f32_e32 v13, v76, v13
	ds_load_b128 v[0:3], v63 offset:4208
	v_add_f32_e32 v74, v80, v74
	v_add_f32_e32 v47, v47, v70
	v_dual_fmac_f32 v78, v11, v14 :: v_dual_fmac_f32 v13, v77, v12
	v_dual_add_f32 v8, v8, v10 :: v_dual_mul_f32 v11, v77, v15
	v_dual_fma_f32 v10, v76, v12, -v75 :: v_dual_mul_f32 v70, v76, v15
	s_delay_alu instid0(VALU_DEP_3) | instskip(NEXT) | instid1(VALU_DEP_3)
	v_dual_add_f32 v64, v64, v78 :: v_dual_add_f32 v9, v9, v13
	v_fma_f32 v11, v76, v14, -v11
	s_delay_alu instid0(VALU_DEP_3)
	v_add_f32_e32 v10, v66, v10
	s_wait_dscnt 0x1
	v_dual_fmac_f32 v70, v77, v14 :: v_dual_mul_f32 v75, v4, v17
	v_mul_f32_e32 v66, v5, v17
	ds_load_2addr_b64 v[12:15], v71 offset0:224 offset1:240
	v_add_f32_e32 v11, v68, v11
	v_dual_mul_f32 v68, v5, v19 :: v_dual_mul_f32 v76, v4, v19
	v_dual_add_f32 v62, v62, v70 :: v_dual_fma_f32 v66, v4, v16, -v66
	s_delay_alu instid0(VALU_DEP_2) | instskip(NEXT) | instid1(VALU_DEP_3)
	v_dual_fmac_f32 v75, v5, v16 :: v_dual_fma_f32 v4, v4, v18, -v68
	v_fmac_f32_e32 v76, v5, v18
	s_wait_dscnt 0x1
	v_dual_mul_f32 v5, v1, v17 :: v_dual_mul_f32 v17, v0, v17
	v_mul_f32_e32 v68, v0, v19
	v_dual_add_f32 v4, v8, v4 :: v_dual_mul_f32 v8, v1, v19
	v_add_f32_e32 v64, v64, v76
	s_delay_alu instid0(VALU_DEP_4) | instskip(NEXT) | instid1(VALU_DEP_4)
	v_fma_f32 v5, v0, v16, -v5
	v_dual_fmac_f32 v17, v1, v16 :: v_dual_fmac_f32 v68, v1, v18
	s_delay_alu instid0(VALU_DEP_4)
	v_fma_f32 v0, v0, v18, -v8
	v_dual_add_f32 v66, v74, v66 :: v_dual_add_f32 v47, v47, v75
	s_wait_dscnt 0x0
	v_mul_f32_e32 v8, v7, v13
	v_add_f32_e32 v5, v10, v5
	v_dual_add_f32 v70, v9, v17 :: v_dual_add_f32 v0, v11, v0
	s_delay_alu instid0(VALU_DEP_3)
	v_dual_mul_f32 v74, v6, v13 :: v_dual_fma_f32 v1, v6, v12, -v8
	ds_load_b128 v[8:11], v63 offset:128
	ds_load_2addr_b64 v[16:19], v72 offset1:16
	v_dual_mul_f32 v75, v7, v15 :: v_dual_add_f32 v62, v62, v68
	v_dual_fmac_f32 v74, v7, v12 :: v_dual_mul_f32 v68, v6, v15
	v_add_f32_e32 v1, v66, v1
	s_delay_alu instid0(VALU_DEP_3) | instskip(NEXT) | instid1(VALU_DEP_3)
	v_dual_fma_f32 v6, v6, v14, -v75 :: v_dual_mul_f32 v66, v3, v13
	v_dual_mul_f32 v13, v2, v13 :: v_dual_fmac_f32 v68, v7, v14
	s_delay_alu instid0(VALU_DEP_4) | instskip(NEXT) | instid1(VALU_DEP_3)
	v_add_f32_e32 v47, v47, v74
	v_dual_add_f32 v78, v4, v6 :: v_dual_fma_f32 v4, v2, v12, -v66
	s_delay_alu instid0(VALU_DEP_3) | instskip(NEXT) | instid1(VALU_DEP_4)
	v_dual_mul_f32 v6, v3, v15 :: v_dual_add_f32 v64, v64, v68
	v_fmac_f32_e32 v13, v3, v12
	ds_load_b128 v[74:77], v63 offset:4224
	v_dual_add_f32 v66, v5, v4 :: v_dual_fma_f32 v12, v2, v14, -v6
	s_wait_dscnt 0x1
	v_dual_mul_f32 v2, v2, v15 :: v_dual_mul_f32 v15, v9, v17
	v_add_f32_e32 v68, v70, v13
	v_mul_f32_e32 v70, v8, v17
	s_delay_alu instid0(VALU_DEP_3) | instskip(NEXT) | instid1(VALU_DEP_4)
	v_dual_add_f32 v79, v0, v12 :: v_dual_fmac_f32 v2, v3, v14
	v_fma_f32 v0, v8, v16, -v15
	ds_load_2addr_b64 v[12:15], v72 offset0:32 offset1:48
	v_mul_f32_e32 v3, v9, v19
	ds_load_b128 v[4:7], v63 offset:144
	v_dual_fmac_f32 v70, v9, v16 :: v_dual_mul_f32 v81, v8, v19
	v_dual_add_f32 v62, v62, v2 :: v_dual_add_f32 v80, v1, v0
	v_fma_f32 v8, v8, v18, -v3
	s_delay_alu instid0(VALU_DEP_3) | instskip(SKIP_2) | instid1(VALU_DEP_3)
	v_add_f32_e32 v47, v47, v70
	s_wait_dscnt 0x2
	v_dual_fmac_f32 v81, v9, v18 :: v_dual_mul_f32 v9, v74, v17
	v_dual_mul_f32 v70, v75, v17 :: v_dual_add_f32 v8, v78, v8
	v_dual_mul_f32 v17, v75, v19 :: v_dual_mul_f32 v78, v74, v19
	s_delay_alu instid0(VALU_DEP_2) | instskip(NEXT) | instid1(VALU_DEP_2)
	v_dual_fmac_f32 v9, v75, v16 :: v_dual_fma_f32 v70, v74, v16, -v70
	v_dual_add_f32 v64, v64, v81 :: v_dual_fma_f32 v16, v74, v18, -v17
	s_delay_alu instid0(VALU_DEP_3) | instskip(SKIP_1) | instid1(VALU_DEP_3)
	v_fmac_f32_e32 v78, v75, v18
	s_wait_dscnt 0x1
	v_dual_mul_f32 v17, v11, v13 :: v_dual_add_f32 v66, v66, v70
	v_add_f32_e32 v9, v68, v9
	v_dual_mul_f32 v70, v10, v13 :: v_dual_add_f32 v68, v79, v16
	v_add_f32_e32 v62, v62, v78
	s_delay_alu instid0(VALU_DEP_4)
	v_dual_fma_f32 v74, v10, v12, -v17 :: v_dual_mul_f32 v75, v11, v15
	ds_load_2addr_b64 v[16:19], v72 offset0:64 offset1:80
	v_dual_fmac_f32 v70, v11, v12 :: v_dual_mul_f32 v78, v10, v15
	ds_load_b128 v[0:3], v63 offset:4240
	v_dual_fma_f32 v10, v10, v14, -v75 :: v_dual_mul_f32 v75, v77, v13
	v_mul_f32_e32 v13, v76, v13
	v_add_f32_e32 v74, v80, v74
	v_add_f32_e32 v47, v47, v70
	v_fmac_f32_e32 v78, v11, v14
	v_dual_add_f32 v8, v8, v10 :: v_dual_mul_f32 v11, v77, v15
	v_dual_fma_f32 v10, v76, v12, -v75 :: v_dual_fmac_f32 v13, v77, v12
	v_mul_f32_e32 v70, v76, v15
	s_delay_alu instid0(VALU_DEP_4) | instskip(NEXT) | instid1(VALU_DEP_4)
	v_add_f32_e32 v64, v64, v78
	v_fma_f32 v11, v76, v14, -v11
	s_delay_alu instid0(VALU_DEP_4)
	v_dual_add_f32 v10, v66, v10 :: v_dual_add_f32 v9, v9, v13
	s_wait_dscnt 0x1
	v_dual_fmac_f32 v70, v77, v14 :: v_dual_mul_f32 v75, v4, v17
	v_mul_f32_e32 v66, v5, v17
	ds_load_2addr_b64 v[12:15], v72 offset0:96 offset1:112
	v_add_f32_e32 v11, v68, v11
	v_dual_mul_f32 v68, v5, v19 :: v_dual_mul_f32 v76, v4, v19
	v_dual_add_f32 v62, v62, v70 :: v_dual_fma_f32 v66, v4, v16, -v66
	s_delay_alu instid0(VALU_DEP_2) | instskip(NEXT) | instid1(VALU_DEP_3)
	v_dual_fmac_f32 v75, v5, v16 :: v_dual_fma_f32 v4, v4, v18, -v68
	v_fmac_f32_e32 v76, v5, v18
	s_wait_dscnt 0x1
	v_dual_mul_f32 v5, v1, v17 :: v_dual_mul_f32 v17, v0, v17
	v_mul_f32_e32 v68, v0, v19
	v_dual_add_f32 v4, v8, v4 :: v_dual_mul_f32 v8, v1, v19
	v_add_f32_e32 v64, v64, v76
	s_delay_alu instid0(VALU_DEP_4) | instskip(NEXT) | instid1(VALU_DEP_4)
	v_fma_f32 v5, v0, v16, -v5
	v_dual_fmac_f32 v17, v1, v16 :: v_dual_fmac_f32 v68, v1, v18
	s_delay_alu instid0(VALU_DEP_4)
	v_fma_f32 v0, v0, v18, -v8
	v_dual_add_f32 v66, v74, v66 :: v_dual_add_f32 v47, v47, v75
	s_wait_dscnt 0x0
	v_mul_f32_e32 v8, v7, v13
	v_add_f32_e32 v5, v10, v5
	v_dual_add_f32 v70, v9, v17 :: v_dual_add_f32 v0, v11, v0
	s_delay_alu instid0(VALU_DEP_3)
	v_dual_mul_f32 v74, v6, v13 :: v_dual_fma_f32 v1, v6, v12, -v8
	ds_load_b128 v[8:11], v63 offset:160
	ds_load_2addr_b64 v[16:19], v72 offset0:128 offset1:144
	v_dual_mul_f32 v75, v7, v15 :: v_dual_add_f32 v62, v62, v68
	v_dual_fmac_f32 v74, v7, v12 :: v_dual_mul_f32 v68, v6, v15
	v_add_f32_e32 v1, v66, v1
	s_delay_alu instid0(VALU_DEP_3) | instskip(NEXT) | instid1(VALU_DEP_3)
	v_dual_fma_f32 v6, v6, v14, -v75 :: v_dual_mul_f32 v66, v3, v13
	v_dual_mul_f32 v13, v2, v13 :: v_dual_fmac_f32 v68, v7, v14
	s_delay_alu instid0(VALU_DEP_4) | instskip(NEXT) | instid1(VALU_DEP_3)
	v_add_f32_e32 v47, v47, v74
	v_dual_add_f32 v78, v4, v6 :: v_dual_fma_f32 v4, v2, v12, -v66
	s_delay_alu instid0(VALU_DEP_3) | instskip(NEXT) | instid1(VALU_DEP_4)
	v_dual_mul_f32 v6, v3, v15 :: v_dual_add_f32 v64, v64, v68
	v_fmac_f32_e32 v13, v3, v12
	ds_load_b128 v[74:77], v63 offset:4256
	v_dual_add_f32 v66, v5, v4 :: v_dual_fma_f32 v12, v2, v14, -v6
	s_wait_dscnt 0x1
	v_dual_mul_f32 v2, v2, v15 :: v_dual_mul_f32 v15, v9, v17
	v_add_f32_e32 v68, v70, v13
	v_mul_f32_e32 v70, v8, v17
	s_delay_alu instid0(VALU_DEP_3) | instskip(NEXT) | instid1(VALU_DEP_4)
	v_dual_add_f32 v79, v0, v12 :: v_dual_fmac_f32 v2, v3, v14
	v_fma_f32 v0, v8, v16, -v15
	ds_load_2addr_b64 v[12:15], v72 offset0:160 offset1:176
	v_mul_f32_e32 v3, v9, v19
	ds_load_b128 v[4:7], v63 offset:176
	v_dual_fmac_f32 v70, v9, v16 :: v_dual_mul_f32 v81, v8, v19
	v_dual_add_f32 v62, v62, v2 :: v_dual_add_f32 v80, v1, v0
	v_fma_f32 v8, v8, v18, -v3
	s_delay_alu instid0(VALU_DEP_3) | instskip(SKIP_2) | instid1(VALU_DEP_3)
	v_add_f32_e32 v47, v47, v70
	s_wait_dscnt 0x2
	v_dual_fmac_f32 v81, v9, v18 :: v_dual_mul_f32 v9, v74, v17
	v_dual_mul_f32 v70, v75, v17 :: v_dual_add_f32 v8, v78, v8
	v_dual_mul_f32 v17, v75, v19 :: v_dual_mul_f32 v78, v74, v19
	s_delay_alu instid0(VALU_DEP_2) | instskip(NEXT) | instid1(VALU_DEP_2)
	v_dual_fmac_f32 v9, v75, v16 :: v_dual_fma_f32 v70, v74, v16, -v70
	v_dual_add_f32 v64, v64, v81 :: v_dual_fma_f32 v16, v74, v18, -v17
	s_delay_alu instid0(VALU_DEP_3) | instskip(SKIP_1) | instid1(VALU_DEP_3)
	v_fmac_f32_e32 v78, v75, v18
	s_wait_dscnt 0x1
	v_dual_mul_f32 v17, v11, v13 :: v_dual_add_f32 v66, v66, v70
	v_add_f32_e32 v9, v68, v9
	v_dual_mul_f32 v70, v10, v13 :: v_dual_add_f32 v68, v79, v16
	v_add_f32_e32 v62, v62, v78
	s_delay_alu instid0(VALU_DEP_4)
	v_dual_fma_f32 v74, v10, v12, -v17 :: v_dual_mul_f32 v75, v11, v15
	ds_load_2addr_b64 v[16:19], v72 offset0:192 offset1:208
	v_dual_fmac_f32 v70, v11, v12 :: v_dual_mul_f32 v78, v10, v15
	ds_load_b128 v[0:3], v63 offset:4272
	v_dual_fma_f32 v10, v10, v14, -v75 :: v_dual_mul_f32 v75, v77, v13
	v_mul_f32_e32 v13, v76, v13
	v_add_f32_e32 v74, v80, v74
	v_add_f32_e32 v47, v47, v70
	v_fmac_f32_e32 v78, v11, v14
	v_dual_add_f32 v8, v8, v10 :: v_dual_mul_f32 v11, v77, v15
	v_dual_fma_f32 v10, v76, v12, -v75 :: v_dual_fmac_f32 v13, v77, v12
	v_mul_f32_e32 v70, v76, v15
	s_delay_alu instid0(VALU_DEP_4) | instskip(NEXT) | instid1(VALU_DEP_4)
	v_add_f32_e32 v64, v64, v78
	v_fma_f32 v11, v76, v14, -v11
	s_delay_alu instid0(VALU_DEP_4)
	v_dual_add_f32 v10, v66, v10 :: v_dual_add_f32 v9, v9, v13
	s_wait_dscnt 0x1
	v_dual_fmac_f32 v70, v77, v14 :: v_dual_mul_f32 v75, v4, v17
	v_mul_f32_e32 v66, v5, v17
	ds_load_2addr_b64 v[12:15], v72 offset0:224 offset1:240
	v_add_f32_e32 v11, v68, v11
	v_dual_mul_f32 v68, v5, v19 :: v_dual_mul_f32 v76, v4, v19
	v_dual_add_f32 v62, v62, v70 :: v_dual_fma_f32 v66, v4, v16, -v66
	s_delay_alu instid0(VALU_DEP_2) | instskip(NEXT) | instid1(VALU_DEP_3)
	v_dual_fmac_f32 v75, v5, v16 :: v_dual_fma_f32 v4, v4, v18, -v68
	v_fmac_f32_e32 v76, v5, v18
	s_wait_dscnt 0x1
	v_dual_mul_f32 v5, v1, v17 :: v_dual_mul_f32 v17, v0, v17
	v_mul_f32_e32 v68, v0, v19
	v_dual_add_f32 v4, v8, v4 :: v_dual_mul_f32 v8, v1, v19
	v_add_f32_e32 v64, v64, v76
	s_delay_alu instid0(VALU_DEP_4) | instskip(NEXT) | instid1(VALU_DEP_4)
	v_fma_f32 v5, v0, v16, -v5
	v_dual_fmac_f32 v17, v1, v16 :: v_dual_fmac_f32 v68, v1, v18
	s_delay_alu instid0(VALU_DEP_4)
	v_fma_f32 v0, v0, v18, -v8
	v_dual_add_f32 v66, v74, v66 :: v_dual_add_f32 v47, v47, v75
	s_wait_dscnt 0x0
	v_mul_f32_e32 v8, v7, v13
	v_add_f32_e32 v5, v10, v5
	v_dual_add_f32 v70, v9, v17 :: v_dual_add_f32 v0, v11, v0
	s_delay_alu instid0(VALU_DEP_3)
	v_dual_mul_f32 v74, v6, v13 :: v_dual_fma_f32 v1, v6, v12, -v8
	ds_load_b128 v[8:11], v63 offset:192
	ds_load_2addr_b64 v[16:19], v73 offset1:16
	v_dual_mul_f32 v75, v7, v15 :: v_dual_add_f32 v62, v62, v68
	v_dual_fmac_f32 v74, v7, v12 :: v_dual_mul_f32 v68, v6, v15
	v_add_f32_e32 v1, v66, v1
	s_delay_alu instid0(VALU_DEP_3) | instskip(NEXT) | instid1(VALU_DEP_3)
	v_dual_fma_f32 v6, v6, v14, -v75 :: v_dual_mul_f32 v66, v3, v13
	v_dual_mul_f32 v13, v2, v13 :: v_dual_fmac_f32 v68, v7, v14
	s_delay_alu instid0(VALU_DEP_4) | instskip(NEXT) | instid1(VALU_DEP_3)
	v_add_f32_e32 v47, v47, v74
	v_dual_add_f32 v78, v4, v6 :: v_dual_fma_f32 v4, v2, v12, -v66
	s_delay_alu instid0(VALU_DEP_3) | instskip(NEXT) | instid1(VALU_DEP_4)
	v_dual_mul_f32 v6, v3, v15 :: v_dual_add_f32 v64, v64, v68
	v_fmac_f32_e32 v13, v3, v12
	ds_load_b128 v[74:77], v63 offset:4288
	v_dual_add_f32 v66, v5, v4 :: v_dual_fma_f32 v12, v2, v14, -v6
	s_wait_dscnt 0x1
	v_dual_mul_f32 v2, v2, v15 :: v_dual_mul_f32 v15, v9, v17
	v_add_f32_e32 v68, v70, v13
	v_mul_f32_e32 v70, v8, v17
	s_delay_alu instid0(VALU_DEP_3) | instskip(NEXT) | instid1(VALU_DEP_4)
	v_dual_add_f32 v79, v0, v12 :: v_dual_fmac_f32 v2, v3, v14
	v_fma_f32 v0, v8, v16, -v15
	ds_load_2addr_b64 v[12:15], v73 offset0:32 offset1:48
	v_mul_f32_e32 v3, v9, v19
	ds_load_b128 v[4:7], v63 offset:208
	v_dual_fmac_f32 v70, v9, v16 :: v_dual_mul_f32 v81, v8, v19
	v_dual_add_f32 v62, v62, v2 :: v_dual_add_f32 v80, v1, v0
	v_fma_f32 v8, v8, v18, -v3
	s_delay_alu instid0(VALU_DEP_3) | instskip(SKIP_2) | instid1(VALU_DEP_3)
	v_add_f32_e32 v47, v47, v70
	s_wait_dscnt 0x2
	v_dual_fmac_f32 v81, v9, v18 :: v_dual_mul_f32 v9, v74, v17
	v_dual_mul_f32 v70, v75, v17 :: v_dual_add_f32 v8, v78, v8
	v_dual_mul_f32 v17, v75, v19 :: v_dual_mul_f32 v78, v74, v19
	s_delay_alu instid0(VALU_DEP_2) | instskip(NEXT) | instid1(VALU_DEP_2)
	v_dual_fmac_f32 v9, v75, v16 :: v_dual_fma_f32 v70, v74, v16, -v70
	v_dual_add_f32 v64, v64, v81 :: v_dual_fma_f32 v16, v74, v18, -v17
	s_delay_alu instid0(VALU_DEP_3) | instskip(SKIP_1) | instid1(VALU_DEP_3)
	v_fmac_f32_e32 v78, v75, v18
	s_wait_dscnt 0x1
	v_dual_mul_f32 v17, v11, v13 :: v_dual_add_f32 v66, v66, v70
	v_add_f32_e32 v9, v68, v9
	v_dual_mul_f32 v70, v10, v13 :: v_dual_add_f32 v68, v79, v16
	v_add_f32_e32 v62, v62, v78
	s_delay_alu instid0(VALU_DEP_4)
	v_dual_fma_f32 v74, v10, v12, -v17 :: v_dual_mul_f32 v75, v11, v15
	ds_load_2addr_b64 v[16:19], v73 offset0:64 offset1:80
	v_dual_fmac_f32 v70, v11, v12 :: v_dual_mul_f32 v78, v10, v15
	ds_load_b128 v[0:3], v63 offset:4304
	v_dual_fma_f32 v10, v10, v14, -v75 :: v_dual_mul_f32 v75, v77, v13
	v_mul_f32_e32 v13, v76, v13
	v_add_f32_e32 v74, v80, v74
	v_add_f32_e32 v47, v47, v70
	v_fmac_f32_e32 v78, v11, v14
	v_dual_add_f32 v8, v8, v10 :: v_dual_mul_f32 v11, v77, v15
	v_dual_fma_f32 v10, v76, v12, -v75 :: v_dual_fmac_f32 v13, v77, v12
	v_mul_f32_e32 v70, v76, v15
	s_delay_alu instid0(VALU_DEP_4) | instskip(NEXT) | instid1(VALU_DEP_4)
	v_add_f32_e32 v64, v64, v78
	v_fma_f32 v11, v76, v14, -v11
	s_delay_alu instid0(VALU_DEP_4)
	v_dual_add_f32 v10, v66, v10 :: v_dual_add_f32 v9, v9, v13
	s_wait_dscnt 0x1
	v_dual_fmac_f32 v70, v77, v14 :: v_dual_mul_f32 v75, v4, v17
	v_mul_f32_e32 v66, v5, v17
	ds_load_2addr_b64 v[12:15], v73 offset0:96 offset1:112
	v_add_f32_e32 v11, v68, v11
	v_dual_mul_f32 v68, v5, v19 :: v_dual_mul_f32 v76, v4, v19
	v_dual_add_f32 v62, v62, v70 :: v_dual_fma_f32 v66, v4, v16, -v66
	s_delay_alu instid0(VALU_DEP_2) | instskip(NEXT) | instid1(VALU_DEP_3)
	v_dual_fmac_f32 v75, v5, v16 :: v_dual_fma_f32 v4, v4, v18, -v68
	v_fmac_f32_e32 v76, v5, v18
	s_wait_dscnt 0x1
	v_dual_mul_f32 v5, v1, v17 :: v_dual_mul_f32 v17, v0, v17
	v_mul_f32_e32 v68, v0, v19
	v_dual_add_f32 v4, v8, v4 :: v_dual_mul_f32 v8, v1, v19
	v_add_f32_e32 v64, v64, v76
	s_delay_alu instid0(VALU_DEP_4) | instskip(NEXT) | instid1(VALU_DEP_4)
	v_fma_f32 v5, v0, v16, -v5
	v_dual_fmac_f32 v17, v1, v16 :: v_dual_fmac_f32 v68, v1, v18
	s_delay_alu instid0(VALU_DEP_4)
	v_fma_f32 v0, v0, v18, -v8
	v_dual_add_f32 v66, v74, v66 :: v_dual_add_f32 v47, v47, v75
	s_wait_dscnt 0x0
	v_mul_f32_e32 v8, v7, v13
	v_add_f32_e32 v5, v10, v5
	v_dual_add_f32 v70, v9, v17 :: v_dual_add_f32 v0, v11, v0
	s_delay_alu instid0(VALU_DEP_3)
	v_dual_mul_f32 v74, v6, v13 :: v_dual_fma_f32 v1, v6, v12, -v8
	ds_load_b128 v[8:11], v63 offset:224
	ds_load_2addr_b64 v[16:19], v73 offset0:128 offset1:144
	v_dual_mul_f32 v75, v7, v15 :: v_dual_add_f32 v62, v62, v68
	v_dual_mul_f32 v68, v6, v15 :: v_dual_fmac_f32 v74, v7, v12
	v_add_f32_e32 v66, v66, v1
	s_delay_alu instid0(VALU_DEP_3) | instskip(NEXT) | instid1(VALU_DEP_3)
	v_dual_fma_f32 v6, v6, v14, -v75 :: v_dual_mul_f32 v1, v3, v13
	v_fmac_f32_e32 v68, v7, v14
	s_delay_alu instid0(VALU_DEP_4) | instskip(NEXT) | instid1(VALU_DEP_3)
	v_dual_add_f32 v47, v47, v74 :: v_dual_mul_f32 v13, v2, v13
	v_dual_add_f32 v78, v4, v6 :: v_dual_fma_f32 v1, v2, v12, -v1
	s_delay_alu instid0(VALU_DEP_3)
	v_dual_add_f32 v64, v64, v68 :: v_dual_mul_f32 v4, v3, v15
	ds_load_b128 v[74:77], v63 offset:4320
	v_dual_fmac_f32 v13, v3, v12 :: v_dual_add_f32 v68, v5, v1
	v_dual_mul_f32 v12, v2, v15 :: v_dual_fma_f32 v1, v2, v14, -v4
	s_wait_dscnt 0x1
	v_mul_f32_e32 v2, v9, v17
	ds_load_b128 v[4:7], v63 offset:240
	v_dual_fmac_f32 v12, v3, v14 :: v_dual_add_f32 v70, v70, v13
	v_fma_f32 v13, v8, v16, -v2
	v_dual_add_f32 v79, v0, v1 :: v_dual_mul_f32 v14, v9, v19
	ds_load_2addr_b64 v[0:3], v73 offset0:160 offset1:176
	v_dual_mul_f32 v80, v8, v17 :: v_dual_add_f32 v62, v62, v12
	v_dual_mul_f32 v81, v8, v19 :: v_dual_fma_f32 v8, v8, v18, -v14
	s_delay_alu instid0(VALU_DEP_2) | instskip(SKIP_1) | instid1(VALU_DEP_2)
	v_dual_add_f32 v66, v66, v13 :: v_dual_fmac_f32 v80, v9, v16
	s_wait_dscnt 0x2
	v_dual_mul_f32 v82, v75, v17 :: v_dual_fmac_f32 v81, v9, v18
	v_mul_f32_e32 v9, v74, v17
	v_dual_add_f32 v8, v78, v8 :: v_dual_mul_f32 v78, v75, v19
	v_add_f32_e32 v47, v47, v80
	s_delay_alu instid0(VALU_DEP_4) | instskip(NEXT) | instid1(VALU_DEP_4)
	v_dual_fma_f32 v17, v74, v16, -v82 :: v_dual_add_f32 v64, v64, v81
	v_dual_fmac_f32 v9, v75, v16 :: v_dual_mul_f32 v80, v74, v19
	s_delay_alu instid0(VALU_DEP_2)
	v_dual_fma_f32 v16, v74, v18, -v78 :: v_dual_add_f32 v68, v68, v17
	ds_load_b128 v[12:15], v63 offset:4336
	s_wait_dscnt 0x1
	v_mul_f32_e32 v17, v11, v1
	v_dual_add_f32 v9, v70, v9 :: v_dual_fmac_f32 v80, v75, v18
	v_dual_mul_f32 v70, v10, v1 :: v_dual_mul_f32 v78, v11, v3
	s_delay_alu instid0(VALU_DEP_3) | instskip(SKIP_4) | instid1(VALU_DEP_2)
	v_fma_f32 v75, v10, v0, -v17
	v_add_f32_e32 v74, v79, v16
	ds_load_2addr_b64 v[16:19], v73 offset0:192 offset1:208
	v_dual_fmac_f32 v70, v11, v0 :: v_dual_add_f32 v66, v66, v75
	v_dual_mul_f32 v75, v10, v3 :: v_dual_fma_f32 v10, v10, v2, -v78
	v_dual_add_f32 v62, v62, v80 :: v_dual_add_f32 v47, v47, v70
	v_dual_mul_f32 v70, v77, v1 :: v_dual_mul_f32 v1, v76, v1
	s_delay_alu instid0(VALU_DEP_3) | instskip(NEXT) | instid1(VALU_DEP_4)
	v_fmac_f32_e32 v75, v11, v2
	v_dual_add_f32 v78, v8, v10 :: v_dual_mul_f32 v8, v77, v3
	s_delay_alu instid0(VALU_DEP_3) | instskip(SKIP_1) | instid1(VALU_DEP_4)
	v_dual_fma_f32 v10, v76, v0, -v70 :: v_dual_fmac_f32 v1, v77, v0
	v_mul_f32_e32 v3, v76, v3
	v_add_f32_e32 v0, v64, v75
	s_delay_alu instid0(VALU_DEP_4) | instskip(NEXT) | instid1(VALU_DEP_4)
	v_fma_f32 v8, v76, v2, -v8
	v_dual_add_f32 v64, v68, v10 :: v_dual_add_f32 v1, v9, v1
	s_wait_dscnt 0x0
	v_mul_f32_e32 v68, v5, v17
	s_delay_alu instid0(VALU_DEP_3)
	v_dual_fmac_f32 v3, v77, v2 :: v_dual_add_f32 v2, v74, v8
	v_mul_f32_e32 v70, v4, v17
	ds_load_2addr_b64 v[8:11], v73 offset0:224 offset1:240
	v_dual_fma_f32 v68, v4, v16, -v68 :: v_dual_add_f32 v3, v62, v3
	v_dual_mul_f32 v62, v5, v19 :: v_dual_mul_f32 v74, v4, v19
	v_fmac_f32_e32 v70, v5, v16
	s_delay_alu instid0(VALU_DEP_3) | instskip(SKIP_1) | instid1(VALU_DEP_3)
	v_dual_add_f32 v66, v66, v68 :: v_dual_mul_f32 v68, v13, v17
	s_wait_dscnt 0x0
	v_fmac_f32_e32 v74, v5, v18
	s_delay_alu instid0(VALU_DEP_3) | instskip(SKIP_2) | instid1(VALU_DEP_4)
	v_dual_add_f32 v47, v47, v70 :: v_dual_mul_f32 v5, v12, v17
	v_fma_f32 v4, v4, v18, -v62
	v_fma_f32 v17, v12, v16, -v68
	v_add_f32_e32 v68, v0, v74
	s_barrier_signal -1
	v_fmac_f32_e32 v5, v13, v16
	v_dual_add_f32 v62, v78, v4 :: v_dual_mul_f32 v4, v13, v19
	v_mul_f32_e32 v0, v12, v19
	s_barrier_wait -1
	s_delay_alu instid0(VALU_DEP_2) | instskip(NEXT) | instid1(VALU_DEP_2)
	v_fma_f32 v4, v12, v18, -v4
	v_dual_add_f32 v16, v64, v17 :: v_dual_fmac_f32 v0, v13, v18
	v_dual_mul_f32 v12, v7, v9 :: v_dual_mul_f32 v17, v6, v9
	s_delay_alu instid0(VALU_DEP_3) | instskip(NEXT) | instid1(VALU_DEP_3)
	v_dual_add_f32 v1, v1, v5 :: v_dual_add_f32 v5, v2, v4
	v_dual_mul_f32 v13, v6, v11 :: v_dual_add_f32 v3, v3, v0
	s_delay_alu instid0(VALU_DEP_3) | instskip(NEXT) | instid1(VALU_DEP_2)
	v_dual_fma_f32 v2, v6, v8, -v12 :: v_dual_fmac_f32 v17, v7, v8
	v_dual_mul_f32 v12, v7, v11 :: v_dual_fmac_f32 v13, v7, v10
	v_mul_f32_e32 v7, v14, v9
	s_delay_alu instid0(VALU_DEP_3) | instskip(NEXT) | instid1(VALU_DEP_3)
	v_dual_add_f32 v2, v66, v2 :: v_dual_add_f32 v4, v47, v17
	v_dual_fma_f32 v0, v6, v10, -v12 :: v_dual_mul_f32 v6, v15, v9
	v_dual_mul_f32 v9, v15, v11 :: v_dual_mul_f32 v11, v14, v11
	s_delay_alu instid0(VALU_DEP_4) | instskip(NEXT) | instid1(VALU_DEP_3)
	v_fmac_f32_e32 v7, v15, v8
	v_add_f32_e32 v0, v62, v0
	s_delay_alu instid0(VALU_DEP_3) | instskip(NEXT) | instid1(VALU_DEP_4)
	v_dual_fma_f32 v6, v14, v8, -v6 :: v_dual_fma_f32 v8, v14, v10, -v9
	v_dual_add_f32 v70, v68, v13 :: v_dual_fmac_f32 v11, v15, v10
	s_delay_alu instid0(VALU_DEP_2) | instskip(NEXT) | instid1(VALU_DEP_2)
	v_dual_add_f32 v68, v1, v7 :: v_dual_add_f32 v66, v16, v6
	v_dual_add_f32 v64, v5, v8 :: v_dual_add_f32 v62, v3, v11
	s_cbranch_scc1 .LBB86_55
.LBB86_11:                              ;   Parent Loop BB86_4 Depth=1
                                        ;     Parent Loop BB86_8 Depth=2
                                        ; =>    This Inner Loop Header: Depth=3
	v_add_nc_u64_e32 v[6:7], s[48:49], v[20:21]
	v_cmp_eq_u64_e64 s7, s[48:49], v[56:57]
	v_add_nc_u64_e32 v[8:9], v[50:51], v[24:25]
	s_delay_alu instid0(VALU_DEP_3) | instskip(SKIP_3) | instid1(SALU_CYCLE_1)
	v_cmp_gt_i64_e64 s5, v[6:7], v[48:49]
	v_cmp_le_i64_e64 s6, s[40:41], v[6:7]
	s_and_b32 s58, s52, s7
	s_or_b32 s7, vcc_lo, s5
	s_or_b32 s7, s7, s58
	s_delay_alu instid0(SALU_CYCLE_1) | instskip(NEXT) | instid1(SALU_CYCLE_1)
	s_nor_b32 s7, s6, s7
	s_and_saveexec_b32 s8, s7
	s_delay_alu instid0(SALU_CYCLE_1)
	s_xor_b32 s7, exec_lo, s8
	s_cbranch_execz .LBB86_13
; %bb.12:                               ;   in Loop: Header=BB86_11 Depth=3
	global_load_b64 v[10:11], v[8:9], off
	s_wait_loadcnt 0x0
	ds_store_b64 v67, v[10:11]
.LBB86_13:                              ;   in Loop: Header=BB86_11 Depth=3
	s_wait_xcnt 0x0
	s_or_saveexec_b32 s7, s7
	s_xor_b32 s57, s58, -1
	s_xor_b32 exec_lo, exec_lo, s7
	s_cbranch_execz .LBB86_19
; %bb.14:                               ;   in Loop: Header=BB86_11 Depth=3
	s_and_saveexec_b32 s8, s57
	s_delay_alu instid0(SALU_CYCLE_1)
	s_xor_b32 s8, exec_lo, s8
; %bb.15:                               ;   in Loop: Header=BB86_11 Depth=3
	ds_store_b64 v67, v[36:37]
; %bb.16:                               ;   in Loop: Header=BB86_11 Depth=3
	s_and_not1_saveexec_b32 s8, s8
; %bb.17:                               ;   in Loop: Header=BB86_11 Depth=3
	ds_store_b64 v67, v[38:39]
; %bb.18:                               ;   in Loop: Header=BB86_11 Depth=3
	s_or_b32 exec_lo, exec_lo, s8
.LBB86_19:                              ;   in Loop: Header=BB86_11 Depth=3
	s_delay_alu instid0(SALU_CYCLE_1) | instskip(SKIP_2) | instid1(VALU_DEP_2)
	s_or_b32 exec_lo, exec_lo, s7
	v_add_nc_u64_e32 v[10:11], 16, v[6:7]
	v_cmp_eq_u64_e64 s8, s[48:49], v[60:61]
	v_cmp_gt_i64_e64 s9, v[10:11], v[48:49]
	v_cmp_le_i64_e64 s7, s[40:41], v[10:11]
	s_and_b32 s59, s52, s8
	s_or_b32 s8, vcc_lo, s9
	s_delay_alu instid0(SALU_CYCLE_1) | instskip(NEXT) | instid1(SALU_CYCLE_1)
	s_or_b32 s8, s8, s59
	s_nor_b32 s8, s7, s8
	s_delay_alu instid0(SALU_CYCLE_1) | instskip(NEXT) | instid1(SALU_CYCLE_1)
	s_and_saveexec_b32 s9, s8
	s_xor_b32 s8, exec_lo, s9
	s_cbranch_execz .LBB86_21
; %bb.20:                               ;   in Loop: Header=BB86_11 Depth=3
	global_load_b64 v[8:9], v[8:9], off offset:128
	s_wait_loadcnt 0x0
	ds_store_b64 v67, v[8:9] offset:128
.LBB86_21:                              ;   in Loop: Header=BB86_11 Depth=3
	s_wait_xcnt 0x0
	s_and_not1_saveexec_b32 s8, s8
	s_cbranch_execz .LBB86_27
; %bb.22:                               ;   in Loop: Header=BB86_11 Depth=3
	s_xor_b32 s9, s59, -1
	s_delay_alu instid0(SALU_CYCLE_1) | instskip(NEXT) | instid1(SALU_CYCLE_1)
	s_and_saveexec_b32 s59, s9
	s_xor_b32 s9, exec_lo, s59
; %bb.23:                               ;   in Loop: Header=BB86_11 Depth=3
	ds_store_b64 v67, v[36:37] offset:128
; %bb.24:                               ;   in Loop: Header=BB86_11 Depth=3
	s_and_not1_saveexec_b32 s9, s9
; %bb.25:                               ;   in Loop: Header=BB86_11 Depth=3
	ds_store_b64 v67, v[38:39] offset:128
; %bb.26:                               ;   in Loop: Header=BB86_11 Depth=3
	s_or_b32 exec_lo, exec_lo, s9
.LBB86_27:                              ;   in Loop: Header=BB86_11 Depth=3
	s_delay_alu instid0(SALU_CYCLE_1) | instskip(SKIP_3) | instid1(VALU_DEP_3)
	s_or_b32 exec_lo, exec_lo, s8
	v_add_nc_u64_e32 v[8:9], 16, v[56:57]
	v_cmp_gt_i64_e64 s9, v[6:7], v[54:55]
	v_add_nc_u64_e32 v[6:7], v[52:53], v[24:25]
	v_cmp_eq_u64_e64 s8, s[48:49], v[8:9]
	s_or_b32 s9, s4, s9
	s_and_b32 s8, s52, s8
	s_delay_alu instid0(SALU_CYCLE_1) | instskip(NEXT) | instid1(SALU_CYCLE_1)
	s_or_b32 s9, s9, s8
	s_nor_b32 s6, s6, s9
	s_delay_alu instid0(SALU_CYCLE_1) | instskip(NEXT) | instid1(SALU_CYCLE_1)
	s_and_saveexec_b32 s9, s6
	s_xor_b32 s6, exec_lo, s9
	s_cbranch_execz .LBB86_29
; %bb.28:                               ;   in Loop: Header=BB86_11 Depth=3
	global_load_b64 v[8:9], v[6:7], off
	s_wait_loadcnt 0x0
	ds_store_b64 v67, v[8:9] offset:4096
.LBB86_29:                              ;   in Loop: Header=BB86_11 Depth=3
	s_wait_xcnt 0x0
	s_and_not1_saveexec_b32 s6, s6
	s_cbranch_execz .LBB86_35
; %bb.30:                               ;   in Loop: Header=BB86_11 Depth=3
	s_xor_b32 s8, s8, -1
	s_delay_alu instid0(SALU_CYCLE_1) | instskip(NEXT) | instid1(SALU_CYCLE_1)
	s_and_saveexec_b32 s9, s8
	s_xor_b32 s8, exec_lo, s9
; %bb.31:                               ;   in Loop: Header=BB86_11 Depth=3
	ds_store_b64 v67, v[36:37] offset:4096
; %bb.32:                               ;   in Loop: Header=BB86_11 Depth=3
	s_and_not1_saveexec_b32 s8, s8
; %bb.33:                               ;   in Loop: Header=BB86_11 Depth=3
	ds_store_b64 v67, v[38:39] offset:4096
; %bb.34:                               ;   in Loop: Header=BB86_11 Depth=3
	s_or_b32 exec_lo, exec_lo, s8
.LBB86_35:                              ;   in Loop: Header=BB86_11 Depth=3
	s_delay_alu instid0(SALU_CYCLE_1) | instskip(SKIP_1) | instid1(SALU_CYCLE_1)
	s_or_b32 exec_lo, exec_lo, s6
	s_or_b32 s5, s4, s5
	s_or_b32 s5, s5, s58
	s_delay_alu instid0(SALU_CYCLE_1) | instskip(NEXT) | instid1(SALU_CYCLE_1)
	s_nor_b32 s5, s7, s5
	s_and_saveexec_b32 s6, s5
	s_delay_alu instid0(SALU_CYCLE_1)
	s_xor_b32 s5, exec_lo, s6
	s_cbranch_execz .LBB86_37
; %bb.36:                               ;   in Loop: Header=BB86_11 Depth=3
	global_load_b64 v[6:7], v[6:7], off offset:128
	s_wait_loadcnt 0x0
	ds_store_b64 v67, v[6:7] offset:4224
.LBB86_37:                              ;   in Loop: Header=BB86_11 Depth=3
	s_wait_xcnt 0x0
	s_and_not1_saveexec_b32 s5, s5
	s_cbranch_execz .LBB86_43
; %bb.38:                               ;   in Loop: Header=BB86_11 Depth=3
	s_and_saveexec_b32 s6, s57
	s_delay_alu instid0(SALU_CYCLE_1)
	s_xor_b32 s6, exec_lo, s6
; %bb.39:                               ;   in Loop: Header=BB86_11 Depth=3
	ds_store_b64 v67, v[36:37] offset:4224
; %bb.40:                               ;   in Loop: Header=BB86_11 Depth=3
	s_and_not1_saveexec_b32 s6, s6
; %bb.41:                               ;   in Loop: Header=BB86_11 Depth=3
	ds_store_b64 v67, v[38:39] offset:4224
; %bb.42:                               ;   in Loop: Header=BB86_11 Depth=3
	s_or_b32 exec_lo, exec_lo, s6
.LBB86_43:                              ;   in Loop: Header=BB86_11 Depth=3
	s_delay_alu instid0(SALU_CYCLE_1) | instskip(SKIP_3) | instid1(VALU_DEP_3)
	s_or_b32 exec_lo, exec_lo, s5
	v_add_nc_u64_e32 v[6:7], s[48:49], v[22:23]
	v_add_nc_u64_e32 v[8:9], v[58:59], v[32:33]
	v_mov_b64_e32 v[10:11], 0
	v_cmp_le_i64_e64 s5, s[40:41], v[6:7]
	s_nor_b32 s7, s5, s0
	s_delay_alu instid0(SALU_CYCLE_1)
	s_and_saveexec_b32 s6, s7
	s_cbranch_execz .LBB86_45
; %bb.44:                               ;   in Loop: Header=BB86_11 Depth=3
	global_load_b64 v[10:11], v[8:9], off offset:-128
.LBB86_45:                              ;   in Loop: Header=BB86_11 Depth=3
	s_wait_xcnt 0x0
	s_or_b32 exec_lo, exec_lo, s6
	s_nor_b32 s5, s5, s1
	s_wait_loadcnt 0x0
	ds_store_b64 v69, v[10:11]
	s_and_saveexec_b32 s6, s5
	s_delay_alu instid0(SALU_CYCLE_1)
	s_xor_b32 s5, exec_lo, s6
	s_cbranch_execz .LBB86_47
; %bb.46:                               ;   in Loop: Header=BB86_11 Depth=3
	global_load_b64 v[8:9], v[8:9], off
	s_wait_loadcnt 0x0
	ds_store_b64 v69, v[8:9] offset:128
.LBB86_47:                              ;   in Loop: Header=BB86_11 Depth=3
	s_wait_xcnt 0x0
	s_and_not1_saveexec_b32 s5, s5
; %bb.48:                               ;   in Loop: Header=BB86_11 Depth=3
	ds_store_b64 v69, v[36:37] offset:128
; %bb.49:                               ;   in Loop: Header=BB86_11 Depth=3
	s_or_b32 exec_lo, exec_lo, s5
	v_cmp_le_i64_e64 s5, s[24:25], v[6:7]
	v_add_nc_u64_e32 v[6:7], v[58:59], v[28:29]
	v_mov_b64_e32 v[8:9], 0
	s_nor_b32 s7, s5, s0
	s_delay_alu instid0(SALU_CYCLE_1)
	s_and_saveexec_b32 s6, s7
	s_cbranch_execz .LBB86_51
; %bb.50:                               ;   in Loop: Header=BB86_11 Depth=3
	global_load_b64 v[8:9], v[6:7], off offset:-128
.LBB86_51:                              ;   in Loop: Header=BB86_11 Depth=3
	s_wait_xcnt 0x0
	s_or_b32 exec_lo, exec_lo, s6
	s_nor_b32 s5, s5, s1
	s_wait_loadcnt 0x0
	ds_store_b64 v69, v[8:9] offset:4096
	s_and_saveexec_b32 s6, s5
	s_delay_alu instid0(SALU_CYCLE_1)
	s_xor_b32 s5, exec_lo, s6
	s_cbranch_execz .LBB86_53
; %bb.52:                               ;   in Loop: Header=BB86_11 Depth=3
	global_load_b64 v[6:7], v[6:7], off
	s_wait_loadcnt 0x0
	ds_store_b64 v69, v[6:7] offset:4224
.LBB86_53:                              ;   in Loop: Header=BB86_11 Depth=3
	s_wait_xcnt 0x0
	s_and_not1_saveexec_b32 s5, s5
	s_cbranch_execz .LBB86_10
; %bb.54:                               ;   in Loop: Header=BB86_11 Depth=3
	ds_store_b64 v69, v[36:37] offset:4224
	s_branch .LBB86_10
.LBB86_55:                              ;   in Loop: Header=BB86_8 Depth=2
	s_delay_alu instid0(VALU_DEP_2) | instskip(SKIP_2) | instid1(VALU_DEP_2)
	v_mul_u64_e32 v[6:7], s[28:29], v[48:49]
	v_cmp_gt_i32_e32 vcc_lo, s38, v48
	s_and_b32 s5, s2, vcc_lo
	v_lshl_add_u64 v[6:7], v[6:7], 3, s[46:47]
	s_and_saveexec_b32 s4, s5
	s_cbranch_execz .LBB86_57
; %bb.56:                               ;   in Loop: Header=BB86_8 Depth=2
	s_delay_alu instid0(VALU_DEP_1) | instskip(SKIP_4) | instid1(VALU_DEP_2)
	v_lshl_add_u64 v[8:9], v[26:27], 3, v[6:7]
	v_pk_mul_f32 v[4:5], v[4:5], v[44:45] op_sel_hi:[0,1]
	global_load_b64 v[10:11], v[8:9], off
	v_pk_fma_f32 v[12:13], v[2:3], v[40:41], v[4:5] op_sel_hi:[0,1,1]
	v_pk_fma_f32 v[2:3], v[2:3], v[40:41], v[4:5] neg_lo:[0,0,1] neg_hi:[0,0,1]
	v_mov_b32_e32 v3, v13
	s_wait_loadcnt 0x0
	s_delay_alu instid0(VALU_DEP_1)
	v_pk_add_f32 v[2:3], v[10:11], v[2:3]
	global_store_b64 v[8:9], v[2:3], off
.LBB86_57:                              ;   in Loop: Header=BB86_8 Depth=2
	s_wait_xcnt 0x0
	s_or_b32 exec_lo, exec_lo, s4
	s_and_b32 s5, s3, vcc_lo
	s_delay_alu instid0(SALU_CYCLE_1)
	s_and_saveexec_b32 s4, s5
	s_cbranch_execz .LBB86_59
; %bb.58:                               ;   in Loop: Header=BB86_8 Depth=2
	v_lshl_add_u64 v[2:3], v[30:31], 3, v[6:7]
	v_pk_mul_f32 v[6:7], v[70:71], v[44:45] op_sel_hi:[0,1]
	global_load_b64 v[4:5], v[2:3], off
	v_pk_fma_f32 v[8:9], v[0:1], v[40:41], v[6:7] op_sel_hi:[0,1,1]
	v_pk_fma_f32 v[0:1], v[0:1], v[40:41], v[6:7] neg_lo:[0,0,1] neg_hi:[0,0,1]
	s_delay_alu instid0(VALU_DEP_2) | instskip(SKIP_1) | instid1(VALU_DEP_1)
	v_mov_b32_e32 v1, v9
	s_wait_loadcnt 0x0
	v_pk_add_f32 v[0:1], v[4:5], v[0:1]
	global_store_b64 v[2:3], v[0:1], off
.LBB86_59:                              ;   in Loop: Header=BB86_8 Depth=2
	s_wait_xcnt 0x0
	s_or_b32 exec_lo, exec_lo, s4
	v_add_nc_u32_e32 v0, 16, v48
	s_delay_alu instid0(VALU_DEP_1) | instskip(SKIP_1) | instid1(VALU_DEP_2)
	v_ashrrev_i32_e32 v1, 31, v0
	v_cmp_gt_i32_e32 vcc_lo, s38, v0
	v_mul_u64_e32 v[2:3], s[28:29], v[0:1]
	s_and_b32 s5, s2, vcc_lo
	s_delay_alu instid0(VALU_DEP_1)
	v_lshl_add_u64 v[0:1], v[2:3], 3, s[46:47]
	s_and_saveexec_b32 s4, s5
	s_cbranch_execz .LBB86_61
; %bb.60:                               ;   in Loop: Header=BB86_8 Depth=2
	s_delay_alu instid0(VALU_DEP_1) | instskip(SKIP_4) | instid1(VALU_DEP_2)
	v_lshl_add_u64 v[2:3], v[26:27], 3, v[0:1]
	v_pk_mul_f32 v[6:7], v[68:69], v[44:45] op_sel_hi:[0,1]
	global_load_b64 v[4:5], v[2:3], off
	v_pk_fma_f32 v[8:9], v[66:67], v[40:41], v[6:7] op_sel_hi:[0,1,1]
	v_pk_fma_f32 v[6:7], v[66:67], v[40:41], v[6:7] neg_lo:[0,0,1] neg_hi:[0,0,1]
	v_mov_b32_e32 v7, v9
	s_wait_loadcnt 0x0
	s_delay_alu instid0(VALU_DEP_1)
	v_pk_add_f32 v[4:5], v[4:5], v[6:7]
	global_store_b64 v[2:3], v[4:5], off
.LBB86_61:                              ;   in Loop: Header=BB86_8 Depth=2
	s_wait_xcnt 0x0
	s_or_b32 exec_lo, exec_lo, s4
	s_and_b32 s5, s3, vcc_lo
	s_delay_alu instid0(SALU_CYCLE_1)
	s_and_saveexec_b32 s4, s5
	s_cbranch_execz .LBB86_7
; %bb.62:                               ;   in Loop: Header=BB86_8 Depth=2
	v_lshl_add_u64 v[0:1], v[30:31], 3, v[0:1]
	v_pk_mul_f32 v[4:5], v[62:63], v[44:45] op_sel_hi:[0,1]
	global_load_b64 v[2:3], v[0:1], off
	v_pk_fma_f32 v[6:7], v[64:65], v[40:41], v[4:5] op_sel_hi:[0,1,1]
	v_pk_fma_f32 v[4:5], v[64:65], v[40:41], v[4:5] neg_lo:[0,0,1] neg_hi:[0,0,1]
	s_delay_alu instid0(VALU_DEP_2) | instskip(SKIP_1) | instid1(VALU_DEP_1)
	v_mov_b32_e32 v5, v7
	s_wait_loadcnt 0x0
	v_pk_add_f32 v[2:3], v[2:3], v[4:5]
	global_store_b64 v[0:1], v[2:3], off
	s_branch .LBB86_7
.LBB86_63:
	s_sendmsg sendmsg(MSG_DEALLOC_VGPRS)
	s_endpgm
	.section	.rodata,"a",@progbits
	.p2align	6, 0x0
	.amdhsa_kernel _ZL30rocblas_trmm_outofplace_kernelI19rocblas_complex_numIfELi32ELi2ELb0ELb1ELb0ELb0EPKS1_S2_S1_Ev17rocblas_diagonal_iiT6_lPT7_lllS7_lllPT8_llli
		.amdhsa_group_segment_fixed_size 16384
		.amdhsa_private_segment_fixed_size 0
		.amdhsa_kernarg_size 392
		.amdhsa_user_sgpr_count 2
		.amdhsa_user_sgpr_dispatch_ptr 0
		.amdhsa_user_sgpr_queue_ptr 0
		.amdhsa_user_sgpr_kernarg_segment_ptr 1
		.amdhsa_user_sgpr_dispatch_id 0
		.amdhsa_user_sgpr_kernarg_preload_length 0
		.amdhsa_user_sgpr_kernarg_preload_offset 0
		.amdhsa_user_sgpr_private_segment_size 0
		.amdhsa_wavefront_size32 1
		.amdhsa_uses_dynamic_stack 0
		.amdhsa_enable_private_segment 0
		.amdhsa_system_sgpr_workgroup_id_x 1
		.amdhsa_system_sgpr_workgroup_id_y 1
		.amdhsa_system_sgpr_workgroup_id_z 1
		.amdhsa_system_sgpr_workgroup_info 0
		.amdhsa_system_vgpr_workitem_id 1
		.amdhsa_next_free_vgpr 89
		.amdhsa_next_free_sgpr 60
		.amdhsa_named_barrier_count 0
		.amdhsa_reserve_vcc 1
		.amdhsa_float_round_mode_32 0
		.amdhsa_float_round_mode_16_64 0
		.amdhsa_float_denorm_mode_32 3
		.amdhsa_float_denorm_mode_16_64 3
		.amdhsa_fp16_overflow 0
		.amdhsa_memory_ordered 1
		.amdhsa_forward_progress 1
		.amdhsa_inst_pref_size 58
		.amdhsa_round_robin_scheduling 0
		.amdhsa_exception_fp_ieee_invalid_op 0
		.amdhsa_exception_fp_denorm_src 0
		.amdhsa_exception_fp_ieee_div_zero 0
		.amdhsa_exception_fp_ieee_overflow 0
		.amdhsa_exception_fp_ieee_underflow 0
		.amdhsa_exception_fp_ieee_inexact 0
		.amdhsa_exception_int_div_zero 0
	.end_amdhsa_kernel
	.section	.text._ZL30rocblas_trmm_outofplace_kernelI19rocblas_complex_numIfELi32ELi2ELb0ELb1ELb0ELb0EPKS1_S2_S1_Ev17rocblas_diagonal_iiT6_lPT7_lllS7_lllPT8_llli,"axG",@progbits,_ZL30rocblas_trmm_outofplace_kernelI19rocblas_complex_numIfELi32ELi2ELb0ELb1ELb0ELb0EPKS1_S2_S1_Ev17rocblas_diagonal_iiT6_lPT7_lllS7_lllPT8_llli,comdat
.Lfunc_end86:
	.size	_ZL30rocblas_trmm_outofplace_kernelI19rocblas_complex_numIfELi32ELi2ELb0ELb1ELb0ELb0EPKS1_S2_S1_Ev17rocblas_diagonal_iiT6_lPT7_lllS7_lllPT8_llli, .Lfunc_end86-_ZL30rocblas_trmm_outofplace_kernelI19rocblas_complex_numIfELi32ELi2ELb0ELb1ELb0ELb0EPKS1_S2_S1_Ev17rocblas_diagonal_iiT6_lPT7_lllS7_lllPT8_llli
                                        ; -- End function
	.set _ZL30rocblas_trmm_outofplace_kernelI19rocblas_complex_numIfELi32ELi2ELb0ELb1ELb0ELb0EPKS1_S2_S1_Ev17rocblas_diagonal_iiT6_lPT7_lllS7_lllPT8_llli.num_vgpr, 89
	.set _ZL30rocblas_trmm_outofplace_kernelI19rocblas_complex_numIfELi32ELi2ELb0ELb1ELb0ELb0EPKS1_S2_S1_Ev17rocblas_diagonal_iiT6_lPT7_lllS7_lllPT8_llli.num_agpr, 0
	.set _ZL30rocblas_trmm_outofplace_kernelI19rocblas_complex_numIfELi32ELi2ELb0ELb1ELb0ELb0EPKS1_S2_S1_Ev17rocblas_diagonal_iiT6_lPT7_lllS7_lllPT8_llli.numbered_sgpr, 60
	.set _ZL30rocblas_trmm_outofplace_kernelI19rocblas_complex_numIfELi32ELi2ELb0ELb1ELb0ELb0EPKS1_S2_S1_Ev17rocblas_diagonal_iiT6_lPT7_lllS7_lllPT8_llli.num_named_barrier, 0
	.set _ZL30rocblas_trmm_outofplace_kernelI19rocblas_complex_numIfELi32ELi2ELb0ELb1ELb0ELb0EPKS1_S2_S1_Ev17rocblas_diagonal_iiT6_lPT7_lllS7_lllPT8_llli.private_seg_size, 0
	.set _ZL30rocblas_trmm_outofplace_kernelI19rocblas_complex_numIfELi32ELi2ELb0ELb1ELb0ELb0EPKS1_S2_S1_Ev17rocblas_diagonal_iiT6_lPT7_lllS7_lllPT8_llli.uses_vcc, 1
	.set _ZL30rocblas_trmm_outofplace_kernelI19rocblas_complex_numIfELi32ELi2ELb0ELb1ELb0ELb0EPKS1_S2_S1_Ev17rocblas_diagonal_iiT6_lPT7_lllS7_lllPT8_llli.uses_flat_scratch, 0
	.set _ZL30rocblas_trmm_outofplace_kernelI19rocblas_complex_numIfELi32ELi2ELb0ELb1ELb0ELb0EPKS1_S2_S1_Ev17rocblas_diagonal_iiT6_lPT7_lllS7_lllPT8_llli.has_dyn_sized_stack, 0
	.set _ZL30rocblas_trmm_outofplace_kernelI19rocblas_complex_numIfELi32ELi2ELb0ELb1ELb0ELb0EPKS1_S2_S1_Ev17rocblas_diagonal_iiT6_lPT7_lllS7_lllPT8_llli.has_recursion, 0
	.set _ZL30rocblas_trmm_outofplace_kernelI19rocblas_complex_numIfELi32ELi2ELb0ELb1ELb0ELb0EPKS1_S2_S1_Ev17rocblas_diagonal_iiT6_lPT7_lllS7_lllPT8_llli.has_indirect_call, 0
	.section	.AMDGPU.csdata,"",@progbits
; Kernel info:
; codeLenInByte = 7424
; TotalNumSgprs: 62
; NumVgprs: 89
; ScratchSize: 0
; MemoryBound: 1
; FloatMode: 240
; IeeeMode: 1
; LDSByteSize: 16384 bytes/workgroup (compile time only)
; SGPRBlocks: 0
; VGPRBlocks: 5
; NumSGPRsForWavesPerEU: 62
; NumVGPRsForWavesPerEU: 89
; NamedBarCnt: 0
; Occupancy: 10
; WaveLimiterHint : 0
; COMPUTE_PGM_RSRC2:SCRATCH_EN: 0
; COMPUTE_PGM_RSRC2:USER_SGPR: 2
; COMPUTE_PGM_RSRC2:TRAP_HANDLER: 0
; COMPUTE_PGM_RSRC2:TGID_X_EN: 1
; COMPUTE_PGM_RSRC2:TGID_Y_EN: 1
; COMPUTE_PGM_RSRC2:TGID_Z_EN: 1
; COMPUTE_PGM_RSRC2:TIDIG_COMP_CNT: 1
	.section	.text._ZL30rocblas_trmm_outofplace_kernelI19rocblas_complex_numIfELi32ELi2ELb0ELb1ELb0ELb0ES1_KS1_S1_Ev17rocblas_diagonal_iiT6_lPT7_lllS6_lllPT8_llli,"axG",@progbits,_ZL30rocblas_trmm_outofplace_kernelI19rocblas_complex_numIfELi32ELi2ELb0ELb1ELb0ELb0ES1_KS1_S1_Ev17rocblas_diagonal_iiT6_lPT7_lllS6_lllPT8_llli,comdat
	.globl	_ZL30rocblas_trmm_outofplace_kernelI19rocblas_complex_numIfELi32ELi2ELb0ELb1ELb0ELb0ES1_KS1_S1_Ev17rocblas_diagonal_iiT6_lPT7_lllS6_lllPT8_llli ; -- Begin function _ZL30rocblas_trmm_outofplace_kernelI19rocblas_complex_numIfELi32ELi2ELb0ELb1ELb0ELb0ES1_KS1_S1_Ev17rocblas_diagonal_iiT6_lPT7_lllS6_lllPT8_llli
	.p2align	8
	.type	_ZL30rocblas_trmm_outofplace_kernelI19rocblas_complex_numIfELi32ELi2ELb0ELb1ELb0ELb0ES1_KS1_S1_Ev17rocblas_diagonal_iiT6_lPT7_lllS6_lllPT8_llli,@function
_ZL30rocblas_trmm_outofplace_kernelI19rocblas_complex_numIfELi32ELi2ELb0ELb1ELb0ELb0ES1_KS1_S1_Ev17rocblas_diagonal_iiT6_lPT7_lllS6_lllPT8_llli: ; @_ZL30rocblas_trmm_outofplace_kernelI19rocblas_complex_numIfELi32ELi2ELb0ELb1ELb0ELb0ES1_KS1_S1_Ev17rocblas_diagonal_iiT6_lPT7_lllS6_lllPT8_llli
; %bb.0:
	s_load_b32 s33, s[0:1], 0x80
	s_bfe_u32 s2, ttmp6, 0x40014
	s_lshr_b32 s3, ttmp7, 16
	s_add_co_i32 s2, s2, 1
	s_bfe_u32 s5, ttmp6, 0x40008
	s_mul_i32 s4, s3, s2
	s_getreg_b32 s2, hwreg(HW_REG_IB_STS2, 6, 4)
	s_add_co_i32 s5, s5, s4
	s_cmp_eq_u32 s2, 0
	s_cselect_b32 s34, s3, s5
	s_wait_kmcnt 0x0
	s_cmp_ge_u32 s34, s33
	s_cbranch_scc1 .LBB87_62
; %bb.1:
	s_load_b64 s[40:41], s[0:1], 0xc
	s_wait_kmcnt 0x0
	s_or_b32 s3, s40, s41
	s_delay_alu instid0(SALU_CYCLE_1) | instskip(NEXT) | instid1(SALU_CYCLE_1)
	s_bitset0_b32 s3, 31
	s_cmp_eq_u32 s3, 0
	s_cbranch_scc1 .LBB87_62
; %bb.2:
	s_clause 0x1
	s_load_b96 s[36:38], s[0:1], 0x0
	s_load_b512 s[8:23], s[0:1], 0x20
	v_bfe_u32 v30, v0, 10, 10
	v_mov_b32_e32 v29, 0
	v_and_b32_e32 v28, 0x3ff, v0
	s_bfe_u32 s4, ttmp6, 0x4000c
	s_bfe_u32 s6, ttmp6, 0x40010
	s_delay_alu instid0(VALU_DEP_2) | instskip(NEXT) | instid1(VALU_DEP_2)
	v_dual_lshlrev_b32 v69, 8, v30 :: v_dual_mov_b32 v31, v29
	v_dual_lshlrev_b32 v32, 3, v28 :: v_dual_lshlrev_b32 v0, 3, v30
	v_mov_b32_e32 v1, v29
	s_and_b32 s5, ttmp7, 0xffff
	s_add_co_i32 s4, s4, 1
	s_add_co_i32 s6, s6, 1
	s_and_b32 s3, ttmp6, 15
	v_add_nc_u64_e32 v[0:1], 0x80, v[0:1]
	s_bfe_u32 s7, ttmp6, 0x40004
	s_mul_i32 s4, ttmp9, s4
	s_mul_i32 s6, s5, s6
	s_wait_kmcnt 0x0
	s_add_co_i32 s39, s38, -1
	v_mul_u64_e32 v[2:3], s[20:21], v[30:31]
	s_ashr_i32 s42, s39, 31
	v_mul_u64_e32 v[36:37], s[20:21], v[0:1]
	s_lshr_b32 s42, s42, 27
	s_add_co_i32 s3, s3, s4
	s_add_co_i32 s39, s39, s42
	;; [unrolled: 1-line block ×3, first 2 shown]
	s_ashr_i32 s39, s39, 5
	s_cmp_eq_u32 s2, 0
	s_load_b256 s[24:31], s[0:1], 0x60
	s_cselect_b32 s2, ttmp9, s3
	s_cselect_b32 s50, s5, s7
	v_lshl_add_u32 v34, s2, 5, v28
	s_cmp_le_i32 s50, s39
	s_mov_b32 s2, s37
	s_cselect_b32 s51, -1, 0
	s_cmp_eq_u32 s36, 0x84
	v_dual_ashrrev_i32 v35, 31, v34 :: v_dual_add_nc_u32 v73, v69, v32
	s_cselect_b32 s52, -1, 0
	s_ashr_i32 s3, s37, 31
	s_lshl_b64 s[4:5], s[18:19], 3
	v_or_b32_e32 v71, 0x2000, v32
	v_sub_nc_u64_e32 v[4:5], s[2:3], v[34:35]
	s_add_nc_u64 s[4:5], s[16:17], s[4:5]
	v_add_nc_u32_e32 v38, 16, v34
	v_lshl_add_u64 v[0:1], v[34:35], 3, s[4:5]
	v_add_nc_u32_e32 v75, v71, v69
	s_lshl_b64 s[44:45], s[20:21], 8
	s_wait_kmcnt 0x0
	s_lshl_b64 s[2:3], s[26:27], 3
	s_add_nc_u64 s[20:21], s[0:1], 0x88
	v_cmp_gt_i64_e64 s0, 1, v[4:5]
	v_cmp_gt_i64_e64 s1, 17, v[4:5]
	v_lshlrev_b64_e32 v[40:41], 3, v[2:3]
	v_add_nc_u64_e32 v[42:43], 0x80, v[0:1]
	v_mov_b64_e32 v[44:45], 0
	v_mov_b64_e32 v[46:47], 0x3f800000
	s_add_nc_u64 s[24:25], s[24:25], s[2:3]
	v_cmp_gt_i32_e64 s2, s37, v34
	v_cmp_gt_i32_e64 s3, s37, v38
	v_dual_ashrrev_i32 v39, 31, v38 :: v_dual_mov_b32 v33, v29
	v_lshl_add_u32 v77, s50, 5, v30
	v_add_nc_u32_e32 v78, 0x800, v71
	v_add_nc_u32_e32 v79, 0x1000, v71
	;; [unrolled: 1-line block ×3, first 2 shown]
	s_ashr_i32 s43, s38, 31
	s_mov_b32 s42, s38
	s_lshl_b64 s[4:5], s[10:11], 3
	s_mov_b32 s35, 0
	s_add_nc_u64 s[26:27], s[42:43], -16
	s_mov_b32 s16, s41
	s_mov_b32 s17, s40
	s_lshl_b64 s[18:19], s[22:23], 3
	s_add_nc_u64 s[10:11], s[8:9], s[4:5]
	s_lshl_b64 s[14:15], s[14:15], 3
	s_lshl_b64 s[22:23], s[12:13], 3
	s_branch .LBB87_4
.LBB87_3:                               ;   in Loop: Header=BB87_4 Depth=1
	s_add_co_i32 s34, s34, 0x10000
	s_delay_alu instid0(SALU_CYCLE_1)
	s_cmp_ge_u32 s34, s33
	s_cbranch_scc1 .LBB87_62
.LBB87_4:                               ; =>This Loop Header: Depth=1
                                        ;     Child Loop BB87_7 Depth 2
                                        ;       Child Loop BB87_10 Depth 3
	s_and_not1_b32 vcc_lo, exec_lo, s51
	s_cbranch_vccnz .LBB87_3
; %bb.5:                                ;   in Loop: Header=BB87_4 Depth=1
	s_load_b32 s53, s[20:21], 0x4
	v_mad_nc_u64_u32 v[48:49], s18, s34, v[42:43]
	s_mul_u64 s[6:7], s[30:31], s[34:35]
	v_mov_b32_e32 v50, v77
	s_mul_u64 s[4:5], s[14:15], s[34:35]
	s_lshl_b64 s[6:7], s[6:7], 3
	s_add_nc_u64 s[36:37], s[10:11], s[4:5]
	s_add_nc_u64 s[46:47], s[24:25], s[6:7]
	s_mov_b32 s55, s50
	s_delay_alu instid0(VALU_DEP_2)
	v_mad_u32 v49, s19, s34, v49
	s_wait_kmcnt 0x0
	s_lshl_b32 s54, s53, 5
	s_branch .LBB87_7
.LBB87_6:                               ;   in Loop: Header=BB87_7 Depth=2
	s_wait_xcnt 0x0
	s_or_b32 exec_lo, exec_lo, s4
	v_add_nc_u32_e32 v50, s54, v50
	s_add_co_i32 s55, s53, s55
	s_delay_alu instid0(SALU_CYCLE_1)
	s_cmp_gt_i32 s55, s39
	s_cbranch_scc1 .LBB87_3
.LBB87_7:                               ;   Parent Loop BB87_4 Depth=1
                                        ; =>  This Loop Header: Depth=2
                                        ;       Child Loop BB87_10 Depth 3
	s_lshl_b32 s56, s55, 5
	s_delay_alu instid0(SALU_CYCLE_1) | instskip(SKIP_2) | instid1(VALU_DEP_3)
	v_dual_mov_b32 v2, 0 :: v_dual_add_nc_u32 v52, s56, v30
	v_dual_mov_b32 v4, 0 :: v_dual_mov_b32 v0, 0
	v_dual_mov_b32 v76, 0 :: v_dual_mov_b32 v72, 0
	v_dual_mov_b32 v74, 0 :: v_dual_ashrrev_i32 v53, 31, v52
	v_dual_mov_b32 v70, 0 :: v_dual_mov_b32 v68, 0
	s_cmp_lt_i32 s55, 0
	s_cbranch_scc1 .LBB87_54
; %bb.8:                                ;   in Loop: Header=BB87_7 Depth=2
	v_dual_mov_b32 v68, 0 :: v_dual_ashrrev_i32 v51, 31, v50
	v_mad_nc_u64_u32 v[54:55], s22, v50, s[36:37]
	v_sub_nc_u64_e32 v[2:3], 0, v[28:29]
	v_add_nc_u64_e32 v[58:59], 16, v[52:53]
	s_delay_alu instid0(VALU_DEP_4) | instskip(SKIP_3) | instid1(VALU_DEP_4)
	v_lshl_add_u64 v[0:1], v[50:51], 3, 0x80
	v_mov_b64_e32 v[62:63], v[48:49]
	v_dual_mov_b32 v70, 0 :: v_dual_mov_b32 v74, 0
	v_dual_mov_b32 v72, 0 :: v_dual_mov_b32 v76, 0
	v_mad_nc_u64_u32 v[56:57], s12, v0, s[36:37]
	v_add_nc_u64_e32 v[60:61], v[2:3], v[50:51]
	v_mad_u32 v4, s23, v50, v55
	v_cmp_le_i64_e64 s4, s[42:43], v[58:59]
	v_mov_b32_e32 v2, 0
	s_mov_b64 s[48:49], 0
	v_cmp_le_i32_e32 vcc_lo, s38, v52
	v_add_nc_u64_e32 v[64:65], 16, v[60:61]
	v_add_nc_u64_e32 v[66:67], -16, v[60:61]
	v_mad_u32 v0, s13, v0, v57
	v_mad_u32 v55, s22, v51, v4
	v_mov_b32_e32 v4, 0
	s_delay_alu instid0(VALU_DEP_3)
	v_mad_u32 v57, s12, v1, v0
	v_mov_b32_e32 v0, 0
	s_branch .LBB87_10
.LBB87_9:                               ;   in Loop: Header=BB87_10 Depth=3
	s_or_b32 exec_lo, exec_lo, s5
	s_wait_dscnt 0x0
	s_barrier_signal -1
	s_barrier_wait -1
	ds_load_b128 v[16:19], v69
	ds_load_2addr_b64 v[24:27], v71 offset1:16
	ds_load_b128 v[20:23], v69 offset:4096
	ds_load_b128 v[8:11], v69 offset:16
	ds_load_2addr_b64 v[82:85], v71 offset0:32 offset1:48
	ds_load_b128 v[12:15], v69 offset:4112
	v_add_nc_u64_e32 v[62:63], s[44:45], v[62:63]
	v_add_nc_u64_e32 v[56:57], 0x100, v[56:57]
	;; [unrolled: 1-line block ×3, first 2 shown]
	s_add_nc_u64 s[48:49], s[48:49], 32
	s_delay_alu instid0(SALU_CYCLE_1) | instskip(NEXT) | instid1(SALU_CYCLE_1)
	s_sub_co_i32 s5, s48, 32
	s_cmp_ge_i32 s5, s56
	s_wait_dscnt 0x4
	v_dual_mul_f32 v1, v17, v25 :: v_dual_mul_f32 v3, v16, v25
	v_dual_mul_f32 v5, v17, v27 :: v_dual_mul_f32 v51, v16, v27
	s_wait_dscnt 0x3
	s_delay_alu instid0(VALU_DEP_2) | instskip(NEXT) | instid1(VALU_DEP_2)
	v_dual_mul_f32 v81, v21, v25 :: v_dual_fma_f32 v1, v16, v24, -v1
	v_dual_fmac_f32 v3, v17, v24 :: v_dual_fma_f32 v5, v16, v26, -v5
	s_delay_alu instid0(VALU_DEP_3) | instskip(NEXT) | instid1(VALU_DEP_3)
	v_dual_mul_f32 v16, v20, v25 :: v_dual_fmac_f32 v51, v17, v26
	v_dual_mul_f32 v25, v21, v27 :: v_dual_fma_f32 v81, v20, v24, -v81
	s_delay_alu instid0(VALU_DEP_2) | instskip(NEXT) | instid1(VALU_DEP_3)
	v_dual_add_f32 v87, v0, v5 :: v_dual_fmac_f32 v16, v21, v24
	v_add_f32_e32 v51, v76, v51
	s_delay_alu instid0(VALU_DEP_3)
	v_dual_mul_f32 v76, v20, v27 :: v_dual_fma_f32 v20, v20, v26, -v25
	v_dual_add_f32 v17, v2, v1 :: v_dual_add_f32 v86, v4, v3
	ds_load_b128 v[4:7], v69 offset:32
	ds_load_b128 v[0:3], v69 offset:48
	v_dual_add_f32 v72, v72, v81 :: v_dual_add_f32 v16, v74, v16
	s_wait_dscnt 0x3
	v_dual_mul_f32 v74, v19, v83 :: v_dual_fmac_f32 v76, v21, v26
	v_add_f32_e32 v20, v70, v20
	ds_load_2addr_b64 v[24:27], v71 offset0:64 offset1:80
	v_dual_mul_f32 v21, v18, v83 :: v_dual_fma_f32 v70, v18, v82, -v74
	v_dual_mul_f32 v74, v19, v85 :: v_dual_add_f32 v68, v68, v76
	s_delay_alu instid0(VALU_DEP_2) | instskip(NEXT) | instid1(VALU_DEP_2)
	v_dual_mul_f32 v76, v18, v85 :: v_dual_fmac_f32 v21, v19, v82
	v_dual_add_f32 v70, v17, v70 :: v_dual_fma_f32 v17, v18, v84, -v74
	v_mul_f32_e32 v18, v23, v83
	s_delay_alu instid0(VALU_DEP_3) | instskip(NEXT) | instid1(VALU_DEP_4)
	v_dual_fmac_f32 v76, v19, v84 :: v_dual_mul_f32 v19, v22, v83
	v_add_f32_e32 v21, v86, v21
	s_delay_alu instid0(VALU_DEP_3) | instskip(NEXT) | instid1(VALU_DEP_3)
	v_dual_add_f32 v74, v87, v17 :: v_dual_fma_f32 v17, v22, v82, -v18
	v_dual_mul_f32 v18, v23, v85 :: v_dual_fmac_f32 v19, v23, v82
	s_delay_alu instid0(VALU_DEP_4) | instskip(NEXT) | instid1(VALU_DEP_2)
	v_dual_add_f32 v51, v51, v76 :: v_dual_mul_f32 v76, v22, v85
	v_dual_add_f32 v72, v72, v17 :: v_dual_fma_f32 v17, v22, v84, -v18
	s_wait_dscnt 0x0
	s_delay_alu instid0(VALU_DEP_3) | instskip(NEXT) | instid1(VALU_DEP_3)
	v_dual_mul_f32 v18, v9, v25 :: v_dual_add_f32 v22, v16, v19
	v_dual_fmac_f32 v76, v23, v84 :: v_dual_mul_f32 v23, v8, v25
	s_delay_alu instid0(VALU_DEP_3) | instskip(NEXT) | instid1(VALU_DEP_3)
	v_dual_add_f32 v20, v20, v17 :: v_dual_mul_f32 v82, v9, v27
	v_fma_f32 v81, v8, v24, -v18
	ds_load_2addr_b64 v[16:19], v71 offset0:96 offset1:112
	v_fmac_f32_e32 v23, v9, v24
	v_add_f32_e32 v68, v68, v76
	v_dual_mul_f32 v76, v8, v27 :: v_dual_fma_f32 v8, v8, v26, -v82
	s_delay_alu instid0(VALU_DEP_3) | instskip(SKIP_1) | instid1(VALU_DEP_3)
	v_dual_add_f32 v70, v70, v81 :: v_dual_add_f32 v81, v21, v23
	v_dual_mul_f32 v23, v12, v25 :: v_dual_mul_f32 v21, v13, v25
	v_dual_add_f32 v8, v74, v8 :: v_dual_fmac_f32 v76, v9, v26
	s_delay_alu instid0(VALU_DEP_2) | instskip(NEXT) | instid1(VALU_DEP_3)
	v_dual_mul_f32 v9, v13, v27 :: v_dual_fmac_f32 v23, v13, v24
	v_dual_fma_f32 v21, v12, v24, -v21 :: v_dual_mul_f32 v24, v12, v27
	s_delay_alu instid0(VALU_DEP_2) | instskip(NEXT) | instid1(VALU_DEP_2)
	v_dual_add_f32 v25, v51, v76 :: v_dual_fma_f32 v9, v12, v26, -v9
	v_dual_add_f32 v51, v22, v23 :: v_dual_add_f32 v12, v72, v21
	s_wait_dscnt 0x0
	s_delay_alu instid0(VALU_DEP_3)
	v_dual_fmac_f32 v24, v13, v26 :: v_dual_mul_f32 v13, v11, v17
	v_mul_f32_e32 v26, v10, v17
	v_dual_add_f32 v9, v20, v9 :: v_dual_mul_f32 v27, v11, v19
	ds_load_2addr_b64 v[20:23], v71 offset0:128 offset1:144
	v_fma_f32 v13, v10, v16, -v13
	v_dual_add_f32 v68, v68, v24 :: v_dual_mul_f32 v24, v10, v19
	v_dual_fmac_f32 v26, v11, v16 :: v_dual_fma_f32 v10, v10, v18, -v27
	s_delay_alu instid0(VALU_DEP_3) | instskip(SKIP_1) | instid1(VALU_DEP_4)
	v_add_f32_e32 v70, v70, v13
	v_mul_f32_e32 v13, v15, v17
	v_fmac_f32_e32 v24, v11, v18
	s_delay_alu instid0(VALU_DEP_4) | instskip(SKIP_1) | instid1(VALU_DEP_4)
	v_add_f32_e32 v11, v81, v26
	v_dual_add_f32 v72, v8, v10 :: v_dual_mul_f32 v8, v14, v17
	v_fma_f32 v10, v14, v16, -v13
	s_delay_alu instid0(VALU_DEP_4) | instskip(SKIP_4) | instid1(VALU_DEP_2)
	v_dual_add_f32 v17, v25, v24 :: v_dual_mul_f32 v13, v15, v19
	ds_load_b128 v[24:27], v69 offset:4128
	v_dual_fmac_f32 v8, v15, v16 :: v_dual_add_f32 v16, v12, v10
	v_dual_mul_f32 v10, v14, v19 :: v_dual_fma_f32 v12, v14, v18, -v13
	s_wait_dscnt 0x1
	v_dual_mul_f32 v13, v5, v21 :: v_dual_add_f32 v19, v51, v8
	s_delay_alu instid0(VALU_DEP_2) | instskip(NEXT) | instid1(VALU_DEP_3)
	v_dual_mul_f32 v8, v4, v21 :: v_dual_fmac_f32 v10, v15, v18
	v_add_f32_e32 v18, v9, v12
	s_delay_alu instid0(VALU_DEP_3) | instskip(SKIP_3) | instid1(VALU_DEP_2)
	v_fma_f32 v9, v4, v20, -v13
	ds_load_2addr_b64 v[12:15], v71 offset0:160 offset1:176
	v_dual_fmac_f32 v8, v5, v20 :: v_dual_mul_f32 v51, v5, v23
	v_dual_add_f32 v68, v68, v10 :: v_dual_add_f32 v70, v70, v9
	v_dual_mul_f32 v74, v4, v23 :: v_dual_add_f32 v76, v11, v8
	ds_load_b128 v[8:11], v69 offset:4144
	s_wait_dscnt 0x2
	v_dual_fma_f32 v4, v4, v22, -v51 :: v_dual_mul_f32 v51, v25, v21
	v_dual_fmac_f32 v74, v5, v22 :: v_dual_mul_f32 v5, v24, v21
	s_delay_alu instid0(VALU_DEP_2) | instskip(NEXT) | instid1(VALU_DEP_2)
	v_dual_mul_f32 v21, v25, v23 :: v_dual_add_f32 v4, v72, v4
	v_dual_fma_f32 v51, v24, v20, -v51 :: v_dual_add_f32 v17, v17, v74
	s_delay_alu instid0(VALU_DEP_3) | instskip(NEXT) | instid1(VALU_DEP_3)
	v_dual_fmac_f32 v5, v25, v20 :: v_dual_mul_f32 v72, v24, v23
	v_fma_f32 v20, v24, v22, -v21
	s_wait_dscnt 0x1
	s_delay_alu instid0(VALU_DEP_3) | instskip(NEXT) | instid1(VALU_DEP_3)
	v_dual_add_f32 v16, v16, v51 :: v_dual_mul_f32 v21, v7, v13
	v_dual_add_f32 v5, v19, v5 :: v_dual_fmac_f32 v72, v25, v22
	s_delay_alu instid0(VALU_DEP_3) | instskip(NEXT) | instid1(VALU_DEP_3)
	v_add_f32_e32 v24, v18, v20
	v_dual_mul_f32 v18, v6, v13 :: v_dual_fma_f32 v19, v6, v12, -v21
	ds_load_2addr_b64 v[20:23], v71 offset0:192 offset1:208
	v_dual_mul_f32 v25, v7, v15 :: v_dual_add_f32 v51, v68, v72
	v_dual_fmac_f32 v18, v7, v12 :: v_dual_add_f32 v68, v70, v19
	s_delay_alu instid0(VALU_DEP_2) | instskip(SKIP_1) | instid1(VALU_DEP_3)
	v_dual_mul_f32 v19, v6, v15 :: v_dual_fma_f32 v6, v6, v14, -v25
	v_dual_mul_f32 v25, v27, v13 :: v_dual_mul_f32 v13, v26, v13
	v_add_f32_e32 v70, v76, v18
	s_delay_alu instid0(VALU_DEP_3) | instskip(NEXT) | instid1(VALU_DEP_3)
	v_fmac_f32_e32 v19, v7, v14
	v_dual_add_f32 v4, v4, v6 :: v_dual_fma_f32 v6, v26, v12, -v25
	s_delay_alu instid0(VALU_DEP_4) | instskip(NEXT) | instid1(VALU_DEP_2)
	v_dual_fmac_f32 v13, v27, v12 :: v_dual_mul_f32 v7, v27, v15
	v_dual_mul_f32 v15, v26, v15 :: v_dual_add_f32 v6, v16, v6
	s_delay_alu instid0(VALU_DEP_2) | instskip(NEXT) | instid1(VALU_DEP_2)
	v_dual_add_f32 v12, v17, v19 :: v_dual_fma_f32 v7, v26, v14, -v7
	v_dual_add_f32 v5, v5, v13 :: v_dual_fmac_f32 v15, v27, v14
	s_wait_dscnt 0x0
	v_dual_mul_f32 v13, v1, v21 :: v_dual_mul_f32 v14, v0, v21
	ds_load_2addr_b64 v[16:19], v71 offset0:224 offset1:240
	v_add_f32_e32 v7, v24, v7
	v_dual_mul_f32 v24, v1, v23 :: v_dual_fma_f32 v13, v0, v20, -v13
	v_dual_fmac_f32 v14, v1, v20 :: v_dual_mul_f32 v25, v0, v23
	s_delay_alu instid0(VALU_DEP_2) | instskip(NEXT) | instid1(VALU_DEP_2)
	v_dual_add_f32 v26, v51, v15 :: v_dual_fma_f32 v0, v0, v22, -v24
	v_dual_add_f32 v27, v68, v13 :: v_dual_add_f32 v24, v70, v14
	s_delay_alu instid0(VALU_DEP_3) | instskip(NEXT) | instid1(VALU_DEP_3)
	v_dual_fmac_f32 v25, v1, v22 :: v_dual_mul_f32 v13, v8, v21
	v_dual_mul_f32 v1, v9, v21 :: v_dual_add_f32 v0, v4, v0
	s_delay_alu instid0(VALU_DEP_2) | instskip(NEXT) | instid1(VALU_DEP_3)
	v_dual_mul_f32 v4, v9, v23 :: v_dual_add_f32 v25, v12, v25
	v_fmac_f32_e32 v13, v9, v20
	s_delay_alu instid0(VALU_DEP_3) | instskip(SKIP_1) | instid1(VALU_DEP_3)
	v_dual_fma_f32 v1, v8, v20, -v1 :: v_dual_mul_f32 v51, v8, v23
	s_wait_dscnt 0x0
	v_dual_fma_f32 v4, v8, v22, -v4 :: v_dual_mul_f32 v8, v3, v17
	s_delay_alu instid0(VALU_DEP_3) | instskip(NEXT) | instid1(VALU_DEP_3)
	v_add_f32_e32 v68, v5, v13
	v_dual_add_f32 v1, v6, v1 :: v_dual_fmac_f32 v51, v9, v22
	s_delay_alu instid0(VALU_DEP_3) | instskip(NEXT) | instid1(VALU_DEP_4)
	v_add_f32_e32 v9, v7, v4
	v_dual_fma_f32 v4, v2, v16, -v8 :: v_dual_mul_f32 v5, v2, v17
	v_mul_f32_e32 v6, v3, v19
	ds_load_b128 v[12:15], v69 offset:64
	ds_load_2addr_b64 v[20:23], v78 offset1:16
	v_dual_add_f32 v51, v26, v51 :: v_dual_add_f32 v70, v27, v4
	v_dual_fmac_f32 v5, v3, v16 :: v_dual_mul_f32 v7, v2, v19
	v_dual_fma_f32 v2, v2, v18, -v6 :: v_dual_mul_f32 v4, v11, v17
	s_delay_alu instid0(VALU_DEP_2) | instskip(NEXT) | instid1(VALU_DEP_2)
	v_dual_add_f32 v72, v24, v5 :: v_dual_fmac_f32 v7, v3, v18
	v_dual_mul_f32 v3, v10, v17 :: v_dual_add_f32 v17, v0, v2
	s_delay_alu instid0(VALU_DEP_3) | instskip(NEXT) | instid1(VALU_DEP_2)
	v_dual_fma_f32 v0, v10, v16, -v4 :: v_dual_mul_f32 v2, v11, v19
	v_dual_fmac_f32 v3, v11, v16 :: v_dual_add_f32 v74, v25, v7
	ds_load_b128 v[24:27], v69 offset:4160
	ds_load_b128 v[4:7], v69 offset:80
	v_dual_add_f32 v16, v1, v0 :: v_dual_mul_f32 v1, v10, v19
	s_wait_dscnt 0x2
	v_dual_fma_f32 v0, v10, v18, -v2 :: v_dual_mul_f32 v2, v13, v21
	v_add_f32_e32 v19, v68, v3
	s_delay_alu instid0(VALU_DEP_3) | instskip(NEXT) | instid1(VALU_DEP_3)
	v_dual_mul_f32 v3, v12, v21 :: v_dual_fmac_f32 v1, v11, v18
	v_add_f32_e32 v18, v9, v0
	ds_load_2addr_b64 v[8:11], v78 offset0:32 offset1:48
	v_dual_fma_f32 v0, v12, v20, -v2 :: v_dual_fmac_f32 v3, v13, v20
	v_dual_mul_f32 v2, v13, v23 :: v_dual_add_f32 v51, v51, v1
	s_delay_alu instid0(VALU_DEP_2) | instskip(NEXT) | instid1(VALU_DEP_2)
	v_dual_add_f32 v68, v70, v0 :: v_dual_mul_f32 v70, v12, v23
	v_fma_f32 v12, v12, v22, -v2
	s_wait_dscnt 0x2
	v_dual_add_f32 v72, v72, v3 :: v_dual_mul_f32 v76, v25, v21
	ds_load_b128 v[0:3], v69 offset:4176
	v_dual_fmac_f32 v70, v13, v22 :: v_dual_mul_f32 v13, v24, v21
	v_add_f32_e32 v12, v17, v12
	v_dual_mul_f32 v17, v25, v23 :: v_dual_fma_f32 v21, v24, v20, -v76
	s_delay_alu instid0(VALU_DEP_3) | instskip(NEXT) | instid1(VALU_DEP_2)
	v_dual_add_f32 v70, v74, v70 :: v_dual_fmac_f32 v13, v25, v20
	v_dual_mul_f32 v20, v24, v23 :: v_dual_fma_f32 v17, v24, v22, -v17
	s_delay_alu instid0(VALU_DEP_3) | instskip(SKIP_2) | instid1(VALU_DEP_3)
	v_add_f32_e32 v21, v16, v21
	s_wait_dscnt 0x1
	v_mul_f32_e32 v16, v15, v9
	v_dual_add_f32 v13, v19, v13 :: v_dual_fmac_f32 v20, v25, v22
	v_dual_add_f32 v22, v18, v17 :: v_dual_mul_f32 v25, v15, v11
	s_delay_alu instid0(VALU_DEP_3) | instskip(SKIP_3) | instid1(VALU_DEP_2)
	v_fma_f32 v24, v14, v8, -v16
	ds_load_2addr_b64 v[16:19], v78 offset0:64 offset1:80
	v_dual_mul_f32 v23, v14, v9 :: v_dual_add_f32 v20, v51, v20
	v_dual_mul_f32 v51, v14, v11 :: v_dual_add_f32 v24, v68, v24
	v_dual_fma_f32 v14, v14, v10, -v25 :: v_dual_fmac_f32 v23, v15, v8
	v_dual_mul_f32 v25, v27, v9 :: v_dual_mul_f32 v9, v26, v9
	s_delay_alu instid0(VALU_DEP_3) | instskip(NEXT) | instid1(VALU_DEP_3)
	v_fmac_f32_e32 v51, v15, v10
	v_add_f32_e32 v68, v12, v14
	s_delay_alu instid0(VALU_DEP_3) | instskip(NEXT) | instid1(VALU_DEP_4)
	v_dual_add_f32 v23, v72, v23 :: v_dual_fma_f32 v12, v26, v8, -v25
	v_dual_fmac_f32 v9, v27, v8 :: v_dual_mul_f32 v8, v27, v11
	s_delay_alu instid0(VALU_DEP_4) | instskip(NEXT) | instid1(VALU_DEP_3)
	v_add_f32_e32 v25, v70, v51
	v_dual_mul_f32 v11, v26, v11 :: v_dual_add_f32 v21, v21, v12
	s_delay_alu instid0(VALU_DEP_3)
	v_dual_add_f32 v9, v13, v9 :: v_dual_fma_f32 v8, v26, v10, -v8
	s_wait_dscnt 0x0
	v_mul_f32_e32 v26, v5, v17
	ds_load_2addr_b64 v[12:15], v78 offset0:96 offset1:112
	v_dual_fmac_f32 v11, v27, v10 :: v_dual_mul_f32 v10, v4, v17
	v_add_f32_e32 v8, v22, v8
	v_dual_fma_f32 v22, v4, v16, -v26 :: v_dual_mul_f32 v27, v4, v19
	s_delay_alu instid0(VALU_DEP_3) | instskip(NEXT) | instid1(VALU_DEP_4)
	v_dual_mul_f32 v26, v5, v19 :: v_dual_fmac_f32 v10, v5, v16
	v_add_f32_e32 v20, v20, v11
	s_delay_alu instid0(VALU_DEP_3) | instskip(NEXT) | instid1(VALU_DEP_3)
	v_add_f32_e32 v22, v24, v22
	v_dual_fmac_f32 v27, v5, v18 :: v_dual_fma_f32 v4, v4, v18, -v26
	s_delay_alu instid0(VALU_DEP_4) | instskip(SKIP_1) | instid1(VALU_DEP_3)
	v_dual_add_f32 v23, v23, v10 :: v_dual_mul_f32 v10, v0, v17
	v_dual_mul_f32 v5, v1, v17 :: v_dual_mul_f32 v11, v1, v19
	v_dual_add_f32 v4, v68, v4 :: v_dual_add_f32 v24, v25, v27
	s_delay_alu instid0(VALU_DEP_3) | instskip(NEXT) | instid1(VALU_DEP_3)
	v_dual_fmac_f32 v10, v1, v16 :: v_dual_mul_f32 v25, v0, v19
	v_dual_fma_f32 v5, v0, v16, -v5 :: v_dual_fma_f32 v0, v0, v18, -v11
	s_wait_dscnt 0x0
	s_delay_alu instid0(VALU_DEP_2) | instskip(NEXT) | instid1(VALU_DEP_3)
	v_dual_mul_f32 v11, v7, v13 :: v_dual_add_f32 v26, v9, v10
	v_fmac_f32_e32 v25, v1, v18
	s_delay_alu instid0(VALU_DEP_3) | instskip(NEXT) | instid1(VALU_DEP_3)
	v_dual_add_f32 v5, v21, v5 :: v_dual_add_f32 v0, v8, v0
	v_fma_f32 v1, v6, v12, -v11
	ds_load_b128 v[8:11], v69 offset:96
	ds_load_2addr_b64 v[16:19], v78 offset0:128 offset1:144
	v_dual_mul_f32 v21, v6, v13 :: v_dual_mul_f32 v27, v7, v15
	v_dual_add_f32 v25, v20, v25 :: v_dual_mul_f32 v20, v6, v15
	s_delay_alu instid0(VALU_DEP_2) | instskip(NEXT) | instid1(VALU_DEP_3)
	v_dual_add_f32 v1, v22, v1 :: v_dual_fmac_f32 v21, v7, v12
	v_dual_fma_f32 v6, v6, v14, -v27 :: v_dual_mul_f32 v22, v3, v13
	s_delay_alu instid0(VALU_DEP_3) | instskip(NEXT) | instid1(VALU_DEP_2)
	v_dual_fmac_f32 v20, v7, v14 :: v_dual_mul_f32 v13, v2, v13
	v_dual_add_f32 v27, v23, v21 :: v_dual_add_f32 v51, v4, v6
	s_delay_alu instid0(VALU_DEP_3) | instskip(NEXT) | instid1(VALU_DEP_3)
	v_dual_fma_f32 v4, v2, v12, -v22 :: v_dual_mul_f32 v6, v3, v15
	v_add_f32_e32 v24, v24, v20
	s_delay_alu instid0(VALU_DEP_4)
	v_fmac_f32_e32 v13, v3, v12
	ds_load_b128 v[20:23], v69 offset:4192
	v_dual_add_f32 v68, v5, v4 :: v_dual_fma_f32 v12, v2, v14, -v6
	s_wait_dscnt 0x1
	v_dual_mul_f32 v2, v2, v15 :: v_dual_mul_f32 v15, v9, v17
	v_mul_f32_e32 v70, v8, v17
	s_delay_alu instid0(VALU_DEP_3) | instskip(NEXT) | instid1(VALU_DEP_3)
	v_dual_add_f32 v26, v26, v13 :: v_dual_add_f32 v72, v0, v12
	v_dual_fmac_f32 v2, v3, v14 :: v_dual_fma_f32 v0, v8, v16, -v15
	s_delay_alu instid0(VALU_DEP_3)
	v_fmac_f32_e32 v70, v9, v16
	ds_load_2addr_b64 v[12:15], v78 offset0:160 offset1:176
	v_mul_f32_e32 v3, v9, v19
	ds_load_b128 v[4:7], v69 offset:112
	v_dual_add_f32 v25, v25, v2 :: v_dual_mul_f32 v76, v8, v19
	v_dual_add_f32 v74, v1, v0 :: v_dual_add_f32 v27, v27, v70
	v_fma_f32 v8, v8, v18, -v3
	ds_load_b128 v[0:3], v69 offset:4208
	s_wait_dscnt 0x3
	v_mul_f32_e32 v70, v21, v17
	v_dual_fmac_f32 v76, v9, v18 :: v_dual_mul_f32 v9, v20, v17
	v_dual_add_f32 v8, v51, v8 :: v_dual_mul_f32 v17, v21, v19
	s_delay_alu instid0(VALU_DEP_3) | instskip(NEXT) | instid1(VALU_DEP_3)
	v_fma_f32 v51, v20, v16, -v70
	v_add_f32_e32 v24, v24, v76
	s_delay_alu instid0(VALU_DEP_4) | instskip(NEXT) | instid1(VALU_DEP_4)
	v_dual_fmac_f32 v9, v21, v16 :: v_dual_mul_f32 v70, v20, v19
	v_fma_f32 v16, v20, v18, -v17
	s_wait_dscnt 0x2
	v_dual_add_f32 v20, v68, v51 :: v_dual_mul_f32 v17, v11, v13
	s_delay_alu instid0(VALU_DEP_3) | instskip(NEXT) | instid1(VALU_DEP_3)
	v_dual_add_f32 v9, v26, v9 :: v_dual_fmac_f32 v70, v21, v18
	v_dual_add_f32 v21, v72, v16 :: v_dual_mul_f32 v26, v10, v13
	s_delay_alu instid0(VALU_DEP_3) | instskip(SKIP_3) | instid1(VALU_DEP_2)
	v_fma_f32 v51, v10, v12, -v17
	ds_load_2addr_b64 v[16:19], v78 offset0:192 offset1:208
	v_dual_mul_f32 v68, v11, v15 :: v_dual_add_f32 v25, v25, v70
	v_dual_fmac_f32 v26, v11, v12 :: v_dual_add_f32 v51, v74, v51
	v_dual_mul_f32 v70, v10, v15 :: v_dual_fma_f32 v10, v10, v14, -v68
	v_dual_mul_f32 v68, v23, v13 :: v_dual_mul_f32 v13, v22, v13
	s_delay_alu instid0(VALU_DEP_3) | instskip(NEXT) | instid1(VALU_DEP_3)
	v_add_f32_e32 v26, v27, v26
	v_dual_fmac_f32 v70, v11, v14 :: v_dual_mul_f32 v27, v22, v15
	s_delay_alu instid0(VALU_DEP_3) | instskip(NEXT) | instid1(VALU_DEP_4)
	v_dual_add_f32 v8, v8, v10 :: v_dual_fmac_f32 v13, v23, v12
	v_dual_fma_f32 v10, v22, v12, -v68 :: v_dual_mul_f32 v11, v23, v15
	s_delay_alu instid0(VALU_DEP_3) | instskip(NEXT) | instid1(VALU_DEP_3)
	v_add_f32_e32 v24, v24, v70
	v_dual_fmac_f32 v27, v23, v14 :: v_dual_add_f32 v9, v9, v13
	s_delay_alu instid0(VALU_DEP_3)
	v_add_f32_e32 v10, v20, v10
	s_wait_dscnt 0x0
	v_dual_fma_f32 v11, v22, v14, -v11 :: v_dual_mul_f32 v20, v5, v17
	ds_load_2addr_b64 v[12:15], v78 offset0:224 offset1:240
	v_dual_mul_f32 v22, v4, v17 :: v_dual_add_f32 v11, v21, v11
	v_dual_fma_f32 v20, v4, v16, -v20 :: v_dual_mul_f32 v21, v5, v19
	s_delay_alu instid0(VALU_DEP_2) | instskip(NEXT) | instid1(VALU_DEP_2)
	v_dual_fmac_f32 v22, v5, v16 :: v_dual_mul_f32 v23, v4, v19
	v_dual_add_f32 v25, v25, v27 :: v_dual_add_f32 v20, v51, v20
	s_delay_alu instid0(VALU_DEP_3) | instskip(NEXT) | instid1(VALU_DEP_3)
	v_fma_f32 v4, v4, v18, -v21
	v_add_f32_e32 v21, v26, v22
	s_delay_alu instid0(VALU_DEP_4) | instskip(SKIP_1) | instid1(VALU_DEP_4)
	v_fmac_f32_e32 v23, v5, v18
	v_dual_mul_f32 v5, v1, v17 :: v_dual_mul_f32 v17, v0, v17
	v_dual_add_f32 v4, v8, v4 :: v_dual_mul_f32 v8, v1, v19
	s_delay_alu instid0(VALU_DEP_3) | instskip(NEXT) | instid1(VALU_DEP_3)
	v_add_f32_e32 v22, v24, v23
	v_dual_fma_f32 v5, v0, v16, -v5 :: v_dual_mul_f32 v23, v0, v19
	s_delay_alu instid0(VALU_DEP_3) | instskip(SKIP_2) | instid1(VALU_DEP_3)
	v_dual_fmac_f32 v17, v1, v16 :: v_dual_fma_f32 v0, v0, v18, -v8
	s_wait_dscnt 0x0
	v_mul_f32_e32 v8, v7, v13
	v_dual_add_f32 v5, v10, v5 :: v_dual_fmac_f32 v23, v1, v18
	s_delay_alu instid0(VALU_DEP_3) | instskip(NEXT) | instid1(VALU_DEP_3)
	v_dual_add_f32 v24, v9, v17 :: v_dual_add_f32 v0, v11, v0
	v_dual_fma_f32 v1, v6, v12, -v8 :: v_dual_mul_f32 v26, v6, v13
	ds_load_b128 v[8:11], v69 offset:128
	ds_load_2addr_b64 v[16:19], v79 offset1:16
	v_mul_f32_e32 v27, v7, v15
	v_dual_add_f32 v25, v25, v23 :: v_dual_add_f32 v1, v20, v1
	v_dual_fmac_f32 v26, v7, v12 :: v_dual_mul_f32 v23, v6, v15
	s_delay_alu instid0(VALU_DEP_3) | instskip(NEXT) | instid1(VALU_DEP_2)
	v_dual_fma_f32 v6, v6, v14, -v27 :: v_dual_mul_f32 v20, v3, v13
	v_dual_mul_f32 v13, v2, v13 :: v_dual_add_f32 v26, v21, v26
	s_delay_alu instid0(VALU_DEP_3) | instskip(NEXT) | instid1(VALU_DEP_3)
	v_fmac_f32_e32 v23, v7, v14
	v_dual_add_f32 v27, v4, v6 :: v_dual_fma_f32 v4, v2, v12, -v20
	s_delay_alu instid0(VALU_DEP_3) | instskip(NEXT) | instid1(VALU_DEP_3)
	v_dual_mul_f32 v6, v3, v15 :: v_dual_fmac_f32 v13, v3, v12
	v_add_f32_e32 v51, v22, v23
	ds_load_b128 v[20:23], v69 offset:4224
	v_dual_add_f32 v68, v5, v4 :: v_dual_fma_f32 v12, v2, v14, -v6
	s_wait_dscnt 0x1
	v_dual_mul_f32 v2, v2, v15 :: v_dual_mul_f32 v15, v9, v17
	v_mul_f32_e32 v70, v8, v17
	v_add_f32_e32 v24, v24, v13
	s_delay_alu instid0(VALU_DEP_3) | instskip(NEXT) | instid1(VALU_DEP_3)
	v_dual_add_f32 v72, v0, v12 :: v_dual_fmac_f32 v2, v3, v14
	v_dual_fma_f32 v0, v8, v16, -v15 :: v_dual_fmac_f32 v70, v9, v16
	ds_load_2addr_b64 v[12:15], v79 offset0:32 offset1:48
	v_mul_f32_e32 v3, v9, v19
	ds_load_b128 v[4:7], v69 offset:144
	v_dual_add_f32 v25, v25, v2 :: v_dual_mul_f32 v76, v8, v19
	v_dual_add_f32 v74, v1, v0 :: v_dual_add_f32 v26, v26, v70
	v_fma_f32 v8, v8, v18, -v3
	ds_load_b128 v[0:3], v69 offset:4240
	s_wait_dscnt 0x3
	v_mul_f32_e32 v70, v21, v17
	v_dual_fmac_f32 v76, v9, v18 :: v_dual_mul_f32 v9, v20, v17
	v_dual_add_f32 v8, v27, v8 :: v_dual_mul_f32 v17, v21, v19
	s_delay_alu instid0(VALU_DEP_3) | instskip(NEXT) | instid1(VALU_DEP_3)
	v_fma_f32 v27, v20, v16, -v70
	v_dual_add_f32 v51, v51, v76 :: v_dual_mul_f32 v70, v20, v19
	s_delay_alu instid0(VALU_DEP_4) | instskip(NEXT) | instid1(VALU_DEP_4)
	v_fmac_f32_e32 v9, v21, v16
	v_fma_f32 v16, v20, v18, -v17
	s_wait_dscnt 0x2
	v_dual_add_f32 v20, v68, v27 :: v_dual_mul_f32 v17, v11, v13
	s_delay_alu instid0(VALU_DEP_3) | instskip(NEXT) | instid1(VALU_DEP_3)
	v_dual_fmac_f32 v70, v21, v18 :: v_dual_add_f32 v9, v24, v9
	v_dual_add_f32 v21, v72, v16 :: v_dual_mul_f32 v24, v10, v13
	s_delay_alu instid0(VALU_DEP_3) | instskip(SKIP_3) | instid1(VALU_DEP_2)
	v_fma_f32 v27, v10, v12, -v17
	ds_load_2addr_b64 v[16:19], v79 offset0:64 offset1:80
	v_dual_mul_f32 v68, v11, v15 :: v_dual_add_f32 v25, v25, v70
	v_dual_fmac_f32 v24, v11, v12 :: v_dual_add_f32 v27, v74, v27
	v_dual_mul_f32 v70, v10, v15 :: v_dual_fma_f32 v10, v10, v14, -v68
	v_dual_mul_f32 v68, v23, v13 :: v_dual_mul_f32 v13, v22, v13
	s_delay_alu instid0(VALU_DEP_2) | instskip(NEXT) | instid1(VALU_DEP_2)
	v_dual_add_f32 v24, v26, v24 :: v_dual_fmac_f32 v70, v11, v14
	v_dual_add_f32 v8, v8, v10 :: v_dual_fma_f32 v10, v22, v12, -v68
	s_delay_alu instid0(VALU_DEP_3) | instskip(NEXT) | instid1(VALU_DEP_3)
	v_dual_fmac_f32 v13, v23, v12 :: v_dual_mul_f32 v11, v23, v15
	v_dual_add_f32 v26, v51, v70 :: v_dual_mul_f32 v51, v22, v15
	s_delay_alu instid0(VALU_DEP_2) | instskip(SKIP_1) | instid1(VALU_DEP_3)
	v_dual_add_f32 v10, v20, v10 :: v_dual_add_f32 v9, v9, v13
	s_wait_dscnt 0x0
	v_dual_fma_f32 v11, v22, v14, -v11 :: v_dual_mul_f32 v20, v5, v17
	s_delay_alu instid0(VALU_DEP_3) | instskip(SKIP_4) | instid1(VALU_DEP_3)
	v_dual_fmac_f32 v51, v23, v14 :: v_dual_mul_f32 v22, v4, v17
	ds_load_2addr_b64 v[12:15], v79 offset0:96 offset1:112
	v_dual_add_f32 v11, v21, v11 :: v_dual_fma_f32 v20, v4, v16, -v20
	v_dual_mul_f32 v21, v5, v19 :: v_dual_fmac_f32 v22, v5, v16
	v_mul_f32_e32 v23, v4, v19
	v_dual_add_f32 v25, v25, v51 :: v_dual_add_f32 v20, v27, v20
	s_delay_alu instid0(VALU_DEP_3) | instskip(NEXT) | instid1(VALU_DEP_4)
	v_fma_f32 v4, v4, v18, -v21
	v_add_f32_e32 v21, v24, v22
	s_delay_alu instid0(VALU_DEP_4) | instskip(SKIP_1) | instid1(VALU_DEP_4)
	v_fmac_f32_e32 v23, v5, v18
	v_dual_mul_f32 v5, v1, v17 :: v_dual_mul_f32 v17, v0, v17
	v_dual_add_f32 v4, v8, v4 :: v_dual_mul_f32 v8, v1, v19
	s_delay_alu instid0(VALU_DEP_2) | instskip(NEXT) | instid1(VALU_DEP_3)
	v_dual_add_f32 v22, v26, v23 :: v_dual_fma_f32 v5, v0, v16, -v5
	v_dual_fmac_f32 v17, v1, v16 :: v_dual_mul_f32 v23, v0, v19
	s_wait_dscnt 0x0
	s_delay_alu instid0(VALU_DEP_3) | instskip(NEXT) | instid1(VALU_DEP_3)
	v_dual_fma_f32 v0, v0, v18, -v8 :: v_dual_mul_f32 v8, v7, v13
	v_add_f32_e32 v5, v10, v5
	s_delay_alu instid0(VALU_DEP_3) | instskip(NEXT) | instid1(VALU_DEP_3)
	v_add_f32_e32 v24, v9, v17
	v_dual_fmac_f32 v23, v1, v18 :: v_dual_add_f32 v0, v11, v0
	s_delay_alu instid0(VALU_DEP_4)
	v_dual_fma_f32 v1, v6, v12, -v8 :: v_dual_mul_f32 v26, v6, v13
	ds_load_b128 v[8:11], v69 offset:160
	ds_load_2addr_b64 v[16:19], v79 offset0:128 offset1:144
	v_mul_f32_e32 v27, v7, v15
	v_dual_add_f32 v25, v25, v23 :: v_dual_add_f32 v1, v20, v1
	v_dual_fmac_f32 v26, v7, v12 :: v_dual_mul_f32 v23, v6, v15
	s_delay_alu instid0(VALU_DEP_3) | instskip(NEXT) | instid1(VALU_DEP_2)
	v_dual_fma_f32 v6, v6, v14, -v27 :: v_dual_mul_f32 v20, v3, v13
	v_dual_mul_f32 v13, v2, v13 :: v_dual_add_f32 v26, v21, v26
	s_delay_alu instid0(VALU_DEP_3) | instskip(NEXT) | instid1(VALU_DEP_3)
	v_fmac_f32_e32 v23, v7, v14
	v_dual_add_f32 v27, v4, v6 :: v_dual_fma_f32 v4, v2, v12, -v20
	s_delay_alu instid0(VALU_DEP_3) | instskip(NEXT) | instid1(VALU_DEP_3)
	v_dual_mul_f32 v6, v3, v15 :: v_dual_fmac_f32 v13, v3, v12
	v_add_f32_e32 v51, v22, v23
	ds_load_b128 v[20:23], v69 offset:4256
	v_dual_add_f32 v68, v5, v4 :: v_dual_fma_f32 v12, v2, v14, -v6
	s_wait_dscnt 0x1
	v_dual_mul_f32 v2, v2, v15 :: v_dual_mul_f32 v15, v9, v17
	v_mul_f32_e32 v70, v8, v17
	v_add_f32_e32 v24, v24, v13
	s_delay_alu instid0(VALU_DEP_3) | instskip(NEXT) | instid1(VALU_DEP_3)
	v_dual_add_f32 v72, v0, v12 :: v_dual_fmac_f32 v2, v3, v14
	v_dual_fma_f32 v0, v8, v16, -v15 :: v_dual_fmac_f32 v70, v9, v16
	ds_load_2addr_b64 v[12:15], v79 offset0:160 offset1:176
	v_mul_f32_e32 v3, v9, v19
	ds_load_b128 v[4:7], v69 offset:176
	v_dual_add_f32 v25, v25, v2 :: v_dual_mul_f32 v76, v8, v19
	v_dual_add_f32 v74, v1, v0 :: v_dual_add_f32 v26, v26, v70
	v_fma_f32 v8, v8, v18, -v3
	ds_load_b128 v[0:3], v69 offset:4272
	s_wait_dscnt 0x3
	v_mul_f32_e32 v70, v21, v17
	v_dual_fmac_f32 v76, v9, v18 :: v_dual_mul_f32 v9, v20, v17
	v_dual_add_f32 v8, v27, v8 :: v_dual_mul_f32 v17, v21, v19
	s_delay_alu instid0(VALU_DEP_3) | instskip(NEXT) | instid1(VALU_DEP_3)
	v_fma_f32 v27, v20, v16, -v70
	v_dual_add_f32 v51, v51, v76 :: v_dual_mul_f32 v70, v20, v19
	s_delay_alu instid0(VALU_DEP_4) | instskip(NEXT) | instid1(VALU_DEP_4)
	v_fmac_f32_e32 v9, v21, v16
	v_fma_f32 v16, v20, v18, -v17
	s_wait_dscnt 0x2
	v_dual_add_f32 v20, v68, v27 :: v_dual_mul_f32 v17, v11, v13
	s_delay_alu instid0(VALU_DEP_3) | instskip(NEXT) | instid1(VALU_DEP_3)
	v_dual_fmac_f32 v70, v21, v18 :: v_dual_add_f32 v9, v24, v9
	v_dual_add_f32 v21, v72, v16 :: v_dual_mul_f32 v24, v10, v13
	s_delay_alu instid0(VALU_DEP_3) | instskip(SKIP_3) | instid1(VALU_DEP_2)
	v_fma_f32 v27, v10, v12, -v17
	ds_load_2addr_b64 v[16:19], v79 offset0:192 offset1:208
	v_dual_mul_f32 v68, v11, v15 :: v_dual_add_f32 v25, v25, v70
	v_dual_fmac_f32 v24, v11, v12 :: v_dual_add_f32 v27, v74, v27
	v_dual_mul_f32 v70, v10, v15 :: v_dual_fma_f32 v10, v10, v14, -v68
	v_dual_mul_f32 v68, v23, v13 :: v_dual_mul_f32 v13, v22, v13
	s_delay_alu instid0(VALU_DEP_2) | instskip(NEXT) | instid1(VALU_DEP_2)
	v_dual_add_f32 v24, v26, v24 :: v_dual_fmac_f32 v70, v11, v14
	v_dual_add_f32 v8, v8, v10 :: v_dual_fma_f32 v10, v22, v12, -v68
	s_delay_alu instid0(VALU_DEP_3) | instskip(NEXT) | instid1(VALU_DEP_3)
	v_dual_fmac_f32 v13, v23, v12 :: v_dual_mul_f32 v11, v23, v15
	v_dual_add_f32 v26, v51, v70 :: v_dual_mul_f32 v51, v22, v15
	s_delay_alu instid0(VALU_DEP_2) | instskip(SKIP_1) | instid1(VALU_DEP_3)
	v_dual_add_f32 v10, v20, v10 :: v_dual_add_f32 v9, v9, v13
	s_wait_dscnt 0x0
	v_dual_fma_f32 v11, v22, v14, -v11 :: v_dual_mul_f32 v20, v5, v17
	s_delay_alu instid0(VALU_DEP_3) | instskip(SKIP_4) | instid1(VALU_DEP_3)
	v_dual_fmac_f32 v51, v23, v14 :: v_dual_mul_f32 v22, v4, v17
	ds_load_2addr_b64 v[12:15], v79 offset0:224 offset1:240
	v_dual_add_f32 v11, v21, v11 :: v_dual_fma_f32 v20, v4, v16, -v20
	v_dual_mul_f32 v21, v5, v19 :: v_dual_fmac_f32 v22, v5, v16
	v_mul_f32_e32 v23, v4, v19
	v_dual_add_f32 v25, v25, v51 :: v_dual_add_f32 v20, v27, v20
	s_delay_alu instid0(VALU_DEP_3) | instskip(NEXT) | instid1(VALU_DEP_4)
	v_fma_f32 v4, v4, v18, -v21
	v_add_f32_e32 v21, v24, v22
	s_delay_alu instid0(VALU_DEP_4) | instskip(SKIP_1) | instid1(VALU_DEP_4)
	v_fmac_f32_e32 v23, v5, v18
	v_dual_mul_f32 v5, v1, v17 :: v_dual_mul_f32 v17, v0, v17
	v_dual_add_f32 v4, v8, v4 :: v_dual_mul_f32 v8, v1, v19
	s_delay_alu instid0(VALU_DEP_2) | instskip(NEXT) | instid1(VALU_DEP_3)
	v_dual_add_f32 v22, v26, v23 :: v_dual_fma_f32 v5, v0, v16, -v5
	v_dual_fmac_f32 v17, v1, v16 :: v_dual_mul_f32 v23, v0, v19
	s_wait_dscnt 0x0
	s_delay_alu instid0(VALU_DEP_3) | instskip(NEXT) | instid1(VALU_DEP_3)
	v_dual_fma_f32 v0, v0, v18, -v8 :: v_dual_mul_f32 v8, v7, v13
	v_add_f32_e32 v5, v10, v5
	s_delay_alu instid0(VALU_DEP_3) | instskip(NEXT) | instid1(VALU_DEP_3)
	v_add_f32_e32 v24, v9, v17
	v_dual_fmac_f32 v23, v1, v18 :: v_dual_add_f32 v0, v11, v0
	s_delay_alu instid0(VALU_DEP_4)
	v_dual_fma_f32 v1, v6, v12, -v8 :: v_dual_mul_f32 v26, v6, v13
	ds_load_b128 v[8:11], v69 offset:192
	ds_load_2addr_b64 v[16:19], v80 offset1:16
	v_mul_f32_e32 v27, v7, v15
	v_dual_add_f32 v25, v25, v23 :: v_dual_add_f32 v1, v20, v1
	v_dual_fmac_f32 v26, v7, v12 :: v_dual_mul_f32 v23, v6, v15
	s_delay_alu instid0(VALU_DEP_3) | instskip(NEXT) | instid1(VALU_DEP_2)
	v_dual_fma_f32 v6, v6, v14, -v27 :: v_dual_mul_f32 v20, v3, v13
	v_dual_mul_f32 v13, v2, v13 :: v_dual_add_f32 v26, v21, v26
	s_delay_alu instid0(VALU_DEP_3) | instskip(NEXT) | instid1(VALU_DEP_3)
	v_fmac_f32_e32 v23, v7, v14
	v_dual_add_f32 v27, v4, v6 :: v_dual_fma_f32 v4, v2, v12, -v20
	s_delay_alu instid0(VALU_DEP_3) | instskip(NEXT) | instid1(VALU_DEP_3)
	v_dual_mul_f32 v6, v3, v15 :: v_dual_fmac_f32 v13, v3, v12
	v_add_f32_e32 v51, v22, v23
	ds_load_b128 v[20:23], v69 offset:4288
	v_dual_add_f32 v68, v5, v4 :: v_dual_fma_f32 v12, v2, v14, -v6
	s_wait_dscnt 0x1
	v_dual_mul_f32 v2, v2, v15 :: v_dual_mul_f32 v15, v9, v17
	v_mul_f32_e32 v70, v8, v17
	v_add_f32_e32 v24, v24, v13
	s_delay_alu instid0(VALU_DEP_3) | instskip(NEXT) | instid1(VALU_DEP_3)
	v_dual_add_f32 v72, v0, v12 :: v_dual_fmac_f32 v2, v3, v14
	v_dual_fma_f32 v0, v8, v16, -v15 :: v_dual_fmac_f32 v70, v9, v16
	ds_load_2addr_b64 v[12:15], v80 offset0:32 offset1:48
	v_mul_f32_e32 v3, v9, v19
	ds_load_b128 v[4:7], v69 offset:208
	v_dual_add_f32 v25, v25, v2 :: v_dual_mul_f32 v76, v8, v19
	v_dual_add_f32 v74, v1, v0 :: v_dual_add_f32 v26, v26, v70
	v_fma_f32 v8, v8, v18, -v3
	ds_load_b128 v[0:3], v69 offset:4304
	s_wait_dscnt 0x3
	v_mul_f32_e32 v70, v21, v17
	v_dual_fmac_f32 v76, v9, v18 :: v_dual_mul_f32 v9, v20, v17
	v_dual_add_f32 v8, v27, v8 :: v_dual_mul_f32 v17, v21, v19
	s_delay_alu instid0(VALU_DEP_3) | instskip(NEXT) | instid1(VALU_DEP_3)
	v_fma_f32 v27, v20, v16, -v70
	v_dual_add_f32 v51, v51, v76 :: v_dual_mul_f32 v70, v20, v19
	s_delay_alu instid0(VALU_DEP_4) | instskip(NEXT) | instid1(VALU_DEP_4)
	v_fmac_f32_e32 v9, v21, v16
	v_fma_f32 v16, v20, v18, -v17
	s_wait_dscnt 0x2
	v_dual_add_f32 v20, v68, v27 :: v_dual_mul_f32 v17, v11, v13
	s_delay_alu instid0(VALU_DEP_3) | instskip(NEXT) | instid1(VALU_DEP_3)
	v_dual_fmac_f32 v70, v21, v18 :: v_dual_add_f32 v9, v24, v9
	v_dual_add_f32 v21, v72, v16 :: v_dual_mul_f32 v24, v10, v13
	s_delay_alu instid0(VALU_DEP_3) | instskip(SKIP_3) | instid1(VALU_DEP_2)
	v_fma_f32 v27, v10, v12, -v17
	ds_load_2addr_b64 v[16:19], v80 offset0:64 offset1:80
	v_dual_mul_f32 v68, v11, v15 :: v_dual_add_f32 v25, v25, v70
	v_dual_fmac_f32 v24, v11, v12 :: v_dual_add_f32 v27, v74, v27
	v_dual_mul_f32 v70, v10, v15 :: v_dual_fma_f32 v10, v10, v14, -v68
	v_dual_mul_f32 v68, v23, v13 :: v_dual_mul_f32 v13, v22, v13
	s_delay_alu instid0(VALU_DEP_2) | instskip(NEXT) | instid1(VALU_DEP_2)
	v_dual_add_f32 v24, v26, v24 :: v_dual_fmac_f32 v70, v11, v14
	v_dual_add_f32 v8, v8, v10 :: v_dual_fma_f32 v10, v22, v12, -v68
	s_delay_alu instid0(VALU_DEP_3) | instskip(NEXT) | instid1(VALU_DEP_3)
	v_dual_fmac_f32 v13, v23, v12 :: v_dual_mul_f32 v11, v23, v15
	v_dual_add_f32 v26, v51, v70 :: v_dual_mul_f32 v51, v22, v15
	s_delay_alu instid0(VALU_DEP_2) | instskip(SKIP_1) | instid1(VALU_DEP_3)
	v_dual_add_f32 v10, v20, v10 :: v_dual_add_f32 v9, v9, v13
	s_wait_dscnt 0x0
	v_dual_fma_f32 v11, v22, v14, -v11 :: v_dual_mul_f32 v20, v5, v17
	s_delay_alu instid0(VALU_DEP_3) | instskip(SKIP_4) | instid1(VALU_DEP_3)
	v_dual_fmac_f32 v51, v23, v14 :: v_dual_mul_f32 v22, v4, v17
	ds_load_2addr_b64 v[12:15], v80 offset0:96 offset1:112
	v_dual_add_f32 v11, v21, v11 :: v_dual_fma_f32 v20, v4, v16, -v20
	v_dual_mul_f32 v21, v5, v19 :: v_dual_fmac_f32 v22, v5, v16
	v_mul_f32_e32 v23, v4, v19
	v_dual_add_f32 v25, v25, v51 :: v_dual_add_f32 v20, v27, v20
	s_delay_alu instid0(VALU_DEP_3) | instskip(NEXT) | instid1(VALU_DEP_4)
	v_fma_f32 v4, v4, v18, -v21
	v_add_f32_e32 v21, v24, v22
	s_delay_alu instid0(VALU_DEP_4) | instskip(SKIP_1) | instid1(VALU_DEP_4)
	v_fmac_f32_e32 v23, v5, v18
	v_dual_mul_f32 v5, v1, v17 :: v_dual_mul_f32 v17, v0, v17
	v_dual_add_f32 v4, v8, v4 :: v_dual_mul_f32 v8, v1, v19
	s_delay_alu instid0(VALU_DEP_2) | instskip(NEXT) | instid1(VALU_DEP_3)
	v_dual_add_f32 v22, v26, v23 :: v_dual_fma_f32 v5, v0, v16, -v5
	v_dual_fmac_f32 v17, v1, v16 :: v_dual_mul_f32 v23, v0, v19
	s_wait_dscnt 0x0
	s_delay_alu instid0(VALU_DEP_3) | instskip(NEXT) | instid1(VALU_DEP_3)
	v_dual_fma_f32 v0, v0, v18, -v8 :: v_dual_mul_f32 v8, v7, v13
	v_add_f32_e32 v5, v10, v5
	s_delay_alu instid0(VALU_DEP_3) | instskip(NEXT) | instid1(VALU_DEP_3)
	v_add_f32_e32 v24, v9, v17
	v_dual_fmac_f32 v23, v1, v18 :: v_dual_add_f32 v0, v11, v0
	s_delay_alu instid0(VALU_DEP_4)
	v_dual_fma_f32 v1, v6, v12, -v8 :: v_dual_mul_f32 v26, v6, v13
	ds_load_b128 v[8:11], v69 offset:224
	ds_load_2addr_b64 v[16:19], v80 offset0:128 offset1:144
	v_mul_f32_e32 v27, v7, v15
	v_add_f32_e32 v25, v25, v23
	v_dual_mul_f32 v23, v6, v15 :: v_dual_fmac_f32 v26, v7, v12
	s_delay_alu instid0(VALU_DEP_3) | instskip(NEXT) | instid1(VALU_DEP_2)
	v_dual_fma_f32 v6, v6, v14, -v27 :: v_dual_add_f32 v27, v20, v1
	v_dual_mul_f32 v1, v3, v13 :: v_dual_add_f32 v26, v21, v26
	s_delay_alu instid0(VALU_DEP_3) | instskip(NEXT) | instid1(VALU_DEP_2)
	v_dual_fmac_f32 v23, v7, v14 :: v_dual_mul_f32 v13, v2, v13
	v_dual_add_f32 v51, v4, v6 :: v_dual_fma_f32 v1, v2, v12, -v1
	v_mul_f32_e32 v4, v3, v15
	s_delay_alu instid0(VALU_DEP_3)
	v_dual_add_f32 v68, v22, v23 :: v_dual_fmac_f32 v13, v3, v12
	ds_load_b128 v[20:23], v69 offset:4320
	v_dual_add_f32 v70, v5, v1 :: v_dual_mul_f32 v12, v2, v15
	s_wait_dscnt 0x1
	v_dual_fma_f32 v1, v2, v14, -v4 :: v_dual_mul_f32 v2, v9, v17
	v_add_f32_e32 v24, v24, v13
	ds_load_b128 v[4:7], v69 offset:240
	v_dual_fmac_f32 v12, v3, v14 :: v_dual_add_f32 v72, v0, v1
	v_dual_mul_f32 v74, v8, v17 :: v_dual_fma_f32 v13, v8, v16, -v2
	ds_load_2addr_b64 v[0:3], v80 offset0:160 offset1:176
	v_dual_mul_f32 v14, v9, v19 :: v_dual_mul_f32 v76, v8, v19
	v_dual_fmac_f32 v74, v9, v16 :: v_dual_add_f32 v27, v27, v13
	s_delay_alu instid0(VALU_DEP_2) | instskip(NEXT) | instid1(VALU_DEP_3)
	v_dual_add_f32 v25, v25, v12 :: v_dual_fma_f32 v8, v8, v18, -v14
	v_fmac_f32_e32 v76, v9, v18
	s_wait_dscnt 0x2
	s_delay_alu instid0(VALU_DEP_3) | instskip(NEXT) | instid1(VALU_DEP_3)
	v_dual_add_f32 v26, v26, v74 :: v_dual_mul_f32 v81, v21, v17
	v_dual_mul_f32 v9, v20, v17 :: v_dual_add_f32 v8, v51, v8
	v_dual_mul_f32 v51, v21, v19 :: v_dual_mul_f32 v74, v20, v19
	s_delay_alu instid0(VALU_DEP_3) | instskip(SKIP_1) | instid1(VALU_DEP_3)
	v_fma_f32 v17, v20, v16, -v81
	v_add_f32_e32 v68, v68, v76
	v_dual_fmac_f32 v9, v21, v16 :: v_dual_fma_f32 v16, v20, v18, -v51
	s_delay_alu instid0(VALU_DEP_3) | instskip(SKIP_2) | instid1(VALU_DEP_3)
	v_dual_fmac_f32 v74, v21, v18 :: v_dual_add_f32 v70, v70, v17
	s_wait_dscnt 0x0
	v_mul_f32_e32 v17, v11, v1
	v_add_f32_e32 v9, v24, v9
	v_dual_mul_f32 v20, v10, v1 :: v_dual_add_f32 v21, v72, v16
	s_delay_alu instid0(VALU_DEP_3)
	v_dual_mul_f32 v51, v11, v3 :: v_dual_fma_f32 v24, v10, v0, -v17
	ds_load_2addr_b64 v[16:19], v80 offset0:192 offset1:208
	v_dual_fmac_f32 v20, v11, v0 :: v_dual_add_f32 v25, v25, v74
	ds_load_b128 v[12:15], v69 offset:4336
	v_dual_add_f32 v24, v27, v24 :: v_dual_mul_f32 v27, v10, v3
	v_fma_f32 v10, v10, v2, -v51
	v_dual_add_f32 v20, v26, v20 :: v_dual_mul_f32 v26, v23, v1
	s_delay_alu instid0(VALU_DEP_3) | instskip(NEXT) | instid1(VALU_DEP_3)
	v_dual_mul_f32 v1, v22, v1 :: v_dual_fmac_f32 v27, v11, v2
	v_dual_add_f32 v51, v8, v10 :: v_dual_mul_f32 v8, v23, v3
	s_delay_alu instid0(VALU_DEP_2) | instskip(NEXT) | instid1(VALU_DEP_3)
	v_dual_fma_f32 v10, v22, v0, -v26 :: v_dual_fmac_f32 v1, v23, v0
	v_add_f32_e32 v0, v68, v27
	s_delay_alu instid0(VALU_DEP_3) | instskip(NEXT) | instid1(VALU_DEP_3)
	v_dual_mul_f32 v3, v22, v3 :: v_dual_fma_f32 v8, v22, v2, -v8
	v_dual_add_f32 v22, v70, v10 :: v_dual_add_f32 v1, v9, v1
	s_wait_dscnt 0x1
	s_delay_alu instid0(VALU_DEP_2) | instskip(NEXT) | instid1(VALU_DEP_3)
	v_dual_mul_f32 v26, v5, v17 :: v_dual_fmac_f32 v3, v23, v2
	v_add_f32_e32 v2, v21, v8
	ds_load_2addr_b64 v[8:11], v80 offset0:224 offset1:240
	v_dual_mul_f32 v21, v4, v17 :: v_dual_fma_f32 v23, v4, v16, -v26
	v_add_f32_e32 v3, v25, v3
	v_dual_mul_f32 v25, v5, v19 :: v_dual_mul_f32 v26, v4, v19
	s_delay_alu instid0(VALU_DEP_3) | instskip(SKIP_1) | instid1(VALU_DEP_2)
	v_dual_fmac_f32 v21, v5, v16 :: v_dual_add_f32 v23, v24, v23
	s_wait_dscnt 0x1
	v_dual_mul_f32 v24, v13, v17 :: v_dual_fma_f32 v4, v4, v18, -v25
	s_delay_alu instid0(VALU_DEP_2) | instskip(NEXT) | instid1(VALU_DEP_2)
	v_dual_fmac_f32 v26, v5, v18 :: v_dual_add_f32 v20, v20, v21
	v_dual_mul_f32 v5, v12, v17 :: v_dual_fma_f32 v17, v12, v16, -v24
	s_delay_alu instid0(VALU_DEP_3) | instskip(NEXT) | instid1(VALU_DEP_2)
	v_dual_add_f32 v21, v51, v4 :: v_dual_mul_f32 v4, v13, v19
	v_dual_add_f32 v24, v0, v26 :: v_dual_fmac_f32 v5, v13, v16
	s_delay_alu instid0(VALU_DEP_3) | instskip(SKIP_1) | instid1(VALU_DEP_3)
	v_dual_add_f32 v16, v22, v17 :: v_dual_mul_f32 v0, v12, v19
	s_wait_dscnt 0x0
	v_dual_fma_f32 v4, v12, v18, -v4 :: v_dual_mul_f32 v12, v7, v9
	v_mul_f32_e32 v17, v6, v9
	v_add_f32_e32 v1, v1, v5
	s_delay_alu instid0(VALU_DEP_3) | instskip(NEXT) | instid1(VALU_DEP_4)
	v_dual_fmac_f32 v0, v13, v18 :: v_dual_add_f32 v5, v2, v4
	v_dual_fma_f32 v2, v6, v8, -v12 :: v_dual_mul_f32 v12, v7, v11
	s_delay_alu instid0(VALU_DEP_4) | instskip(NEXT) | instid1(VALU_DEP_3)
	v_dual_fmac_f32 v17, v7, v8 :: v_dual_mul_f32 v13, v6, v11
	v_add_f32_e32 v3, v3, v0
	s_delay_alu instid0(VALU_DEP_3) | instskip(NEXT) | instid1(VALU_DEP_4)
	v_add_f32_e32 v2, v23, v2
	v_dual_fma_f32 v0, v6, v10, -v12 :: v_dual_mul_f32 v6, v15, v9
	s_delay_alu instid0(VALU_DEP_4) | instskip(SKIP_1) | instid1(VALU_DEP_3)
	v_dual_fmac_f32 v13, v7, v10 :: v_dual_mul_f32 v7, v14, v9
	v_dual_mul_f32 v9, v15, v11 :: v_dual_mul_f32 v11, v14, v11
	v_add_f32_e32 v0, v21, v0
	s_delay_alu instid0(VALU_DEP_3) | instskip(NEXT) | instid1(VALU_DEP_3)
	v_dual_fma_f32 v6, v14, v8, -v6 :: v_dual_fmac_f32 v7, v15, v8
	v_dual_fma_f32 v8, v14, v10, -v9 :: v_dual_fmac_f32 v11, v15, v10
	v_add_f32_e32 v76, v24, v13
	v_add_f32_e32 v4, v20, v17
	s_delay_alu instid0(VALU_DEP_4) | instskip(NEXT) | instid1(VALU_DEP_4)
	v_dual_add_f32 v72, v16, v6 :: v_dual_add_f32 v74, v1, v7
	v_dual_add_f32 v70, v5, v8 :: v_dual_add_f32 v68, v3, v11
	s_barrier_signal -1
	s_barrier_wait -1
	s_cbranch_scc1 .LBB87_54
.LBB87_10:                              ;   Parent Loop BB87_4 Depth=1
                                        ;     Parent Loop BB87_7 Depth=2
                                        ; =>    This Inner Loop Header: Depth=3
	v_add_nc_u64_e32 v[6:7], s[48:49], v[28:29]
	v_cmp_eq_u64_e64 s7, s[48:49], v[60:61]
	v_add_nc_u64_e32 v[8:9], v[54:55], v[32:33]
	s_delay_alu instid0(VALU_DEP_3) | instskip(SKIP_3) | instid1(SALU_CYCLE_1)
	v_cmp_gt_i64_e64 s5, v[6:7], v[52:53]
	v_cmp_le_i64_e64 s6, s[42:43], v[6:7]
	s_and_b32 s58, s52, s7
	s_or_b32 s7, vcc_lo, s5
	s_or_b32 s7, s7, s58
	s_delay_alu instid0(SALU_CYCLE_1) | instskip(NEXT) | instid1(SALU_CYCLE_1)
	s_nor_b32 s7, s6, s7
	s_and_saveexec_b32 s8, s7
	s_delay_alu instid0(SALU_CYCLE_1)
	s_xor_b32 s7, exec_lo, s8
	s_cbranch_execz .LBB87_12
; %bb.11:                               ;   in Loop: Header=BB87_10 Depth=3
	global_load_b64 v[10:11], v[8:9], off
	s_wait_loadcnt 0x0
	ds_store_b64 v73, v[10:11]
.LBB87_12:                              ;   in Loop: Header=BB87_10 Depth=3
	s_wait_xcnt 0x0
	s_or_saveexec_b32 s7, s7
	s_xor_b32 s57, s58, -1
	s_xor_b32 exec_lo, exec_lo, s7
	s_cbranch_execz .LBB87_18
; %bb.13:                               ;   in Loop: Header=BB87_10 Depth=3
	s_and_saveexec_b32 s8, s57
	s_delay_alu instid0(SALU_CYCLE_1)
	s_xor_b32 s8, exec_lo, s8
; %bb.14:                               ;   in Loop: Header=BB87_10 Depth=3
	ds_store_b64 v73, v[44:45]
; %bb.15:                               ;   in Loop: Header=BB87_10 Depth=3
	s_and_not1_saveexec_b32 s8, s8
; %bb.16:                               ;   in Loop: Header=BB87_10 Depth=3
	ds_store_b64 v73, v[46:47]
; %bb.17:                               ;   in Loop: Header=BB87_10 Depth=3
	s_or_b32 exec_lo, exec_lo, s8
.LBB87_18:                              ;   in Loop: Header=BB87_10 Depth=3
	s_delay_alu instid0(SALU_CYCLE_1) | instskip(SKIP_2) | instid1(VALU_DEP_2)
	s_or_b32 exec_lo, exec_lo, s7
	v_add_nc_u64_e32 v[10:11], 16, v[6:7]
	v_cmp_eq_u64_e64 s8, s[48:49], v[66:67]
	v_cmp_gt_i64_e64 s9, v[10:11], v[52:53]
	v_cmp_le_i64_e64 s7, s[42:43], v[10:11]
	s_and_b32 s59, s52, s8
	s_or_b32 s8, vcc_lo, s9
	s_delay_alu instid0(SALU_CYCLE_1) | instskip(NEXT) | instid1(SALU_CYCLE_1)
	s_or_b32 s8, s8, s59
	s_nor_b32 s8, s7, s8
	s_delay_alu instid0(SALU_CYCLE_1) | instskip(NEXT) | instid1(SALU_CYCLE_1)
	s_and_saveexec_b32 s9, s8
	s_xor_b32 s8, exec_lo, s9
	s_cbranch_execz .LBB87_20
; %bb.19:                               ;   in Loop: Header=BB87_10 Depth=3
	global_load_b64 v[8:9], v[8:9], off offset:128
	s_wait_loadcnt 0x0
	ds_store_b64 v73, v[8:9] offset:128
.LBB87_20:                              ;   in Loop: Header=BB87_10 Depth=3
	s_wait_xcnt 0x0
	s_and_not1_saveexec_b32 s8, s8
	s_cbranch_execz .LBB87_26
; %bb.21:                               ;   in Loop: Header=BB87_10 Depth=3
	s_xor_b32 s9, s59, -1
	s_delay_alu instid0(SALU_CYCLE_1) | instskip(NEXT) | instid1(SALU_CYCLE_1)
	s_and_saveexec_b32 s59, s9
	s_xor_b32 s9, exec_lo, s59
; %bb.22:                               ;   in Loop: Header=BB87_10 Depth=3
	ds_store_b64 v73, v[44:45] offset:128
; %bb.23:                               ;   in Loop: Header=BB87_10 Depth=3
	s_and_not1_saveexec_b32 s9, s9
; %bb.24:                               ;   in Loop: Header=BB87_10 Depth=3
	ds_store_b64 v73, v[46:47] offset:128
; %bb.25:                               ;   in Loop: Header=BB87_10 Depth=3
	s_or_b32 exec_lo, exec_lo, s9
.LBB87_26:                              ;   in Loop: Header=BB87_10 Depth=3
	s_delay_alu instid0(SALU_CYCLE_1)
	s_or_b32 exec_lo, exec_lo, s8
	v_cmp_eq_u64_e64 s8, s[48:49], v[64:65]
	v_cmp_gt_i64_e64 s9, v[6:7], v[58:59]
	v_add_nc_u64_e32 v[6:7], v[56:57], v[32:33]
	s_and_b32 s8, s52, s8
	s_or_b32 s9, s4, s9
	s_delay_alu instid0(SALU_CYCLE_1) | instskip(NEXT) | instid1(SALU_CYCLE_1)
	s_or_b32 s9, s9, s8
	s_nor_b32 s6, s6, s9
	s_delay_alu instid0(SALU_CYCLE_1) | instskip(NEXT) | instid1(SALU_CYCLE_1)
	s_and_saveexec_b32 s9, s6
	s_xor_b32 s6, exec_lo, s9
	s_cbranch_execz .LBB87_28
; %bb.27:                               ;   in Loop: Header=BB87_10 Depth=3
	global_load_b64 v[8:9], v[6:7], off
	s_wait_loadcnt 0x0
	ds_store_b64 v73, v[8:9] offset:4096
.LBB87_28:                              ;   in Loop: Header=BB87_10 Depth=3
	s_wait_xcnt 0x0
	s_and_not1_saveexec_b32 s6, s6
	s_cbranch_execz .LBB87_34
; %bb.29:                               ;   in Loop: Header=BB87_10 Depth=3
	s_xor_b32 s8, s8, -1
	s_delay_alu instid0(SALU_CYCLE_1) | instskip(NEXT) | instid1(SALU_CYCLE_1)
	s_and_saveexec_b32 s9, s8
	s_xor_b32 s8, exec_lo, s9
; %bb.30:                               ;   in Loop: Header=BB87_10 Depth=3
	ds_store_b64 v73, v[44:45] offset:4096
; %bb.31:                               ;   in Loop: Header=BB87_10 Depth=3
	s_and_not1_saveexec_b32 s8, s8
; %bb.32:                               ;   in Loop: Header=BB87_10 Depth=3
	ds_store_b64 v73, v[46:47] offset:4096
; %bb.33:                               ;   in Loop: Header=BB87_10 Depth=3
	s_or_b32 exec_lo, exec_lo, s8
.LBB87_34:                              ;   in Loop: Header=BB87_10 Depth=3
	s_delay_alu instid0(SALU_CYCLE_1) | instskip(SKIP_1) | instid1(SALU_CYCLE_1)
	s_or_b32 exec_lo, exec_lo, s6
	s_or_b32 s5, s4, s5
	s_or_b32 s5, s5, s58
	s_delay_alu instid0(SALU_CYCLE_1) | instskip(NEXT) | instid1(SALU_CYCLE_1)
	s_nor_b32 s5, s7, s5
	s_and_saveexec_b32 s6, s5
	s_delay_alu instid0(SALU_CYCLE_1)
	s_xor_b32 s5, exec_lo, s6
	s_cbranch_execz .LBB87_36
; %bb.35:                               ;   in Loop: Header=BB87_10 Depth=3
	global_load_b64 v[6:7], v[6:7], off offset:128
	s_wait_loadcnt 0x0
	ds_store_b64 v73, v[6:7] offset:4224
.LBB87_36:                              ;   in Loop: Header=BB87_10 Depth=3
	s_wait_xcnt 0x0
	s_and_not1_saveexec_b32 s5, s5
	s_cbranch_execz .LBB87_42
; %bb.37:                               ;   in Loop: Header=BB87_10 Depth=3
	s_and_saveexec_b32 s6, s57
	s_delay_alu instid0(SALU_CYCLE_1)
	s_xor_b32 s6, exec_lo, s6
; %bb.38:                               ;   in Loop: Header=BB87_10 Depth=3
	ds_store_b64 v73, v[44:45] offset:4224
; %bb.39:                               ;   in Loop: Header=BB87_10 Depth=3
	s_and_not1_saveexec_b32 s6, s6
; %bb.40:                               ;   in Loop: Header=BB87_10 Depth=3
	ds_store_b64 v73, v[46:47] offset:4224
; %bb.41:                               ;   in Loop: Header=BB87_10 Depth=3
	s_or_b32 exec_lo, exec_lo, s6
.LBB87_42:                              ;   in Loop: Header=BB87_10 Depth=3
	s_delay_alu instid0(SALU_CYCLE_1) | instskip(SKIP_3) | instid1(VALU_DEP_3)
	s_or_b32 exec_lo, exec_lo, s5
	v_add_nc_u64_e32 v[6:7], s[48:49], v[30:31]
	v_add_nc_u64_e32 v[8:9], v[62:63], v[40:41]
	v_mov_b64_e32 v[10:11], 0
	v_cmp_le_i64_e64 s5, s[42:43], v[6:7]
	s_nor_b32 s7, s5, s0
	s_delay_alu instid0(SALU_CYCLE_1)
	s_and_saveexec_b32 s6, s7
	s_cbranch_execz .LBB87_44
; %bb.43:                               ;   in Loop: Header=BB87_10 Depth=3
	global_load_b64 v[10:11], v[8:9], off offset:-128
.LBB87_44:                              ;   in Loop: Header=BB87_10 Depth=3
	s_wait_xcnt 0x0
	s_or_b32 exec_lo, exec_lo, s6
	s_nor_b32 s5, s5, s1
	s_wait_loadcnt 0x0
	ds_store_b64 v75, v[10:11]
	s_and_saveexec_b32 s6, s5
	s_delay_alu instid0(SALU_CYCLE_1)
	s_xor_b32 s5, exec_lo, s6
	s_cbranch_execz .LBB87_46
; %bb.45:                               ;   in Loop: Header=BB87_10 Depth=3
	global_load_b64 v[8:9], v[8:9], off
	s_wait_loadcnt 0x0
	ds_store_b64 v75, v[8:9] offset:128
.LBB87_46:                              ;   in Loop: Header=BB87_10 Depth=3
	s_wait_xcnt 0x0
	s_and_not1_saveexec_b32 s5, s5
; %bb.47:                               ;   in Loop: Header=BB87_10 Depth=3
	ds_store_b64 v75, v[44:45] offset:128
; %bb.48:                               ;   in Loop: Header=BB87_10 Depth=3
	s_or_b32 exec_lo, exec_lo, s5
	v_cmp_le_i64_e64 s5, s[26:27], v[6:7]
	v_add_nc_u64_e32 v[6:7], v[62:63], v[36:37]
	v_mov_b64_e32 v[8:9], 0
	s_nor_b32 s7, s5, s0
	s_delay_alu instid0(SALU_CYCLE_1)
	s_and_saveexec_b32 s6, s7
	s_cbranch_execz .LBB87_50
; %bb.49:                               ;   in Loop: Header=BB87_10 Depth=3
	global_load_b64 v[8:9], v[6:7], off offset:-128
.LBB87_50:                              ;   in Loop: Header=BB87_10 Depth=3
	s_wait_xcnt 0x0
	s_or_b32 exec_lo, exec_lo, s6
	s_nor_b32 s5, s5, s1
	s_wait_loadcnt 0x0
	ds_store_b64 v75, v[8:9] offset:4096
	s_and_saveexec_b32 s6, s5
	s_delay_alu instid0(SALU_CYCLE_1)
	s_xor_b32 s5, exec_lo, s6
	s_cbranch_execz .LBB87_52
; %bb.51:                               ;   in Loop: Header=BB87_10 Depth=3
	global_load_b64 v[6:7], v[6:7], off
	s_wait_loadcnt 0x0
	ds_store_b64 v75, v[6:7] offset:4224
.LBB87_52:                              ;   in Loop: Header=BB87_10 Depth=3
	s_wait_xcnt 0x0
	s_and_not1_saveexec_b32 s5, s5
	s_cbranch_execz .LBB87_9
; %bb.53:                               ;   in Loop: Header=BB87_10 Depth=3
	ds_store_b64 v75, v[44:45] offset:4224
	s_branch .LBB87_9
.LBB87_54:                              ;   in Loop: Header=BB87_7 Depth=2
	s_delay_alu instid0(VALU_DEP_2) | instskip(SKIP_2) | instid1(VALU_DEP_2)
	v_mul_u64_e32 v[6:7], s[28:29], v[52:53]
	v_cmp_gt_i32_e32 vcc_lo, s38, v52
	s_and_b32 s5, s2, vcc_lo
	v_lshl_add_u64 v[6:7], v[6:7], 3, s[46:47]
	s_and_saveexec_b32 s4, s5
	s_cbranch_execz .LBB87_56
; %bb.55:                               ;   in Loop: Header=BB87_7 Depth=2
	s_delay_alu instid0(VALU_DEP_1) | instskip(SKIP_4) | instid1(VALU_DEP_1)
	v_lshl_add_u64 v[8:9], v[34:35], 3, v[6:7]
	v_mov_b64_e32 v[12:13], s[16:17]
	global_load_b64 v[10:11], v[8:9], off
	v_pk_mul_f32 v[4:5], v[4:5], v[12:13] op_sel_hi:[0,1]
	v_mov_b64_e32 v[12:13], s[40:41]
	v_pk_fma_f32 v[14:15], v[2:3], v[12:13], v[4:5] op_sel_hi:[0,1,1]
	v_pk_fma_f32 v[2:3], v[2:3], v[12:13], v[4:5] neg_lo:[0,0,1] neg_hi:[0,0,1]
	s_delay_alu instid0(VALU_DEP_2) | instskip(SKIP_1) | instid1(VALU_DEP_1)
	v_mov_b32_e32 v3, v15
	s_wait_loadcnt 0x0
	v_pk_add_f32 v[2:3], v[10:11], v[2:3]
	global_store_b64 v[8:9], v[2:3], off
.LBB87_56:                              ;   in Loop: Header=BB87_7 Depth=2
	s_wait_xcnt 0x0
	s_or_b32 exec_lo, exec_lo, s4
	s_and_b32 s5, s3, vcc_lo
	s_delay_alu instid0(SALU_CYCLE_1)
	s_and_saveexec_b32 s4, s5
	s_cbranch_execz .LBB87_58
; %bb.57:                               ;   in Loop: Header=BB87_7 Depth=2
	v_lshl_add_u64 v[2:3], v[38:39], 3, v[6:7]
	v_mov_b64_e32 v[6:7], s[16:17]
	v_mov_b64_e32 v[8:9], s[40:41]
	global_load_b64 v[4:5], v[2:3], off
	v_pk_mul_f32 v[6:7], v[76:77], v[6:7] op_sel_hi:[0,1]
	s_delay_alu instid0(VALU_DEP_1) | instskip(SKIP_1) | instid1(VALU_DEP_2)
	v_pk_fma_f32 v[10:11], v[0:1], v[8:9], v[6:7] op_sel_hi:[0,1,1]
	v_pk_fma_f32 v[0:1], v[0:1], v[8:9], v[6:7] neg_lo:[0,0,1] neg_hi:[0,0,1]
	v_mov_b32_e32 v1, v11
	s_wait_loadcnt 0x0
	s_delay_alu instid0(VALU_DEP_1)
	v_pk_add_f32 v[0:1], v[4:5], v[0:1]
	global_store_b64 v[2:3], v[0:1], off
.LBB87_58:                              ;   in Loop: Header=BB87_7 Depth=2
	s_wait_xcnt 0x0
	s_or_b32 exec_lo, exec_lo, s4
	v_add_nc_u32_e32 v0, 16, v52
	s_delay_alu instid0(VALU_DEP_1) | instskip(SKIP_1) | instid1(VALU_DEP_2)
	v_ashrrev_i32_e32 v1, 31, v0
	v_cmp_gt_i32_e32 vcc_lo, s38, v0
	v_mul_u64_e32 v[2:3], s[28:29], v[0:1]
	s_and_b32 s5, s2, vcc_lo
	s_delay_alu instid0(VALU_DEP_1)
	v_lshl_add_u64 v[0:1], v[2:3], 3, s[46:47]
	s_and_saveexec_b32 s4, s5
	s_cbranch_execz .LBB87_60
; %bb.59:                               ;   in Loop: Header=BB87_7 Depth=2
	s_delay_alu instid0(VALU_DEP_1) | instskip(SKIP_4) | instid1(VALU_DEP_1)
	v_lshl_add_u64 v[2:3], v[34:35], 3, v[0:1]
	v_mov_b64_e32 v[6:7], s[16:17]
	v_mov_b64_e32 v[8:9], s[40:41]
	global_load_b64 v[4:5], v[2:3], off
	v_pk_mul_f32 v[6:7], v[74:75], v[6:7] op_sel_hi:[0,1]
	v_pk_fma_f32 v[10:11], v[72:73], v[8:9], v[6:7] op_sel_hi:[0,1,1]
	v_pk_fma_f32 v[6:7], v[72:73], v[8:9], v[6:7] neg_lo:[0,0,1] neg_hi:[0,0,1]
	s_delay_alu instid0(VALU_DEP_2) | instskip(SKIP_1) | instid1(VALU_DEP_1)
	v_mov_b32_e32 v7, v11
	s_wait_loadcnt 0x0
	v_pk_add_f32 v[4:5], v[4:5], v[6:7]
	global_store_b64 v[2:3], v[4:5], off
.LBB87_60:                              ;   in Loop: Header=BB87_7 Depth=2
	s_wait_xcnt 0x0
	s_or_b32 exec_lo, exec_lo, s4
	s_and_b32 s5, s3, vcc_lo
	s_delay_alu instid0(SALU_CYCLE_1)
	s_and_saveexec_b32 s4, s5
	s_cbranch_execz .LBB87_6
; %bb.61:                               ;   in Loop: Header=BB87_7 Depth=2
	v_lshl_add_u64 v[0:1], v[38:39], 3, v[0:1]
	v_mov_b64_e32 v[4:5], s[16:17]
	v_mov_b64_e32 v[6:7], s[40:41]
	global_load_b64 v[2:3], v[0:1], off
	v_pk_mul_f32 v[4:5], v[68:69], v[4:5] op_sel_hi:[0,1]
	s_delay_alu instid0(VALU_DEP_1) | instskip(SKIP_1) | instid1(VALU_DEP_2)
	v_pk_fma_f32 v[8:9], v[70:71], v[6:7], v[4:5] op_sel_hi:[0,1,1]
	v_pk_fma_f32 v[4:5], v[70:71], v[6:7], v[4:5] neg_lo:[0,0,1] neg_hi:[0,0,1]
	v_mov_b32_e32 v5, v9
	s_wait_loadcnt 0x0
	s_delay_alu instid0(VALU_DEP_1)
	v_pk_add_f32 v[2:3], v[2:3], v[4:5]
	global_store_b64 v[0:1], v[2:3], off
	s_branch .LBB87_6
.LBB87_62:
	s_sendmsg sendmsg(MSG_DEALLOC_VGPRS)
	s_endpgm
	.section	.rodata,"a",@progbits
	.p2align	6, 0x0
	.amdhsa_kernel _ZL30rocblas_trmm_outofplace_kernelI19rocblas_complex_numIfELi32ELi2ELb0ELb1ELb0ELb0ES1_KS1_S1_Ev17rocblas_diagonal_iiT6_lPT7_lllS6_lllPT8_llli
		.amdhsa_group_segment_fixed_size 16384
		.amdhsa_private_segment_fixed_size 0
		.amdhsa_kernarg_size 392
		.amdhsa_user_sgpr_count 2
		.amdhsa_user_sgpr_dispatch_ptr 0
		.amdhsa_user_sgpr_queue_ptr 0
		.amdhsa_user_sgpr_kernarg_segment_ptr 1
		.amdhsa_user_sgpr_dispatch_id 0
		.amdhsa_user_sgpr_kernarg_preload_length 0
		.amdhsa_user_sgpr_kernarg_preload_offset 0
		.amdhsa_user_sgpr_private_segment_size 0
		.amdhsa_wavefront_size32 1
		.amdhsa_uses_dynamic_stack 0
		.amdhsa_enable_private_segment 0
		.amdhsa_system_sgpr_workgroup_id_x 1
		.amdhsa_system_sgpr_workgroup_id_y 1
		.amdhsa_system_sgpr_workgroup_id_z 1
		.amdhsa_system_sgpr_workgroup_info 0
		.amdhsa_system_vgpr_workitem_id 1
		.amdhsa_next_free_vgpr 88
		.amdhsa_next_free_sgpr 60
		.amdhsa_named_barrier_count 0
		.amdhsa_reserve_vcc 1
		.amdhsa_float_round_mode_32 0
		.amdhsa_float_round_mode_16_64 0
		.amdhsa_float_denorm_mode_32 3
		.amdhsa_float_denorm_mode_16_64 3
		.amdhsa_fp16_overflow 0
		.amdhsa_memory_ordered 1
		.amdhsa_forward_progress 1
		.amdhsa_inst_pref_size 59
		.amdhsa_round_robin_scheduling 0
		.amdhsa_exception_fp_ieee_invalid_op 0
		.amdhsa_exception_fp_denorm_src 0
		.amdhsa_exception_fp_ieee_div_zero 0
		.amdhsa_exception_fp_ieee_overflow 0
		.amdhsa_exception_fp_ieee_underflow 0
		.amdhsa_exception_fp_ieee_inexact 0
		.amdhsa_exception_int_div_zero 0
	.end_amdhsa_kernel
	.section	.text._ZL30rocblas_trmm_outofplace_kernelI19rocblas_complex_numIfELi32ELi2ELb0ELb1ELb0ELb0ES1_KS1_S1_Ev17rocblas_diagonal_iiT6_lPT7_lllS6_lllPT8_llli,"axG",@progbits,_ZL30rocblas_trmm_outofplace_kernelI19rocblas_complex_numIfELi32ELi2ELb0ELb1ELb0ELb0ES1_KS1_S1_Ev17rocblas_diagonal_iiT6_lPT7_lllS6_lllPT8_llli,comdat
.Lfunc_end87:
	.size	_ZL30rocblas_trmm_outofplace_kernelI19rocblas_complex_numIfELi32ELi2ELb0ELb1ELb0ELb0ES1_KS1_S1_Ev17rocblas_diagonal_iiT6_lPT7_lllS6_lllPT8_llli, .Lfunc_end87-_ZL30rocblas_trmm_outofplace_kernelI19rocblas_complex_numIfELi32ELi2ELb0ELb1ELb0ELb0ES1_KS1_S1_Ev17rocblas_diagonal_iiT6_lPT7_lllS6_lllPT8_llli
                                        ; -- End function
	.set _ZL30rocblas_trmm_outofplace_kernelI19rocblas_complex_numIfELi32ELi2ELb0ELb1ELb0ELb0ES1_KS1_S1_Ev17rocblas_diagonal_iiT6_lPT7_lllS6_lllPT8_llli.num_vgpr, 88
	.set _ZL30rocblas_trmm_outofplace_kernelI19rocblas_complex_numIfELi32ELi2ELb0ELb1ELb0ELb0ES1_KS1_S1_Ev17rocblas_diagonal_iiT6_lPT7_lllS6_lllPT8_llli.num_agpr, 0
	.set _ZL30rocblas_trmm_outofplace_kernelI19rocblas_complex_numIfELi32ELi2ELb0ELb1ELb0ELb0ES1_KS1_S1_Ev17rocblas_diagonal_iiT6_lPT7_lllS6_lllPT8_llli.numbered_sgpr, 60
	.set _ZL30rocblas_trmm_outofplace_kernelI19rocblas_complex_numIfELi32ELi2ELb0ELb1ELb0ELb0ES1_KS1_S1_Ev17rocblas_diagonal_iiT6_lPT7_lllS6_lllPT8_llli.num_named_barrier, 0
	.set _ZL30rocblas_trmm_outofplace_kernelI19rocblas_complex_numIfELi32ELi2ELb0ELb1ELb0ELb0ES1_KS1_S1_Ev17rocblas_diagonal_iiT6_lPT7_lllS6_lllPT8_llli.private_seg_size, 0
	.set _ZL30rocblas_trmm_outofplace_kernelI19rocblas_complex_numIfELi32ELi2ELb0ELb1ELb0ELb0ES1_KS1_S1_Ev17rocblas_diagonal_iiT6_lPT7_lllS6_lllPT8_llli.uses_vcc, 1
	.set _ZL30rocblas_trmm_outofplace_kernelI19rocblas_complex_numIfELi32ELi2ELb0ELb1ELb0ELb0ES1_KS1_S1_Ev17rocblas_diagonal_iiT6_lPT7_lllS6_lllPT8_llli.uses_flat_scratch, 0
	.set _ZL30rocblas_trmm_outofplace_kernelI19rocblas_complex_numIfELi32ELi2ELb0ELb1ELb0ELb0ES1_KS1_S1_Ev17rocblas_diagonal_iiT6_lPT7_lllS6_lllPT8_llli.has_dyn_sized_stack, 0
	.set _ZL30rocblas_trmm_outofplace_kernelI19rocblas_complex_numIfELi32ELi2ELb0ELb1ELb0ELb0ES1_KS1_S1_Ev17rocblas_diagonal_iiT6_lPT7_lllS6_lllPT8_llli.has_recursion, 0
	.set _ZL30rocblas_trmm_outofplace_kernelI19rocblas_complex_numIfELi32ELi2ELb0ELb1ELb0ELb0ES1_KS1_S1_Ev17rocblas_diagonal_iiT6_lPT7_lllS6_lllPT8_llli.has_indirect_call, 0
	.section	.AMDGPU.csdata,"",@progbits
; Kernel info:
; codeLenInByte = 7456
; TotalNumSgprs: 62
; NumVgprs: 88
; ScratchSize: 0
; MemoryBound: 1
; FloatMode: 240
; IeeeMode: 1
; LDSByteSize: 16384 bytes/workgroup (compile time only)
; SGPRBlocks: 0
; VGPRBlocks: 5
; NumSGPRsForWavesPerEU: 62
; NumVGPRsForWavesPerEU: 88
; NamedBarCnt: 0
; Occupancy: 10
; WaveLimiterHint : 0
; COMPUTE_PGM_RSRC2:SCRATCH_EN: 0
; COMPUTE_PGM_RSRC2:USER_SGPR: 2
; COMPUTE_PGM_RSRC2:TRAP_HANDLER: 0
; COMPUTE_PGM_RSRC2:TGID_X_EN: 1
; COMPUTE_PGM_RSRC2:TGID_Y_EN: 1
; COMPUTE_PGM_RSRC2:TGID_Z_EN: 1
; COMPUTE_PGM_RSRC2:TIDIG_COMP_CNT: 1
	.section	.text._ZL30rocblas_trmm_outofplace_kernelI19rocblas_complex_numIfELi32ELi2ELb0ELb0ELb1ELb0EPKS1_S2_S1_Ev17rocblas_diagonal_iiT6_lPT7_lllS7_lllPT8_llli,"axG",@progbits,_ZL30rocblas_trmm_outofplace_kernelI19rocblas_complex_numIfELi32ELi2ELb0ELb0ELb1ELb0EPKS1_S2_S1_Ev17rocblas_diagonal_iiT6_lPT7_lllS7_lllPT8_llli,comdat
	.globl	_ZL30rocblas_trmm_outofplace_kernelI19rocblas_complex_numIfELi32ELi2ELb0ELb0ELb1ELb0EPKS1_S2_S1_Ev17rocblas_diagonal_iiT6_lPT7_lllS7_lllPT8_llli ; -- Begin function _ZL30rocblas_trmm_outofplace_kernelI19rocblas_complex_numIfELi32ELi2ELb0ELb0ELb1ELb0EPKS1_S2_S1_Ev17rocblas_diagonal_iiT6_lPT7_lllS7_lllPT8_llli
	.p2align	8
	.type	_ZL30rocblas_trmm_outofplace_kernelI19rocblas_complex_numIfELi32ELi2ELb0ELb0ELb1ELb0EPKS1_S2_S1_Ev17rocblas_diagonal_iiT6_lPT7_lllS7_lllPT8_llli,@function
_ZL30rocblas_trmm_outofplace_kernelI19rocblas_complex_numIfELi32ELi2ELb0ELb0ELb1ELb0EPKS1_S2_S1_Ev17rocblas_diagonal_iiT6_lPT7_lllS7_lllPT8_llli: ; @_ZL30rocblas_trmm_outofplace_kernelI19rocblas_complex_numIfELi32ELi2ELb0ELb0ELb1ELb0EPKS1_S2_S1_Ev17rocblas_diagonal_iiT6_lPT7_lllS7_lllPT8_llli
; %bb.0:
	s_load_b32 s33, s[0:1], 0x80
	s_bfe_u32 s2, ttmp6, 0x40014
	s_lshr_b32 s3, ttmp7, 16
	s_add_co_i32 s2, s2, 1
	s_bfe_u32 s5, ttmp6, 0x40008
	s_mul_i32 s4, s3, s2
	s_getreg_b32 s2, hwreg(HW_REG_IB_STS2, 6, 4)
	s_add_co_i32 s5, s5, s4
	s_cmp_eq_u32 s2, 0
	s_mov_b32 s35, 0
	s_cselect_b32 s34, s3, s5
	s_wait_kmcnt 0x0
	s_cmp_ge_u32 s34, s33
	s_cbranch_scc1 .LBB88_63
; %bb.1:
	s_clause 0x3
	s_load_b96 s[36:38], s[0:1], 0x0
	s_load_b512 s[12:27], s[0:1], 0x10
	s_load_b128 s[28:31], s[0:1], 0x70
	s_load_b256 s[4:11], s[0:1], 0x50
	s_bfe_u32 s39, ttmp6, 0x4000c
	s_and_b32 s3, ttmp6, 15
	s_add_co_i32 s39, s39, 1
	s_bfe_u32 s41, ttmp6, 0x40010
	s_mul_i32 s39, ttmp9, s39
	s_and_b32 s40, ttmp7, 0xffff
	s_add_co_i32 s41, s41, 1
	s_add_co_i32 s3, s3, s39
	s_bfe_u32 s42, ttmp6, 0x40004
	s_mul_i32 s41, s40, s41
	v_and_b32_e32 v20, 0x3ff, v0
	s_add_co_i32 s42, s42, s41
	v_mov_b32_e32 v21, 0
	v_bfe_u32 v22, v0, 10, 10
	s_add_nc_u64 s[46:47], s[0:1], 0x88
	v_lshlrev_b32_e32 v8, 3, v20
	s_wait_kmcnt 0x0
	s_add_co_i32 s43, s38, -1
	v_dual_mov_b32 v23, v21 :: v_dual_lshlrev_b32 v0, 3, v22
	s_ashr_i32 s44, s43, 31
	s_lshl_b64 s[10:11], s[10:11], 3
	s_lshr_b32 s39, s44, 27
	s_delay_alu instid0(VALU_DEP_1)
	v_mul_u64_e32 v[2:3], s[4:5], v[22:23]
	s_add_co_i32 s43, s43, s39
	v_mul_u64_e32 v[4:5], s[20:21], v[20:21]
	s_ashr_i32 s39, s43, 5
	s_cmp_eq_u32 s2, 0
	v_or_b32_e32 v77, 0x2000, v8
	s_cselect_b32 s2, ttmp9, s3
	s_cselect_b32 s48, s40, s42
	v_lshl_add_u32 v24, s2, 5, v20
	s_cmp_le_i32 s48, s39
	v_lshlrev_b32_e32 v75, 8, v22
	s_cselect_b32 s49, -1, 0
	s_delay_alu instid0(VALU_DEP_2) | instskip(SKIP_3) | instid1(VALU_DEP_1)
	v_dual_mov_b32 v1, v21 :: v_dual_ashrrev_i32 v25, 31, v24
	s_cmp_eq_u32 s36, 0x84
	s_mov_b32 s2, s37
	s_cselect_b32 s36, -1, 0
	v_add_nc_u64_e32 v[0:1], 0x80, v[0:1]
	s_ashr_i32 s3, s37, 31
	v_add_nc_u32_e32 v28, 16, v24
	v_dual_add_nc_u32 v79, v75, v8 :: v_dual_add_nc_u32 v81, v77, v75
	v_add_nc_u32_e32 v8, 0x80, v8
	v_sub_nc_u64_e32 v[6:7], s[2:3], v[24:25]
	v_mul_u64_e32 v[26:27], s[4:5], v[0:1]
	s_lshl_b64 s[2:3], s[18:19], 3
	s_lshl_b64 s[44:45], s[4:5], 8
	s_add_nc_u64 s[4:5], s[16:17], s[2:3]
	s_add_nc_u64 s[10:11], s[8:9], s[10:11]
	v_mad_nc_u64_u32 v[30:31], s20, v8, s[4:5]
	s_lshl_b64 s[8:9], s[26:27], 3
	v_cmp_gt_i64_e64 s0, 1, v[6:7]
	s_add_nc_u64 s[8:9], s[24:25], s[8:9]
	v_cmp_gt_i64_e64 s1, 17, v[6:7]
	v_lshl_add_u64 v[0:1], v[24:25], 3, s[8:9]
	v_sub_nc_u64_e32 v[32:33], 0, v[20:21]
	v_lshlrev_b64_e32 v[34:35], 3, v[2:3]
	v_mov_b64_e32 v[40:41], 0
	v_mov_b64_e32 v[42:43], 0x3f800000
	v_add_nc_u64_e32 v[36:37], 0x80, v[0:1]
	v_mad_u32 v31, s21, v8, v31
	v_cmp_gt_i32_e64 s2, s37, v24
	v_cmp_gt_i32_e64 s3, s37, v28
	v_ashrrev_i32_e32 v29, 31, v28
	v_lshl_add_u32 v83, s48, 5, v22
	v_lshl_add_u64 v[38:39], v[4:5], 3, s[4:5]
	v_add_nc_u32_e32 v85, 0x800, v77
	v_add_nc_u32_e32 v86, 0x1000, v77
	;; [unrolled: 1-line block ×3, first 2 shown]
	s_ashr_i32 s41, s38, 31
	s_mov_b32 s40, s38
	s_lshl_b64 s[42:43], s[20:21], 8
	s_add_nc_u64 s[16:17], s[40:41], -16
	s_lshl_b64 s[18:19], s[6:7], 3
	s_lshl_b64 s[20:21], s[22:23], 3
	s_branch .LBB88_4
.LBB88_2:                               ;   in Loop: Header=BB88_4 Depth=1
	s_add_co_i32 s34, s34, 0x10000
	s_delay_alu instid0(SALU_CYCLE_1)
	s_cmp_ge_u32 s34, s33
	s_cselect_b32 s4, -1, 0
.LBB88_3:                               ;   in Loop: Header=BB88_4 Depth=1
	s_delay_alu instid0(SALU_CYCLE_1)
	s_and_b32 vcc_lo, exec_lo, s4
	s_cbranch_vccnz .LBB88_63
.LBB88_4:                               ; =>This Loop Header: Depth=1
                                        ;     Child Loop BB88_8 Depth 2
                                        ;       Child Loop BB88_11 Depth 3
	s_mul_u64 s[4:5], s[14:15], s[34:35]
	s_delay_alu instid0(SALU_CYCLE_1) | instskip(NEXT) | instid1(SALU_CYCLE_1)
	s_lshl_b64 s[4:5], s[4:5], 3
	s_add_nc_u64 s[4:5], s[12:13], s[4:5]
	global_load_b64 v[44:45], v21, s[4:5]
	s_wait_xcnt 0x0
	s_mov_b32 s4, -1
	s_wait_loadcnt 0x0
	v_or_b32_e32 v0, v44, v45
	s_delay_alu instid0(VALU_DEP_1) | instskip(NEXT) | instid1(VALU_DEP_1)
	v_and_b32_e32 v0, 0x7fffffff, v0
	v_cmp_eq_u32_e32 vcc_lo, 0, v0
	s_cbranch_vccnz .LBB88_3
; %bb.5:                                ;   in Loop: Header=BB88_4 Depth=1
	s_and_not1_b32 vcc_lo, exec_lo, s49
	s_cbranch_vccnz .LBB88_2
; %bb.6:                                ;   in Loop: Header=BB88_4 Depth=1
	s_load_b32 s26, s[46:47], 0x4
	v_mad_nc_u64_u32 v[46:47], s18, s34, v[36:37]
	v_mad_nc_u64_u32 v[48:49], s20, s34, v[30:31]
	;; [unrolled: 1-line block ×3, first 2 shown]
	s_mul_i32 s6, s21, s34
	s_mul_u64 s[4:5], s[30:31], s[34:35]
	v_dual_mov_b32 v52, v45 :: v_dual_mov_b32 v53, v44
	v_mov_b32_e32 v54, v83
	s_lshl_b64 s[4:5], s[4:5], 3
	s_mov_b32 s37, s48
	s_add_nc_u64 s[22:23], s[10:11], s[4:5]
	v_mad_u32 v47, s19, s34, v47
	s_delay_alu instid0(VALU_DEP_4)
	v_dual_add_nc_u32 v49, s6, v49 :: v_dual_add_nc_u32 v51, s6, v51
	s_wait_kmcnt 0x0
	s_lshl_b32 s27, s26, 5
	s_branch .LBB88_8
.LBB88_7:                               ;   in Loop: Header=BB88_8 Depth=2
	s_wait_xcnt 0x0
	s_or_b32 exec_lo, exec_lo, s4
	v_add_nc_u32_e32 v54, s27, v54
	s_add_co_i32 s37, s26, s37
	s_delay_alu instid0(SALU_CYCLE_1)
	s_cmp_gt_i32 s37, s39
	s_cbranch_scc1 .LBB88_2
.LBB88_8:                               ;   Parent Loop BB88_4 Depth=1
                                        ; =>  This Loop Header: Depth=2
                                        ;       Child Loop BB88_11 Depth 3
	s_lshl_b32 s50, s37, 5
	s_delay_alu instid0(SALU_CYCLE_1) | instskip(SKIP_2) | instid1(VALU_DEP_3)
	v_dual_mov_b32 v80, 0 :: v_dual_add_nc_u32 v56, s50, v22
	v_dual_mov_b32 v84, 0 :: v_dual_mov_b32 v78, 0
	v_dual_mov_b32 v82, 0 :: v_dual_mov_b32 v74, 0
	v_dual_mov_b32 v76, 0 :: v_dual_ashrrev_i32 v57, 31, v56
	v_dual_mov_b32 v18, 0 :: v_dual_mov_b32 v16, 0
	s_cmp_lt_i32 s37, 0
	s_cbranch_scc1 .LBB88_55
; %bb.9:                                ;   in Loop: Header=BB88_8 Depth=2
	v_dual_mov_b32 v16, 0 :: v_dual_ashrrev_i32 v55, 31, v54
	v_add_nc_u64_e32 v[58:59], 16, v[56:57]
	v_mov_b64_e32 v[62:63], v[50:51]
	v_mov_b64_e32 v[64:65], v[48:49]
	s_delay_alu instid0(VALU_DEP_4)
	v_add_nc_u64_e32 v[60:61], v[32:33], v[54:55]
	v_mov_b64_e32 v[66:67], v[46:47]
	v_lshlrev_b64_e32 v[68:69], 3, v[54:55]
	v_dual_mov_b32 v18, 0 :: v_dual_mov_b32 v76, 0
	v_cmp_le_i64_e64 s4, s[40:41], v[58:59]
	v_dual_mov_b32 v74, 0 :: v_dual_mov_b32 v82, 0
	v_add_nc_u64_e32 v[70:71], 16, v[60:61]
	v_add_nc_u64_e32 v[72:73], -16, v[60:61]
	v_dual_mov_b32 v78, 0 :: v_dual_mov_b32 v84, 0
	v_mov_b32_e32 v80, 0
	s_mov_b64 s[24:25], 0
	v_cmp_le_i32_e32 vcc_lo, s38, v56
	s_branch .LBB88_11
.LBB88_10:                              ;   in Loop: Header=BB88_11 Depth=3
	s_or_b32 exec_lo, exec_lo, s5
	s_wait_dscnt 0x0
	s_barrier_signal -1
	s_barrier_wait -1
	ds_load_b128 v[88:91], v75
	ds_load_2addr_b64 v[92:95], v77 offset1:16
	ds_load_b128 v[96:99], v75 offset:4096
	ds_load_b128 v[8:11], v75 offset:16
	;; [unrolled: 1-line block ×4, first 2 shown]
	ds_load_2addr_b64 v[100:103], v77 offset0:32 offset1:48
	ds_load_b128 v[12:15], v75 offset:4112
	v_add_nc_u64_e32 v[66:67], s[44:45], v[66:67]
	v_add_nc_u64_e32 v[64:65], s[42:43], v[64:65]
	;; [unrolled: 1-line block ×3, first 2 shown]
	s_add_nc_u64 s[24:25], s[24:25], 32
	s_delay_alu instid0(SALU_CYCLE_1) | instskip(NEXT) | instid1(SALU_CYCLE_1)
	s_sub_co_i32 s5, s24, 32
	s_cmp_ge_i32 s5, s50
	s_wait_dscnt 0x6
	v_dual_mul_f32 v17, v89, v93 :: v_dual_mul_f32 v19, v88, v93
	v_dual_mul_f32 v55, v89, v95 :: v_dual_mul_f32 v104, v88, v95
	s_wait_dscnt 0x5
	v_dual_mul_f32 v105, v97, v93 :: v_dual_mul_f32 v93, v96, v93
	v_dual_mul_f32 v106, v97, v95 :: v_dual_mul_f32 v107, v96, v95
	v_dual_fma_f32 v17, v88, v92, -v17 :: v_dual_fmac_f32 v19, v89, v92
	v_dual_fma_f32 v55, v88, v94, -v55 :: v_dual_fmac_f32 v104, v89, v94
	s_delay_alu instid0(VALU_DEP_3) | instskip(NEXT) | instid1(VALU_DEP_3)
	v_dual_fma_f32 v88, v96, v92, -v105 :: v_dual_fma_f32 v89, v96, v94, -v106
	v_dual_fmac_f32 v93, v97, v92 :: v_dual_add_f32 v17, v80, v17
	s_delay_alu instid0(VALU_DEP_3) | instskip(SKIP_1) | instid1(VALU_DEP_3)
	v_add_f32_e32 v55, v78, v55
	s_wait_dscnt 0x1
	v_dual_add_f32 v74, v74, v88 :: v_dual_mul_f32 v80, v91, v101
	s_delay_alu instid0(VALU_DEP_3)
	v_dual_add_f32 v76, v76, v93 :: v_dual_fmac_f32 v107, v97, v94
	v_add_f32_e32 v18, v18, v89
	ds_load_2addr_b64 v[92:95], v77 offset0:64 offset1:80
	v_dual_add_f32 v19, v84, v19 :: v_dual_add_f32 v78, v82, v104
	v_dual_mul_f32 v82, v90, v101 :: v_dual_fma_f32 v80, v90, v100, -v80
	v_mul_f32_e32 v84, v91, v103
	v_add_f32_e32 v88, v16, v107
	s_delay_alu instid0(VALU_DEP_3) | instskip(NEXT) | instid1(VALU_DEP_4)
	v_dual_mul_f32 v89, v98, v103 :: v_dual_fmac_f32 v82, v91, v100
	v_dual_mul_f32 v16, v90, v103 :: v_dual_add_f32 v80, v17, v80
	s_delay_alu instid0(VALU_DEP_4) | instskip(NEXT) | instid1(VALU_DEP_3)
	v_dual_fma_f32 v17, v90, v102, -v84 :: v_dual_mul_f32 v84, v99, v101
	v_add_f32_e32 v82, v19, v82
	s_delay_alu instid0(VALU_DEP_3) | instskip(NEXT) | instid1(VALU_DEP_3)
	v_dual_fmac_f32 v16, v91, v102 :: v_dual_mul_f32 v19, v98, v101
	v_dual_add_f32 v55, v55, v17 :: v_dual_fma_f32 v17, v98, v100, -v84
	s_delay_alu instid0(VALU_DEP_2) | instskip(NEXT) | instid1(VALU_DEP_3)
	v_dual_mul_f32 v84, v99, v103 :: v_dual_add_f32 v78, v78, v16
	v_dual_fmac_f32 v19, v99, v100 :: v_dual_fmac_f32 v89, v99, v102
	s_delay_alu instid0(VALU_DEP_3) | instskip(SKIP_1) | instid1(VALU_DEP_3)
	v_add_f32_e32 v74, v74, v17
	s_wait_dscnt 0x0
	v_dual_fma_f32 v16, v98, v102, -v84 :: v_dual_mul_f32 v17, v9, v93
	s_delay_alu instid0(VALU_DEP_3) | instskip(SKIP_1) | instid1(VALU_DEP_3)
	v_add_f32_e32 v76, v76, v19
	v_dual_mul_f32 v84, v8, v93 :: v_dual_mul_f32 v96, v9, v95
	v_add_f32_e32 v90, v18, v16
	s_delay_alu instid0(VALU_DEP_4) | instskip(SKIP_3) | instid1(VALU_DEP_2)
	v_fma_f32 v91, v8, v92, -v17
	ds_load_2addr_b64 v[16:19], v77 offset0:96 offset1:112
	v_dual_fmac_f32 v84, v9, v92 :: v_dual_add_f32 v97, v88, v89
	v_dual_mul_f32 v88, v8, v95 :: v_dual_fma_f32 v8, v8, v94, -v96
	v_dual_add_f32 v80, v80, v91 :: v_dual_add_f32 v82, v82, v84
	v_dual_mul_f32 v84, v13, v93 :: v_dual_mul_f32 v89, v12, v93
	s_delay_alu instid0(VALU_DEP_3) | instskip(NEXT) | instid1(VALU_DEP_2)
	v_dual_fmac_f32 v88, v9, v94 :: v_dual_add_f32 v8, v55, v8
	v_dual_mul_f32 v9, v13, v95 :: v_dual_fma_f32 v55, v12, v92, -v84
	s_delay_alu instid0(VALU_DEP_3) | instskip(NEXT) | instid1(VALU_DEP_2)
	v_dual_fmac_f32 v89, v13, v92 :: v_dual_mul_f32 v84, v12, v95
	v_dual_add_f32 v78, v78, v88 :: v_dual_fma_f32 v9, v12, v94, -v9
	s_delay_alu instid0(VALU_DEP_2) | instskip(SKIP_1) | instid1(VALU_DEP_3)
	v_dual_add_f32 v12, v74, v55 :: v_dual_add_f32 v55, v76, v89
	s_wait_dscnt 0x0
	v_dual_fmac_f32 v84, v13, v94 :: v_dual_mul_f32 v13, v11, v17
	v_mul_f32_e32 v74, v10, v17
	v_dual_add_f32 v9, v90, v9 :: v_dual_mul_f32 v76, v11, v19
	ds_load_2addr_b64 v[88:91], v77 offset0:128 offset1:144
	v_dual_fma_f32 v13, v10, v16, -v13 :: v_dual_mul_f32 v92, v10, v19
	v_dual_add_f32 v84, v97, v84 :: v_dual_fma_f32 v10, v10, v18, -v76
	s_delay_alu instid0(VALU_DEP_2) | instskip(SKIP_1) | instid1(VALU_DEP_4)
	v_dual_fmac_f32 v74, v11, v16 :: v_dual_add_f32 v76, v80, v13
	v_mul_f32_e32 v13, v15, v17
	v_fmac_f32_e32 v92, v11, v18
	s_delay_alu instid0(VALU_DEP_3) | instskip(NEXT) | instid1(VALU_DEP_3)
	v_add_f32_e32 v11, v82, v74
	v_dual_add_f32 v74, v8, v10 :: v_dual_fma_f32 v10, v14, v16, -v13
	v_mul_f32_e32 v8, v14, v17
	s_delay_alu instid0(VALU_DEP_4) | instskip(SKIP_4) | instid1(VALU_DEP_2)
	v_dual_add_f32 v17, v78, v92 :: v_dual_mul_f32 v13, v15, v19
	ds_load_b128 v[92:95], v75 offset:4128
	v_dual_fmac_f32 v8, v15, v16 :: v_dual_add_f32 v16, v12, v10
	v_dual_mul_f32 v10, v14, v19 :: v_dual_fma_f32 v12, v14, v18, -v13
	s_wait_dscnt 0x1
	v_dual_mul_f32 v13, v5, v89 :: v_dual_add_f32 v19, v55, v8
	s_delay_alu instid0(VALU_DEP_2) | instskip(NEXT) | instid1(VALU_DEP_3)
	v_dual_mul_f32 v8, v4, v89 :: v_dual_fmac_f32 v10, v15, v18
	v_add_f32_e32 v18, v9, v12
	s_delay_alu instid0(VALU_DEP_3) | instskip(SKIP_4) | instid1(VALU_DEP_3)
	v_fma_f32 v9, v4, v88, -v13
	ds_load_2addr_b64 v[12:15], v77 offset0:160 offset1:176
	v_dual_fmac_f32 v8, v5, v88 :: v_dual_mul_f32 v55, v5, v91
	v_add_f32_e32 v78, v84, v10
	v_add_f32_e32 v76, v76, v9
	v_dual_mul_f32 v80, v4, v91 :: v_dual_add_f32 v82, v11, v8
	ds_load_b128 v[8:11], v75 offset:4144
	s_wait_dscnt 0x2
	v_dual_fma_f32 v4, v4, v90, -v55 :: v_dual_mul_f32 v55, v93, v89
	v_dual_fmac_f32 v80, v5, v90 :: v_dual_mul_f32 v5, v92, v89
	s_delay_alu instid0(VALU_DEP_2) | instskip(NEXT) | instid1(VALU_DEP_2)
	v_dual_add_f32 v4, v74, v4 :: v_dual_mul_f32 v74, v93, v91
	v_dual_fma_f32 v55, v92, v88, -v55 :: v_dual_fmac_f32 v5, v93, v88
	s_delay_alu instid0(VALU_DEP_3) | instskip(NEXT) | instid1(VALU_DEP_3)
	v_dual_add_f32 v17, v17, v80 :: v_dual_mul_f32 v80, v92, v91
	v_fma_f32 v74, v92, v90, -v74
	s_delay_alu instid0(VALU_DEP_3) | instskip(SKIP_1) | instid1(VALU_DEP_3)
	v_dual_add_f32 v16, v16, v55 :: v_dual_add_f32 v5, v19, v5
	s_wait_dscnt 0x1
	v_dual_mul_f32 v55, v7, v13 :: v_dual_fmac_f32 v80, v93, v90
	s_delay_alu instid0(VALU_DEP_3) | instskip(SKIP_4) | instid1(VALU_DEP_2)
	v_add_f32_e32 v74, v18, v74
	v_mul_f32_e32 v18, v6, v13
	ds_load_2addr_b64 v[88:91], v77 offset0:192 offset1:208
	v_dual_fma_f32 v19, v6, v12, -v55 :: v_dual_mul_f32 v55, v7, v15
	v_fmac_f32_e32 v18, v7, v12
	v_dual_add_f32 v78, v78, v80 :: v_dual_add_f32 v76, v76, v19
	s_delay_alu instid0(VALU_DEP_3) | instskip(SKIP_1) | instid1(VALU_DEP_4)
	v_dual_mul_f32 v19, v6, v15 :: v_dual_fma_f32 v6, v6, v14, -v55
	v_dual_mul_f32 v55, v95, v13 :: v_dual_mul_f32 v13, v94, v13
	v_add_f32_e32 v80, v82, v18
	s_delay_alu instid0(VALU_DEP_3) | instskip(NEXT) | instid1(VALU_DEP_3)
	v_fmac_f32_e32 v19, v7, v14
	v_dual_add_f32 v4, v4, v6 :: v_dual_fma_f32 v6, v94, v12, -v55
	s_delay_alu instid0(VALU_DEP_4) | instskip(NEXT) | instid1(VALU_DEP_2)
	v_dual_fmac_f32 v13, v95, v12 :: v_dual_mul_f32 v7, v95, v15
	v_dual_mul_f32 v15, v94, v15 :: v_dual_add_f32 v6, v16, v6
	s_delay_alu instid0(VALU_DEP_2)
	v_dual_add_f32 v12, v17, v19 :: v_dual_fma_f32 v7, v94, v14, -v7
	ds_load_2addr_b64 v[16:19], v77 offset0:224 offset1:240
	v_dual_add_f32 v5, v5, v13 :: v_dual_fmac_f32 v15, v95, v14
	s_wait_dscnt 0x1
	v_dual_mul_f32 v13, v1, v89 :: v_dual_mul_f32 v14, v0, v89
	v_mul_f32_e32 v55, v1, v91
	s_delay_alu instid0(VALU_DEP_2) | instskip(NEXT) | instid1(VALU_DEP_3)
	v_dual_add_f32 v7, v74, v7 :: v_dual_fma_f32 v13, v0, v88, -v13
	v_dual_fmac_f32 v14, v1, v88 :: v_dual_mul_f32 v74, v0, v91
	s_delay_alu instid0(VALU_DEP_3) | instskip(NEXT) | instid1(VALU_DEP_3)
	v_dual_fma_f32 v0, v0, v90, -v55 :: v_dual_add_f32 v78, v78, v15
	v_add_f32_e32 v76, v76, v13
	s_delay_alu instid0(VALU_DEP_3) | instskip(NEXT) | instid1(VALU_DEP_4)
	v_add_f32_e32 v55, v80, v14
	v_dual_fmac_f32 v74, v1, v90 :: v_dual_mul_f32 v13, v8, v89
	s_delay_alu instid0(VALU_DEP_4) | instskip(NEXT) | instid1(VALU_DEP_2)
	v_dual_mul_f32 v1, v9, v89 :: v_dual_add_f32 v0, v4, v0
	v_dual_mul_f32 v4, v9, v91 :: v_dual_add_f32 v74, v12, v74
	s_delay_alu instid0(VALU_DEP_3) | instskip(NEXT) | instid1(VALU_DEP_3)
	v_fmac_f32_e32 v13, v9, v88
	v_dual_fma_f32 v1, v8, v88, -v1 :: v_dual_mul_f32 v80, v8, v91
	s_wait_dscnt 0x0
	s_delay_alu instid0(VALU_DEP_3) | instskip(NEXT) | instid1(VALU_DEP_3)
	v_dual_fma_f32 v4, v8, v90, -v4 :: v_dual_mul_f32 v8, v3, v17
	v_add_f32_e32 v82, v5, v13
	s_delay_alu instid0(VALU_DEP_3) | instskip(NEXT) | instid1(VALU_DEP_3)
	v_dual_add_f32 v1, v6, v1 :: v_dual_fmac_f32 v80, v9, v90
	v_add_f32_e32 v9, v7, v4
	s_delay_alu instid0(VALU_DEP_4) | instskip(NEXT) | instid1(VALU_DEP_3)
	v_dual_fma_f32 v4, v2, v16, -v8 :: v_dual_mul_f32 v5, v2, v17
	v_dual_mul_f32 v6, v3, v19 :: v_dual_add_f32 v78, v78, v80
	ds_load_b128 v[12:15], v75 offset:64
	ds_load_2addr_b64 v[88:91], v85 offset1:16
	v_dual_mul_f32 v7, v2, v19 :: v_dual_fmac_f32 v5, v3, v16
	v_dual_add_f32 v76, v76, v4 :: v_dual_fma_f32 v2, v2, v18, -v6
	v_mul_f32_e32 v4, v11, v17
	s_delay_alu instid0(VALU_DEP_3) | instskip(NEXT) | instid1(VALU_DEP_4)
	v_fmac_f32_e32 v7, v3, v18
	v_add_f32_e32 v55, v55, v5
	s_delay_alu instid0(VALU_DEP_4) | instskip(NEXT) | instid1(VALU_DEP_4)
	v_dual_mul_f32 v3, v10, v17 :: v_dual_add_f32 v17, v0, v2
	v_dual_fma_f32 v0, v10, v16, -v4 :: v_dual_mul_f32 v2, v11, v19
	ds_load_b128 v[92:95], v75 offset:4160
	v_dual_add_f32 v74, v74, v7 :: v_dual_fmac_f32 v3, v11, v16
	v_dual_add_f32 v16, v1, v0 :: v_dual_fma_f32 v0, v10, v18, -v2
	v_mul_f32_e32 v1, v10, v19
	ds_load_b128 v[4:7], v75 offset:80
	s_wait_dscnt 0x2
	v_dual_add_f32 v19, v82, v3 :: v_dual_mul_f32 v2, v13, v89
	v_dual_mul_f32 v3, v12, v89 :: v_dual_fmac_f32 v1, v11, v18
	v_add_f32_e32 v18, v9, v0
	ds_load_2addr_b64 v[8:11], v85 offset0:32 offset1:48
	v_dual_fma_f32 v0, v12, v88, -v2 :: v_dual_fmac_f32 v3, v13, v88
	v_dual_mul_f32 v2, v13, v91 :: v_dual_add_f32 v78, v78, v1
	s_delay_alu instid0(VALU_DEP_2) | instskip(NEXT) | instid1(VALU_DEP_2)
	v_add_f32_e32 v76, v76, v0
	v_dual_mul_f32 v80, v12, v91 :: v_dual_fma_f32 v12, v12, v90, -v2
	s_wait_dscnt 0x2
	v_dual_add_f32 v55, v55, v3 :: v_dual_mul_f32 v82, v93, v89
	ds_load_b128 v[0:3], v75 offset:4176
	v_dual_fmac_f32 v80, v13, v90 :: v_dual_mul_f32 v13, v92, v89
	v_add_f32_e32 v12, v17, v12
	v_dual_mul_f32 v17, v93, v91 :: v_dual_fma_f32 v82, v92, v88, -v82
	s_delay_alu instid0(VALU_DEP_3) | instskip(NEXT) | instid1(VALU_DEP_4)
	v_add_f32_e32 v74, v74, v80
	v_dual_fmac_f32 v13, v93, v88 :: v_dual_mul_f32 v80, v92, v91
	s_delay_alu instid0(VALU_DEP_3) | instskip(SKIP_2) | instid1(VALU_DEP_3)
	v_fma_f32 v17, v92, v90, -v17
	s_wait_dscnt 0x1
	v_dual_add_f32 v82, v16, v82 :: v_dual_mul_f32 v16, v15, v9
	v_dual_mul_f32 v88, v14, v9 :: v_dual_fmac_f32 v80, v93, v90
	v_add_f32_e32 v13, v19, v13
	v_dual_add_f32 v84, v18, v17 :: v_dual_mul_f32 v90, v15, v11
	s_delay_alu instid0(VALU_DEP_4)
	v_fma_f32 v89, v14, v8, -v16
	ds_load_2addr_b64 v[16:19], v85 offset0:64 offset1:80
	v_add_f32_e32 v78, v78, v80
	v_dual_mul_f32 v80, v14, v11 :: v_dual_fmac_f32 v88, v15, v8
	v_dual_fma_f32 v14, v14, v10, -v90 :: v_dual_add_f32 v76, v76, v89
	v_dual_mul_f32 v89, v95, v9 :: v_dual_mul_f32 v9, v94, v9
	s_delay_alu instid0(VALU_DEP_2) | instskip(NEXT) | instid1(VALU_DEP_2)
	v_dual_add_f32 v55, v55, v88 :: v_dual_add_f32 v88, v12, v14
	v_dual_fmac_f32 v80, v15, v10 :: v_dual_fma_f32 v12, v94, v8, -v89
	s_delay_alu instid0(VALU_DEP_3) | instskip(SKIP_1) | instid1(VALU_DEP_3)
	v_dual_fmac_f32 v9, v95, v8 :: v_dual_mul_f32 v8, v95, v11
	v_mul_f32_e32 v11, v94, v11
	v_add_f32_e32 v74, v74, v80
	s_delay_alu instid0(VALU_DEP_3) | instskip(NEXT) | instid1(VALU_DEP_4)
	v_dual_add_f32 v80, v82, v12 :: v_dual_add_f32 v9, v13, v9
	v_fma_f32 v8, v94, v10, -v8
	ds_load_2addr_b64 v[12:15], v85 offset0:96 offset1:112
	s_wait_dscnt 0x1
	v_dual_mul_f32 v82, v5, v17 :: v_dual_fmac_f32 v11, v95, v10
	v_mul_f32_e32 v10, v4, v17
	v_dual_add_f32 v8, v84, v8 :: v_dual_mul_f32 v84, v5, v19
	s_delay_alu instid0(VALU_DEP_3) | instskip(NEXT) | instid1(VALU_DEP_3)
	v_dual_fma_f32 v82, v4, v16, -v82 :: v_dual_mul_f32 v89, v4, v19
	v_dual_fmac_f32 v10, v5, v16 :: v_dual_add_f32 v78, v78, v11
	s_delay_alu instid0(VALU_DEP_3) | instskip(NEXT) | instid1(VALU_DEP_3)
	v_fma_f32 v4, v4, v18, -v84
	v_add_f32_e32 v76, v76, v82
	s_delay_alu instid0(VALU_DEP_4) | instskip(NEXT) | instid1(VALU_DEP_4)
	v_fmac_f32_e32 v89, v5, v18
	v_dual_add_f32 v55, v55, v10 :: v_dual_mul_f32 v10, v0, v17
	s_delay_alu instid0(VALU_DEP_4) | instskip(NEXT) | instid1(VALU_DEP_3)
	v_dual_mul_f32 v5, v1, v17 :: v_dual_add_f32 v4, v88, v4
	v_dual_mul_f32 v11, v1, v19 :: v_dual_add_f32 v74, v74, v89
	s_delay_alu instid0(VALU_DEP_3) | instskip(NEXT) | instid1(VALU_DEP_2)
	v_dual_fmac_f32 v10, v1, v16 :: v_dual_mul_f32 v82, v0, v19
	v_dual_fma_f32 v5, v0, v16, -v5 :: v_dual_fma_f32 v0, v0, v18, -v11
	s_wait_dscnt 0x0
	v_dual_mul_f32 v11, v7, v13 :: v_dual_mul_f32 v84, v6, v13
	s_delay_alu instid0(VALU_DEP_2) | instskip(NEXT) | instid1(VALU_DEP_3)
	v_dual_fmac_f32 v82, v1, v18 :: v_dual_add_f32 v5, v80, v5
	v_dual_add_f32 v80, v9, v10 :: v_dual_add_f32 v0, v8, v0
	s_delay_alu instid0(VALU_DEP_3) | instskip(SKIP_4) | instid1(VALU_DEP_2)
	v_fma_f32 v1, v6, v12, -v11
	ds_load_b128 v[8:11], v75 offset:96
	ds_load_2addr_b64 v[16:19], v85 offset0:128 offset1:144
	v_dual_mul_f32 v88, v7, v15 :: v_dual_add_f32 v78, v78, v82
	v_dual_fmac_f32 v84, v7, v12 :: v_dual_mul_f32 v82, v6, v15
	v_dual_add_f32 v1, v76, v1 :: v_dual_fma_f32 v6, v6, v14, -v88
	v_dual_mul_f32 v76, v3, v13 :: v_dual_mul_f32 v13, v2, v13
	s_delay_alu instid0(VALU_DEP_3) | instskip(NEXT) | instid1(VALU_DEP_4)
	v_add_f32_e32 v55, v55, v84
	v_fmac_f32_e32 v82, v7, v14
	s_delay_alu instid0(VALU_DEP_3)
	v_dual_add_f32 v84, v4, v6 :: v_dual_fma_f32 v4, v2, v12, -v76
	v_mul_f32_e32 v6, v3, v15
	ds_load_b128 v[88:91], v75 offset:4192
	v_dual_add_f32 v74, v74, v82 :: v_dual_fmac_f32 v13, v3, v12
	v_dual_add_f32 v76, v5, v4 :: v_dual_fma_f32 v12, v2, v14, -v6
	s_wait_dscnt 0x1
	v_dual_mul_f32 v2, v2, v15 :: v_dual_mul_f32 v15, v9, v17
	v_mul_f32_e32 v82, v8, v17
	v_add_f32_e32 v80, v80, v13
	s_delay_alu instid0(VALU_DEP_3) | instskip(NEXT) | instid1(VALU_DEP_3)
	v_dual_add_f32 v92, v0, v12 :: v_dual_fmac_f32 v2, v3, v14
	v_dual_fma_f32 v0, v8, v16, -v15 :: v_dual_fmac_f32 v82, v9, v16
	ds_load_2addr_b64 v[12:15], v85 offset0:160 offset1:176
	v_mul_f32_e32 v3, v9, v19
	ds_load_b128 v[4:7], v75 offset:112
	v_dual_mul_f32 v94, v8, v19 :: v_dual_add_f32 v55, v55, v82
	v_dual_add_f32 v78, v78, v2 :: v_dual_add_f32 v93, v1, v0
	s_wait_dscnt 0x2
	v_dual_fma_f32 v8, v8, v18, -v3 :: v_dual_mul_f32 v82, v89, v17
	s_delay_alu instid0(VALU_DEP_3) | instskip(NEXT) | instid1(VALU_DEP_2)
	v_dual_fmac_f32 v94, v9, v18 :: v_dual_mul_f32 v9, v88, v17
	v_dual_mul_f32 v17, v89, v19 :: v_dual_add_f32 v8, v84, v8
	s_delay_alu instid0(VALU_DEP_2) | instskip(NEXT) | instid1(VALU_DEP_3)
	v_dual_fma_f32 v82, v88, v16, -v82 :: v_dual_add_f32 v74, v74, v94
	v_dual_fmac_f32 v9, v89, v16 :: v_dual_mul_f32 v84, v88, v19
	s_delay_alu instid0(VALU_DEP_3) | instskip(NEXT) | instid1(VALU_DEP_3)
	v_fma_f32 v16, v88, v18, -v17
	v_add_f32_e32 v76, v76, v82
	ds_load_b128 v[0:3], v75 offset:4208
	s_wait_dscnt 0x2
	v_mul_f32_e32 v17, v11, v13
	v_dual_add_f32 v9, v80, v9 :: v_dual_fmac_f32 v84, v89, v18
	v_dual_add_f32 v80, v92, v16 :: v_dual_mul_f32 v89, v11, v15
	s_delay_alu instid0(VALU_DEP_3)
	v_dual_mul_f32 v82, v10, v13 :: v_dual_fma_f32 v88, v10, v12, -v17
	ds_load_2addr_b64 v[16:19], v85 offset0:192 offset1:208
	v_add_f32_e32 v78, v78, v84
	v_fmac_f32_e32 v82, v11, v12
	v_dual_add_f32 v84, v93, v88 :: v_dual_mul_f32 v88, v10, v15
	v_dual_fma_f32 v10, v10, v14, -v89 :: v_dual_mul_f32 v89, v91, v13
	s_delay_alu instid0(VALU_DEP_3) | instskip(NEXT) | instid1(VALU_DEP_3)
	v_dual_mul_f32 v13, v90, v13 :: v_dual_add_f32 v55, v55, v82
	v_fmac_f32_e32 v88, v11, v14
	s_delay_alu instid0(VALU_DEP_3) | instskip(NEXT) | instid1(VALU_DEP_3)
	v_dual_add_f32 v8, v8, v10 :: v_dual_fma_f32 v10, v90, v12, -v89
	v_dual_fmac_f32 v13, v91, v12 :: v_dual_mul_f32 v11, v91, v15
	v_mul_f32_e32 v82, v90, v15
	s_delay_alu instid0(VALU_DEP_3) | instskip(NEXT) | instid1(VALU_DEP_3)
	v_dual_add_f32 v74, v74, v88 :: v_dual_add_f32 v10, v76, v10
	v_dual_add_f32 v9, v9, v13 :: v_dual_fma_f32 v11, v90, v14, -v11
	s_wait_dscnt 0x0
	s_delay_alu instid0(VALU_DEP_3)
	v_dual_mul_f32 v76, v5, v17 :: v_dual_fmac_f32 v82, v91, v14
	v_mul_f32_e32 v88, v4, v17
	ds_load_2addr_b64 v[12:15], v85 offset0:224 offset1:240
	v_add_f32_e32 v11, v80, v11
	v_dual_fma_f32 v76, v4, v16, -v76 :: v_dual_mul_f32 v80, v5, v19
	v_dual_fmac_f32 v88, v5, v16 :: v_dual_mul_f32 v89, v4, v19
	s_delay_alu instid0(VALU_DEP_2) | instskip(NEXT) | instid1(VALU_DEP_2)
	v_dual_add_f32 v78, v78, v82 :: v_dual_add_f32 v76, v84, v76
	v_dual_fma_f32 v4, v4, v18, -v80 :: v_dual_add_f32 v55, v55, v88
	s_delay_alu instid0(VALU_DEP_3) | instskip(SKIP_1) | instid1(VALU_DEP_3)
	v_fmac_f32_e32 v89, v5, v18
	v_dual_mul_f32 v5, v1, v17 :: v_dual_mul_f32 v17, v0, v17
	v_dual_add_f32 v4, v8, v4 :: v_dual_mul_f32 v8, v1, v19
	s_delay_alu instid0(VALU_DEP_2) | instskip(NEXT) | instid1(VALU_DEP_3)
	v_dual_add_f32 v74, v74, v89 :: v_dual_fma_f32 v5, v0, v16, -v5
	v_dual_fmac_f32 v17, v1, v16 :: v_dual_mul_f32 v80, v0, v19
	s_wait_dscnt 0x0
	s_delay_alu instid0(VALU_DEP_3) | instskip(NEXT) | instid1(VALU_DEP_3)
	v_dual_fma_f32 v0, v0, v18, -v8 :: v_dual_mul_f32 v8, v7, v13
	v_add_f32_e32 v5, v10, v5
	s_delay_alu instid0(VALU_DEP_3) | instskip(NEXT) | instid1(VALU_DEP_3)
	v_add_f32_e32 v82, v9, v17
	v_dual_fmac_f32 v80, v1, v18 :: v_dual_add_f32 v0, v11, v0
	s_delay_alu instid0(VALU_DEP_4) | instskip(SKIP_4) | instid1(VALU_DEP_2)
	v_dual_fma_f32 v1, v6, v12, -v8 :: v_dual_mul_f32 v84, v6, v13
	ds_load_b128 v[8:11], v75 offset:128
	ds_load_2addr_b64 v[16:19], v86 offset1:16
	v_dual_mul_f32 v88, v7, v15 :: v_dual_add_f32 v78, v78, v80
	v_dual_mul_f32 v80, v6, v15 :: v_dual_fmac_f32 v84, v7, v12
	v_dual_add_f32 v1, v76, v1 :: v_dual_fma_f32 v6, v6, v14, -v88
	v_dual_mul_f32 v76, v3, v13 :: v_dual_mul_f32 v13, v2, v13
	s_delay_alu instid0(VALU_DEP_3)
	v_add_f32_e32 v55, v55, v84
	ds_load_b128 v[88:91], v75 offset:4224
	v_dual_add_f32 v84, v4, v6 :: v_dual_fma_f32 v4, v2, v12, -v76
	v_mul_f32_e32 v6, v3, v15
	v_fmac_f32_e32 v80, v7, v14
	v_fmac_f32_e32 v13, v3, v12
	s_delay_alu instid0(VALU_DEP_3) | instskip(NEXT) | instid1(VALU_DEP_3)
	v_dual_add_f32 v76, v5, v4 :: v_dual_fma_f32 v12, v2, v14, -v6
	v_add_f32_e32 v74, v74, v80
	s_wait_dscnt 0x1
	v_dual_mul_f32 v2, v2, v15 :: v_dual_mul_f32 v15, v9, v17
	v_add_f32_e32 v80, v82, v13
	v_mul_f32_e32 v82, v8, v17
	s_delay_alu instid0(VALU_DEP_3) | instskip(NEXT) | instid1(VALU_DEP_4)
	v_dual_add_f32 v92, v0, v12 :: v_dual_fmac_f32 v2, v3, v14
	v_fma_f32 v0, v8, v16, -v15
	ds_load_2addr_b64 v[12:15], v86 offset0:32 offset1:48
	v_mul_f32_e32 v3, v9, v19
	ds_load_b128 v[4:7], v75 offset:144
	v_dual_fmac_f32 v82, v9, v16 :: v_dual_mul_f32 v94, v8, v19
	v_dual_add_f32 v78, v78, v2 :: v_dual_add_f32 v93, v1, v0
	v_fma_f32 v8, v8, v18, -v3
	s_wait_dscnt 0x2
	s_delay_alu instid0(VALU_DEP_3) | instskip(SKIP_1) | instid1(VALU_DEP_3)
	v_dual_add_f32 v55, v55, v82 :: v_dual_mul_f32 v82, v89, v17
	v_dual_fmac_f32 v94, v9, v18 :: v_dual_mul_f32 v9, v88, v17
	v_dual_add_f32 v8, v84, v8 :: v_dual_mul_f32 v17, v89, v19
	s_delay_alu instid0(VALU_DEP_2) | instskip(NEXT) | instid1(VALU_DEP_3)
	v_dual_fma_f32 v82, v88, v16, -v82 :: v_dual_add_f32 v74, v74, v94
	v_dual_fmac_f32 v9, v89, v16 :: v_dual_mul_f32 v84, v88, v19
	s_delay_alu instid0(VALU_DEP_3) | instskip(SKIP_1) | instid1(VALU_DEP_3)
	v_fma_f32 v16, v88, v18, -v17
	s_wait_dscnt 0x1
	v_dual_add_f32 v76, v76, v82 :: v_dual_mul_f32 v82, v10, v13
	v_mul_f32_e32 v17, v11, v13
	v_dual_add_f32 v9, v80, v9 :: v_dual_fmac_f32 v84, v89, v18
	v_dual_add_f32 v80, v92, v16 :: v_dual_mul_f32 v89, v11, v15
	s_delay_alu instid0(VALU_DEP_3)
	v_dual_fma_f32 v88, v10, v12, -v17 :: v_dual_fmac_f32 v82, v11, v12
	ds_load_2addr_b64 v[16:19], v86 offset0:64 offset1:80
	v_add_f32_e32 v78, v78, v84
	ds_load_b128 v[0:3], v75 offset:4240
	v_dual_add_f32 v84, v93, v88 :: v_dual_mul_f32 v88, v10, v15
	v_dual_fma_f32 v10, v10, v14, -v89 :: v_dual_mul_f32 v89, v91, v13
	v_dual_mul_f32 v13, v90, v13 :: v_dual_add_f32 v55, v55, v82
	s_delay_alu instid0(VALU_DEP_3) | instskip(NEXT) | instid1(VALU_DEP_3)
	v_fmac_f32_e32 v88, v11, v14
	v_dual_add_f32 v8, v8, v10 :: v_dual_fma_f32 v10, v90, v12, -v89
	s_delay_alu instid0(VALU_DEP_3) | instskip(SKIP_1) | instid1(VALU_DEP_3)
	v_dual_fmac_f32 v13, v91, v12 :: v_dual_mul_f32 v11, v91, v15
	v_mul_f32_e32 v82, v90, v15
	v_dual_add_f32 v74, v74, v88 :: v_dual_add_f32 v10, v76, v10
	s_delay_alu instid0(VALU_DEP_3) | instskip(SKIP_1) | instid1(VALU_DEP_3)
	v_dual_add_f32 v9, v9, v13 :: v_dual_fma_f32 v11, v90, v14, -v11
	s_wait_dscnt 0x1
	v_dual_fmac_f32 v82, v91, v14 :: v_dual_mul_f32 v88, v4, v17
	v_mul_f32_e32 v76, v5, v17
	ds_load_2addr_b64 v[12:15], v86 offset0:96 offset1:112
	v_add_f32_e32 v11, v80, v11
	v_dual_mul_f32 v80, v5, v19 :: v_dual_fmac_f32 v88, v5, v16
	v_dual_fma_f32 v76, v4, v16, -v76 :: v_dual_mul_f32 v89, v4, v19
	v_add_f32_e32 v78, v78, v82
	s_delay_alu instid0(VALU_DEP_3) | instskip(NEXT) | instid1(VALU_DEP_3)
	v_dual_fma_f32 v4, v4, v18, -v80 :: v_dual_add_f32 v55, v55, v88
	v_dual_add_f32 v76, v84, v76 :: v_dual_fmac_f32 v89, v5, v18
	s_wait_dscnt 0x1
	v_dual_mul_f32 v5, v1, v17 :: v_dual_mul_f32 v17, v0, v17
	s_delay_alu instid0(VALU_DEP_3) | instskip(NEXT) | instid1(VALU_DEP_2)
	v_dual_add_f32 v4, v8, v4 :: v_dual_mul_f32 v8, v1, v19
	v_dual_add_f32 v74, v74, v89 :: v_dual_fma_f32 v5, v0, v16, -v5
	s_delay_alu instid0(VALU_DEP_3) | instskip(SKIP_1) | instid1(VALU_DEP_3)
	v_dual_fmac_f32 v17, v1, v16 :: v_dual_mul_f32 v80, v0, v19
	s_wait_dscnt 0x0
	v_dual_fma_f32 v0, v0, v18, -v8 :: v_dual_mul_f32 v8, v7, v13
	s_delay_alu instid0(VALU_DEP_3) | instskip(NEXT) | instid1(VALU_DEP_3)
	v_add_f32_e32 v5, v10, v5
	v_add_f32_e32 v82, v9, v17
	s_delay_alu instid0(VALU_DEP_3) | instskip(NEXT) | instid1(VALU_DEP_4)
	v_dual_fmac_f32 v80, v1, v18 :: v_dual_add_f32 v0, v11, v0
	v_dual_fma_f32 v1, v6, v12, -v8 :: v_dual_mul_f32 v84, v6, v13
	ds_load_b128 v[8:11], v75 offset:160
	ds_load_2addr_b64 v[16:19], v86 offset0:128 offset1:144
	v_dual_mul_f32 v88, v7, v15 :: v_dual_add_f32 v78, v78, v80
	v_dual_mul_f32 v80, v6, v15 :: v_dual_fmac_f32 v84, v7, v12
	s_delay_alu instid0(VALU_DEP_2) | instskip(SKIP_1) | instid1(VALU_DEP_3)
	v_dual_add_f32 v1, v76, v1 :: v_dual_fma_f32 v6, v6, v14, -v88
	v_dual_mul_f32 v76, v3, v13 :: v_dual_mul_f32 v13, v2, v13
	v_add_f32_e32 v55, v55, v84
	ds_load_b128 v[88:91], v75 offset:4256
	v_dual_add_f32 v84, v4, v6 :: v_dual_fma_f32 v4, v2, v12, -v76
	v_mul_f32_e32 v6, v3, v15
	v_fmac_f32_e32 v80, v7, v14
	v_fmac_f32_e32 v13, v3, v12
	s_delay_alu instid0(VALU_DEP_3) | instskip(NEXT) | instid1(VALU_DEP_3)
	v_dual_add_f32 v76, v5, v4 :: v_dual_fma_f32 v12, v2, v14, -v6
	v_add_f32_e32 v74, v74, v80
	s_wait_dscnt 0x1
	v_dual_mul_f32 v2, v2, v15 :: v_dual_mul_f32 v15, v9, v17
	v_add_f32_e32 v80, v82, v13
	v_mul_f32_e32 v82, v8, v17
	s_delay_alu instid0(VALU_DEP_3) | instskip(NEXT) | instid1(VALU_DEP_4)
	v_dual_add_f32 v92, v0, v12 :: v_dual_fmac_f32 v2, v3, v14
	v_fma_f32 v0, v8, v16, -v15
	ds_load_2addr_b64 v[12:15], v86 offset0:160 offset1:176
	v_mul_f32_e32 v3, v9, v19
	ds_load_b128 v[4:7], v75 offset:176
	v_dual_fmac_f32 v82, v9, v16 :: v_dual_mul_f32 v94, v8, v19
	v_dual_add_f32 v78, v78, v2 :: v_dual_add_f32 v93, v1, v0
	v_fma_f32 v8, v8, v18, -v3
	s_wait_dscnt 0x2
	s_delay_alu instid0(VALU_DEP_3) | instskip(SKIP_1) | instid1(VALU_DEP_3)
	v_dual_add_f32 v55, v55, v82 :: v_dual_mul_f32 v82, v89, v17
	v_dual_fmac_f32 v94, v9, v18 :: v_dual_mul_f32 v9, v88, v17
	v_dual_add_f32 v8, v84, v8 :: v_dual_mul_f32 v17, v89, v19
	s_delay_alu instid0(VALU_DEP_2) | instskip(NEXT) | instid1(VALU_DEP_3)
	v_dual_fma_f32 v82, v88, v16, -v82 :: v_dual_add_f32 v74, v74, v94
	v_dual_fmac_f32 v9, v89, v16 :: v_dual_mul_f32 v84, v88, v19
	s_delay_alu instid0(VALU_DEP_3) | instskip(SKIP_1) | instid1(VALU_DEP_3)
	v_fma_f32 v16, v88, v18, -v17
	s_wait_dscnt 0x1
	v_dual_add_f32 v76, v76, v82 :: v_dual_mul_f32 v82, v10, v13
	v_mul_f32_e32 v17, v11, v13
	v_dual_add_f32 v9, v80, v9 :: v_dual_fmac_f32 v84, v89, v18
	v_dual_add_f32 v80, v92, v16 :: v_dual_mul_f32 v89, v11, v15
	s_delay_alu instid0(VALU_DEP_3)
	v_dual_fma_f32 v88, v10, v12, -v17 :: v_dual_fmac_f32 v82, v11, v12
	ds_load_2addr_b64 v[16:19], v86 offset0:192 offset1:208
	v_add_f32_e32 v78, v78, v84
	ds_load_b128 v[0:3], v75 offset:4272
	v_dual_add_f32 v84, v93, v88 :: v_dual_mul_f32 v88, v10, v15
	v_dual_fma_f32 v10, v10, v14, -v89 :: v_dual_mul_f32 v89, v91, v13
	v_dual_mul_f32 v13, v90, v13 :: v_dual_add_f32 v55, v55, v82
	s_delay_alu instid0(VALU_DEP_3) | instskip(NEXT) | instid1(VALU_DEP_3)
	v_fmac_f32_e32 v88, v11, v14
	v_dual_add_f32 v8, v8, v10 :: v_dual_fma_f32 v10, v90, v12, -v89
	s_delay_alu instid0(VALU_DEP_3) | instskip(SKIP_1) | instid1(VALU_DEP_3)
	v_dual_fmac_f32 v13, v91, v12 :: v_dual_mul_f32 v11, v91, v15
	v_mul_f32_e32 v82, v90, v15
	v_dual_add_f32 v74, v74, v88 :: v_dual_add_f32 v10, v76, v10
	s_delay_alu instid0(VALU_DEP_3) | instskip(SKIP_1) | instid1(VALU_DEP_3)
	v_dual_add_f32 v9, v9, v13 :: v_dual_fma_f32 v11, v90, v14, -v11
	s_wait_dscnt 0x1
	v_dual_fmac_f32 v82, v91, v14 :: v_dual_mul_f32 v88, v4, v17
	v_mul_f32_e32 v76, v5, v17
	ds_load_2addr_b64 v[12:15], v86 offset0:224 offset1:240
	v_add_f32_e32 v11, v80, v11
	v_dual_mul_f32 v80, v5, v19 :: v_dual_fmac_f32 v88, v5, v16
	v_dual_fma_f32 v76, v4, v16, -v76 :: v_dual_mul_f32 v89, v4, v19
	v_add_f32_e32 v78, v78, v82
	s_delay_alu instid0(VALU_DEP_3) | instskip(NEXT) | instid1(VALU_DEP_3)
	v_dual_fma_f32 v4, v4, v18, -v80 :: v_dual_add_f32 v55, v55, v88
	v_dual_add_f32 v76, v84, v76 :: v_dual_fmac_f32 v89, v5, v18
	s_wait_dscnt 0x1
	v_dual_mul_f32 v5, v1, v17 :: v_dual_mul_f32 v17, v0, v17
	s_delay_alu instid0(VALU_DEP_3) | instskip(NEXT) | instid1(VALU_DEP_2)
	v_dual_add_f32 v4, v8, v4 :: v_dual_mul_f32 v8, v1, v19
	v_dual_add_f32 v74, v74, v89 :: v_dual_fma_f32 v5, v0, v16, -v5
	s_delay_alu instid0(VALU_DEP_3) | instskip(SKIP_1) | instid1(VALU_DEP_3)
	v_dual_fmac_f32 v17, v1, v16 :: v_dual_mul_f32 v80, v0, v19
	s_wait_dscnt 0x0
	v_dual_fma_f32 v0, v0, v18, -v8 :: v_dual_mul_f32 v8, v7, v13
	s_delay_alu instid0(VALU_DEP_3) | instskip(NEXT) | instid1(VALU_DEP_3)
	v_add_f32_e32 v5, v10, v5
	v_add_f32_e32 v82, v9, v17
	s_delay_alu instid0(VALU_DEP_3) | instskip(NEXT) | instid1(VALU_DEP_4)
	v_dual_fmac_f32 v80, v1, v18 :: v_dual_add_f32 v0, v11, v0
	v_dual_fma_f32 v1, v6, v12, -v8 :: v_dual_mul_f32 v84, v6, v13
	ds_load_b128 v[8:11], v75 offset:192
	ds_load_2addr_b64 v[16:19], v87 offset1:16
	v_dual_mul_f32 v88, v7, v15 :: v_dual_add_f32 v78, v78, v80
	v_dual_mul_f32 v80, v6, v15 :: v_dual_fmac_f32 v84, v7, v12
	s_delay_alu instid0(VALU_DEP_2) | instskip(SKIP_1) | instid1(VALU_DEP_3)
	v_dual_add_f32 v1, v76, v1 :: v_dual_fma_f32 v6, v6, v14, -v88
	v_dual_mul_f32 v76, v3, v13 :: v_dual_mul_f32 v13, v2, v13
	v_add_f32_e32 v55, v55, v84
	ds_load_b128 v[88:91], v75 offset:4288
	v_dual_add_f32 v84, v4, v6 :: v_dual_fma_f32 v4, v2, v12, -v76
	v_mul_f32_e32 v6, v3, v15
	v_fmac_f32_e32 v80, v7, v14
	v_fmac_f32_e32 v13, v3, v12
	s_delay_alu instid0(VALU_DEP_3) | instskip(NEXT) | instid1(VALU_DEP_3)
	v_dual_add_f32 v76, v5, v4 :: v_dual_fma_f32 v12, v2, v14, -v6
	v_add_f32_e32 v74, v74, v80
	s_wait_dscnt 0x1
	v_dual_mul_f32 v2, v2, v15 :: v_dual_mul_f32 v15, v9, v17
	v_add_f32_e32 v80, v82, v13
	v_mul_f32_e32 v82, v8, v17
	s_delay_alu instid0(VALU_DEP_3) | instskip(NEXT) | instid1(VALU_DEP_4)
	v_dual_add_f32 v92, v0, v12 :: v_dual_fmac_f32 v2, v3, v14
	v_fma_f32 v0, v8, v16, -v15
	ds_load_2addr_b64 v[12:15], v87 offset0:32 offset1:48
	v_mul_f32_e32 v3, v9, v19
	ds_load_b128 v[4:7], v75 offset:208
	v_dual_fmac_f32 v82, v9, v16 :: v_dual_mul_f32 v94, v8, v19
	v_dual_add_f32 v78, v78, v2 :: v_dual_add_f32 v93, v1, v0
	v_fma_f32 v8, v8, v18, -v3
	s_wait_dscnt 0x2
	s_delay_alu instid0(VALU_DEP_3) | instskip(SKIP_1) | instid1(VALU_DEP_3)
	v_dual_add_f32 v55, v55, v82 :: v_dual_mul_f32 v82, v89, v17
	v_dual_fmac_f32 v94, v9, v18 :: v_dual_mul_f32 v9, v88, v17
	v_dual_add_f32 v8, v84, v8 :: v_dual_mul_f32 v17, v89, v19
	s_delay_alu instid0(VALU_DEP_2) | instskip(NEXT) | instid1(VALU_DEP_3)
	v_dual_fma_f32 v82, v88, v16, -v82 :: v_dual_add_f32 v74, v74, v94
	v_dual_fmac_f32 v9, v89, v16 :: v_dual_mul_f32 v84, v88, v19
	s_delay_alu instid0(VALU_DEP_3) | instskip(SKIP_1) | instid1(VALU_DEP_3)
	v_fma_f32 v16, v88, v18, -v17
	s_wait_dscnt 0x1
	v_dual_add_f32 v76, v76, v82 :: v_dual_mul_f32 v82, v10, v13
	v_mul_f32_e32 v17, v11, v13
	v_dual_add_f32 v9, v80, v9 :: v_dual_fmac_f32 v84, v89, v18
	v_dual_add_f32 v80, v92, v16 :: v_dual_mul_f32 v89, v11, v15
	s_delay_alu instid0(VALU_DEP_3)
	v_dual_fma_f32 v88, v10, v12, -v17 :: v_dual_fmac_f32 v82, v11, v12
	ds_load_2addr_b64 v[16:19], v87 offset0:64 offset1:80
	v_add_f32_e32 v78, v78, v84
	ds_load_b128 v[0:3], v75 offset:4304
	v_dual_add_f32 v84, v93, v88 :: v_dual_mul_f32 v88, v10, v15
	v_dual_fma_f32 v10, v10, v14, -v89 :: v_dual_mul_f32 v89, v91, v13
	v_dual_mul_f32 v13, v90, v13 :: v_dual_add_f32 v55, v55, v82
	s_delay_alu instid0(VALU_DEP_3) | instskip(NEXT) | instid1(VALU_DEP_3)
	v_fmac_f32_e32 v88, v11, v14
	v_dual_add_f32 v8, v8, v10 :: v_dual_fma_f32 v10, v90, v12, -v89
	s_delay_alu instid0(VALU_DEP_3) | instskip(SKIP_1) | instid1(VALU_DEP_3)
	v_dual_fmac_f32 v13, v91, v12 :: v_dual_mul_f32 v11, v91, v15
	v_mul_f32_e32 v82, v90, v15
	v_dual_add_f32 v74, v74, v88 :: v_dual_add_f32 v10, v76, v10
	s_delay_alu instid0(VALU_DEP_3) | instskip(SKIP_1) | instid1(VALU_DEP_3)
	v_dual_add_f32 v9, v9, v13 :: v_dual_fma_f32 v11, v90, v14, -v11
	s_wait_dscnt 0x1
	v_dual_fmac_f32 v82, v91, v14 :: v_dual_mul_f32 v88, v4, v17
	v_mul_f32_e32 v76, v5, v17
	ds_load_2addr_b64 v[12:15], v87 offset0:96 offset1:112
	v_add_f32_e32 v11, v80, v11
	v_dual_mul_f32 v80, v5, v19 :: v_dual_fmac_f32 v88, v5, v16
	v_dual_fma_f32 v76, v4, v16, -v76 :: v_dual_mul_f32 v89, v4, v19
	v_add_f32_e32 v78, v78, v82
	s_delay_alu instid0(VALU_DEP_3) | instskip(NEXT) | instid1(VALU_DEP_3)
	v_dual_fma_f32 v4, v4, v18, -v80 :: v_dual_add_f32 v55, v55, v88
	v_dual_add_f32 v76, v84, v76 :: v_dual_fmac_f32 v89, v5, v18
	s_wait_dscnt 0x1
	v_dual_mul_f32 v5, v1, v17 :: v_dual_mul_f32 v17, v0, v17
	s_delay_alu instid0(VALU_DEP_3) | instskip(NEXT) | instid1(VALU_DEP_2)
	v_dual_add_f32 v4, v8, v4 :: v_dual_mul_f32 v8, v1, v19
	v_dual_add_f32 v74, v74, v89 :: v_dual_fma_f32 v5, v0, v16, -v5
	s_delay_alu instid0(VALU_DEP_3) | instskip(SKIP_1) | instid1(VALU_DEP_3)
	v_dual_fmac_f32 v17, v1, v16 :: v_dual_mul_f32 v80, v0, v19
	s_wait_dscnt 0x0
	v_dual_fma_f32 v0, v0, v18, -v8 :: v_dual_mul_f32 v8, v7, v13
	s_delay_alu instid0(VALU_DEP_3) | instskip(NEXT) | instid1(VALU_DEP_3)
	v_add_f32_e32 v5, v10, v5
	v_add_f32_e32 v82, v9, v17
	s_delay_alu instid0(VALU_DEP_3) | instskip(NEXT) | instid1(VALU_DEP_4)
	v_dual_fmac_f32 v80, v1, v18 :: v_dual_add_f32 v0, v11, v0
	v_dual_fma_f32 v1, v6, v12, -v8 :: v_dual_mul_f32 v84, v6, v13
	ds_load_b128 v[8:11], v75 offset:224
	ds_load_2addr_b64 v[16:19], v87 offset0:128 offset1:144
	v_dual_mul_f32 v88, v7, v15 :: v_dual_add_f32 v78, v78, v80
	v_dual_mul_f32 v80, v6, v15 :: v_dual_fmac_f32 v84, v7, v12
	s_delay_alu instid0(VALU_DEP_2) | instskip(SKIP_1) | instid1(VALU_DEP_3)
	v_dual_add_f32 v76, v76, v1 :: v_dual_fma_f32 v6, v6, v14, -v88
	v_mul_f32_e32 v1, v3, v13
	v_dual_fmac_f32 v80, v7, v14 :: v_dual_mul_f32 v13, v2, v13
	s_delay_alu instid0(VALU_DEP_3) | instskip(NEXT) | instid1(VALU_DEP_3)
	v_dual_add_f32 v55, v55, v84 :: v_dual_add_f32 v84, v4, v6
	v_dual_fma_f32 v1, v2, v12, -v1 :: v_dual_mul_f32 v4, v3, v15
	ds_load_b128 v[88:91], v75 offset:4320
	v_add_f32_e32 v74, v74, v80
	v_dual_fmac_f32 v13, v3, v12 :: v_dual_mul_f32 v12, v2, v15
	v_dual_add_f32 v80, v5, v1 :: v_dual_fma_f32 v1, v2, v14, -v4
	s_wait_dscnt 0x1
	v_dual_mul_f32 v93, v8, v17 :: v_dual_mul_f32 v2, v9, v17
	s_delay_alu instid0(VALU_DEP_3) | instskip(NEXT) | instid1(VALU_DEP_3)
	v_dual_add_f32 v82, v82, v13 :: v_dual_fmac_f32 v12, v3, v14
	v_dual_add_f32 v92, v0, v1 :: v_dual_mul_f32 v14, v9, v19
	s_delay_alu instid0(VALU_DEP_3)
	v_dual_fma_f32 v13, v8, v16, -v2 :: v_dual_fmac_f32 v93, v9, v16
	ds_load_2addr_b64 v[0:3], v87 offset0:160 offset1:176
	ds_load_b128 v[4:7], v75 offset:240
	v_dual_mul_f32 v94, v8, v19 :: v_dual_fma_f32 v8, v8, v18, -v14
	v_dual_add_f32 v55, v55, v93 :: v_dual_add_f32 v78, v78, v12
	v_add_f32_e32 v76, v76, v13
	s_wait_dscnt 0x2
	v_mul_f32_e32 v95, v89, v17
	v_dual_fmac_f32 v94, v9, v18 :: v_dual_mul_f32 v9, v88, v17
	v_dual_add_f32 v8, v84, v8 :: v_dual_mul_f32 v84, v89, v19
	s_delay_alu instid0(VALU_DEP_2) | instskip(NEXT) | instid1(VALU_DEP_3)
	v_dual_fma_f32 v17, v88, v16, -v95 :: v_dual_add_f32 v74, v74, v94
	v_dual_fmac_f32 v9, v89, v16 :: v_dual_mul_f32 v93, v88, v19
	s_delay_alu instid0(VALU_DEP_3) | instskip(NEXT) | instid1(VALU_DEP_3)
	v_fma_f32 v16, v88, v18, -v84
	v_add_f32_e32 v80, v80, v17
	ds_load_b128 v[12:15], v75 offset:4336
	s_wait_dscnt 0x2
	v_mul_f32_e32 v17, v11, v1
	v_dual_add_f32 v9, v82, v9 :: v_dual_add_f32 v84, v92, v16
	v_dual_fmac_f32 v93, v89, v18 :: v_dual_mul_f32 v82, v10, v1
	s_delay_alu instid0(VALU_DEP_3) | instskip(SKIP_4) | instid1(VALU_DEP_3)
	v_fma_f32 v88, v10, v0, -v17
	ds_load_2addr_b64 v[16:19], v87 offset0:192 offset1:208
	v_dual_mul_f32 v89, v11, v3 :: v_dual_add_f32 v78, v78, v93
	v_fmac_f32_e32 v82, v11, v0
	v_dual_add_f32 v76, v76, v88 :: v_dual_mul_f32 v88, v10, v3
	v_fma_f32 v10, v10, v2, -v89
	s_delay_alu instid0(VALU_DEP_3) | instskip(SKIP_1) | instid1(VALU_DEP_3)
	v_add_f32_e32 v55, v55, v82
	v_dual_mul_f32 v82, v91, v1 :: v_dual_mul_f32 v1, v90, v1
	v_dual_add_f32 v8, v8, v10 :: v_dual_mul_f32 v10, v91, v3
	s_delay_alu instid0(VALU_DEP_2) | instskip(NEXT) | instid1(VALU_DEP_3)
	v_dual_fmac_f32 v88, v11, v2 :: v_dual_fma_f32 v11, v90, v0, -v82
	v_dual_fmac_f32 v1, v91, v0 :: v_dual_mul_f32 v82, v90, v3
	s_delay_alu instid0(VALU_DEP_3) | instskip(NEXT) | instid1(VALU_DEP_3)
	v_fma_f32 v0, v90, v2, -v10
	v_dual_add_f32 v74, v74, v88 :: v_dual_add_f32 v10, v80, v11
	s_delay_alu instid0(VALU_DEP_3) | instskip(SKIP_1) | instid1(VALU_DEP_3)
	v_dual_add_f32 v9, v9, v1 :: v_dual_fmac_f32 v82, v91, v2
	s_wait_dscnt 0x0
	v_dual_mul_f32 v11, v5, v17 :: v_dual_add_f32 v80, v84, v0
	ds_load_2addr_b64 v[0:3], v87 offset0:224 offset1:240
	v_dual_mul_f32 v84, v4, v17 :: v_dual_add_f32 v78, v78, v82
	v_dual_mul_f32 v82, v5, v19 :: v_dual_fma_f32 v11, v4, v16, -v11
	s_delay_alu instid0(VALU_DEP_2) | instskip(SKIP_1) | instid1(VALU_DEP_2)
	v_dual_mul_f32 v88, v4, v19 :: v_dual_fmac_f32 v84, v5, v16
	s_wait_dscnt 0x0
	v_fma_f32 v4, v4, v18, -v82
	s_delay_alu instid0(VALU_DEP_3) | instskip(NEXT) | instid1(VALU_DEP_3)
	v_dual_add_f32 v11, v76, v11 :: v_dual_mul_f32 v76, v13, v17
	v_dual_add_f32 v55, v55, v84 :: v_dual_fmac_f32 v88, v5, v18
	v_mul_f32_e32 v5, v12, v17
	s_barrier_signal -1
	s_delay_alu instid0(VALU_DEP_3) | instskip(SKIP_3) | instid1(VALU_DEP_3)
	v_fma_f32 v17, v12, v16, -v76
	v_dual_add_f32 v4, v8, v4 :: v_dual_mul_f32 v8, v13, v19
	v_add_f32_e32 v74, v74, v88
	v_dual_fmac_f32 v5, v13, v16 :: v_dual_mul_f32 v16, v12, v19
	v_dual_add_f32 v10, v10, v17 :: v_dual_fma_f32 v8, v12, v18, -v8
	v_dual_mul_f32 v12, v7, v1 :: v_dual_mul_f32 v17, v6, v1
	s_delay_alu instid0(VALU_DEP_3) | instskip(NEXT) | instid1(VALU_DEP_3)
	v_add_f32_e32 v5, v9, v5
	v_dual_fmac_f32 v16, v13, v18 :: v_dual_add_f32 v8, v80, v8
	s_delay_alu instid0(VALU_DEP_3) | instskip(NEXT) | instid1(VALU_DEP_4)
	v_dual_fma_f32 v9, v6, v0, -v12 :: v_dual_mul_f32 v12, v7, v3
	v_dual_mul_f32 v13, v6, v3 :: v_dual_fmac_f32 v17, v7, v0
	s_delay_alu instid0(VALU_DEP_2) | instskip(NEXT) | instid1(VALU_DEP_2)
	v_dual_add_f32 v16, v78, v16 :: v_dual_add_f32 v80, v11, v9
	v_dual_fma_f32 v6, v6, v2, -v12 :: v_dual_fmac_f32 v13, v7, v2
	v_dual_mul_f32 v7, v15, v1 :: v_dual_mul_f32 v1, v14, v1
	v_dual_mul_f32 v9, v15, v3 :: v_dual_mul_f32 v3, v14, v3
	s_delay_alu instid0(VALU_DEP_2) | instskip(NEXT) | instid1(VALU_DEP_3)
	v_dual_add_f32 v78, v4, v6 :: v_dual_fma_f32 v4, v14, v0, -v7
	v_fmac_f32_e32 v1, v15, v0
	v_add_f32_e32 v84, v55, v17
	s_delay_alu instid0(VALU_DEP_4) | instskip(SKIP_1) | instid1(VALU_DEP_3)
	v_dual_fmac_f32 v3, v15, v2 :: v_dual_fma_f32 v0, v14, v2, -v9
	s_barrier_wait -1
	v_add_f32_e32 v76, v5, v1
	v_add_f32_e32 v82, v74, v13
	s_delay_alu instid0(VALU_DEP_3)
	v_dual_add_f32 v74, v10, v4 :: v_dual_add_f32 v16, v16, v3
	v_add_f32_e32 v18, v8, v0
	s_cbranch_scc1 .LBB88_55
.LBB88_11:                              ;   Parent Loop BB88_4 Depth=1
                                        ;     Parent Loop BB88_8 Depth=2
                                        ; =>    This Inner Loop Header: Depth=3
	v_add_nc_u64_e32 v[2:3], s[24:25], v[20:21]
	v_cmp_eq_u64_e64 s7, s[24:25], v[60:61]
	v_add_nc_u64_e32 v[0:1], v[62:63], v[68:69]
	s_delay_alu instid0(VALU_DEP_3) | instskip(SKIP_3) | instid1(SALU_CYCLE_1)
	v_cmp_gt_i64_e64 s5, v[2:3], v[56:57]
	v_cmp_le_i64_e64 s6, s[40:41], v[2:3]
	s_and_b32 s52, s36, s7
	s_or_b32 s7, vcc_lo, s5
	s_or_b32 s7, s7, s52
	s_delay_alu instid0(SALU_CYCLE_1) | instskip(NEXT) | instid1(SALU_CYCLE_1)
	s_nor_b32 s7, s6, s7
	s_and_saveexec_b32 s8, s7
	s_delay_alu instid0(SALU_CYCLE_1)
	s_xor_b32 s7, exec_lo, s8
	s_cbranch_execz .LBB88_13
; %bb.12:                               ;   in Loop: Header=BB88_11 Depth=3
	global_load_b64 v[4:5], v[0:1], off
	s_wait_loadcnt 0x0
	ds_store_b64 v79, v[4:5]
.LBB88_13:                              ;   in Loop: Header=BB88_11 Depth=3
	s_wait_xcnt 0x0
	s_or_saveexec_b32 s7, s7
	s_xor_b32 s51, s52, -1
	s_xor_b32 exec_lo, exec_lo, s7
	s_cbranch_execz .LBB88_19
; %bb.14:                               ;   in Loop: Header=BB88_11 Depth=3
	s_and_saveexec_b32 s8, s51
	s_delay_alu instid0(SALU_CYCLE_1)
	s_xor_b32 s8, exec_lo, s8
; %bb.15:                               ;   in Loop: Header=BB88_11 Depth=3
	ds_store_b64 v79, v[40:41]
; %bb.16:                               ;   in Loop: Header=BB88_11 Depth=3
	s_and_not1_saveexec_b32 s8, s8
; %bb.17:                               ;   in Loop: Header=BB88_11 Depth=3
	ds_store_b64 v79, v[42:43]
; %bb.18:                               ;   in Loop: Header=BB88_11 Depth=3
	s_or_b32 exec_lo, exec_lo, s8
.LBB88_19:                              ;   in Loop: Header=BB88_11 Depth=3
	s_delay_alu instid0(SALU_CYCLE_1) | instskip(SKIP_2) | instid1(VALU_DEP_2)
	s_or_b32 exec_lo, exec_lo, s7
	v_add_nc_u64_e32 v[4:5], 16, v[2:3]
	v_cmp_eq_u64_e64 s8, s[24:25], v[72:73]
	v_cmp_gt_i64_e64 s9, v[4:5], v[56:57]
	v_cmp_le_i64_e64 s7, s[40:41], v[4:5]
	v_add_nc_u64_e32 v[4:5], v[64:65], v[68:69]
	s_and_b32 s53, s36, s8
	s_or_b32 s8, vcc_lo, s9
	s_delay_alu instid0(SALU_CYCLE_1) | instskip(NEXT) | instid1(SALU_CYCLE_1)
	s_or_b32 s8, s8, s53
	s_nor_b32 s8, s7, s8
	s_delay_alu instid0(SALU_CYCLE_1) | instskip(NEXT) | instid1(SALU_CYCLE_1)
	s_and_saveexec_b32 s9, s8
	s_xor_b32 s8, exec_lo, s9
	s_cbranch_execz .LBB88_21
; %bb.20:                               ;   in Loop: Header=BB88_11 Depth=3
	global_load_b64 v[6:7], v[4:5], off
	s_wait_loadcnt 0x0
	ds_store_b64 v79, v[6:7] offset:128
.LBB88_21:                              ;   in Loop: Header=BB88_11 Depth=3
	s_wait_xcnt 0x0
	s_and_not1_saveexec_b32 s8, s8
	s_cbranch_execz .LBB88_27
; %bb.22:                               ;   in Loop: Header=BB88_11 Depth=3
	s_xor_b32 s9, s53, -1
	s_delay_alu instid0(SALU_CYCLE_1) | instskip(NEXT) | instid1(SALU_CYCLE_1)
	s_and_saveexec_b32 s53, s9
	s_xor_b32 s9, exec_lo, s53
; %bb.23:                               ;   in Loop: Header=BB88_11 Depth=3
	ds_store_b64 v79, v[40:41] offset:128
; %bb.24:                               ;   in Loop: Header=BB88_11 Depth=3
	s_and_not1_saveexec_b32 s9, s9
; %bb.25:                               ;   in Loop: Header=BB88_11 Depth=3
	ds_store_b64 v79, v[42:43] offset:128
; %bb.26:                               ;   in Loop: Header=BB88_11 Depth=3
	s_or_b32 exec_lo, exec_lo, s9
.LBB88_27:                              ;   in Loop: Header=BB88_11 Depth=3
	s_delay_alu instid0(SALU_CYCLE_1) | instskip(SKIP_4) | instid1(SALU_CYCLE_1)
	s_or_b32 exec_lo, exec_lo, s8
	v_cmp_eq_u64_e64 s8, s[24:25], v[70:71]
	v_cmp_gt_i64_e64 s9, v[2:3], v[58:59]
	s_and_b32 s8, s36, s8
	s_or_b32 s9, s4, s9
	s_or_b32 s9, s9, s8
	s_delay_alu instid0(SALU_CYCLE_1) | instskip(NEXT) | instid1(SALU_CYCLE_1)
	s_nor_b32 s6, s6, s9
	s_and_saveexec_b32 s9, s6
	s_delay_alu instid0(SALU_CYCLE_1)
	s_xor_b32 s6, exec_lo, s9
	s_cbranch_execz .LBB88_29
; %bb.28:                               ;   in Loop: Header=BB88_11 Depth=3
	global_load_b64 v[0:1], v[0:1], off offset:128
	s_wait_loadcnt 0x0
	ds_store_b64 v79, v[0:1] offset:4096
.LBB88_29:                              ;   in Loop: Header=BB88_11 Depth=3
	s_wait_xcnt 0x0
	s_and_not1_saveexec_b32 s6, s6
	s_cbranch_execz .LBB88_35
; %bb.30:                               ;   in Loop: Header=BB88_11 Depth=3
	s_xor_b32 s8, s8, -1
	s_delay_alu instid0(SALU_CYCLE_1) | instskip(NEXT) | instid1(SALU_CYCLE_1)
	s_and_saveexec_b32 s9, s8
	s_xor_b32 s8, exec_lo, s9
; %bb.31:                               ;   in Loop: Header=BB88_11 Depth=3
	ds_store_b64 v79, v[40:41] offset:4096
; %bb.32:                               ;   in Loop: Header=BB88_11 Depth=3
	s_and_not1_saveexec_b32 s8, s8
; %bb.33:                               ;   in Loop: Header=BB88_11 Depth=3
	ds_store_b64 v79, v[42:43] offset:4096
; %bb.34:                               ;   in Loop: Header=BB88_11 Depth=3
	s_or_b32 exec_lo, exec_lo, s8
.LBB88_35:                              ;   in Loop: Header=BB88_11 Depth=3
	s_delay_alu instid0(SALU_CYCLE_1) | instskip(SKIP_1) | instid1(SALU_CYCLE_1)
	s_or_b32 exec_lo, exec_lo, s6
	s_or_b32 s5, s4, s5
	s_or_b32 s5, s5, s52
	s_delay_alu instid0(SALU_CYCLE_1) | instskip(NEXT) | instid1(SALU_CYCLE_1)
	s_nor_b32 s5, s7, s5
	s_and_saveexec_b32 s6, s5
	s_delay_alu instid0(SALU_CYCLE_1)
	s_xor_b32 s5, exec_lo, s6
	s_cbranch_execz .LBB88_37
; %bb.36:                               ;   in Loop: Header=BB88_11 Depth=3
	global_load_b64 v[0:1], v[4:5], off offset:128
	s_wait_loadcnt 0x0
	ds_store_b64 v79, v[0:1] offset:4224
.LBB88_37:                              ;   in Loop: Header=BB88_11 Depth=3
	s_wait_xcnt 0x0
	s_and_not1_saveexec_b32 s5, s5
	s_cbranch_execz .LBB88_43
; %bb.38:                               ;   in Loop: Header=BB88_11 Depth=3
	s_and_saveexec_b32 s6, s51
	s_delay_alu instid0(SALU_CYCLE_1)
	s_xor_b32 s6, exec_lo, s6
; %bb.39:                               ;   in Loop: Header=BB88_11 Depth=3
	ds_store_b64 v79, v[40:41] offset:4224
; %bb.40:                               ;   in Loop: Header=BB88_11 Depth=3
	s_and_not1_saveexec_b32 s6, s6
; %bb.41:                               ;   in Loop: Header=BB88_11 Depth=3
	ds_store_b64 v79, v[42:43] offset:4224
; %bb.42:                               ;   in Loop: Header=BB88_11 Depth=3
	s_or_b32 exec_lo, exec_lo, s6
.LBB88_43:                              ;   in Loop: Header=BB88_11 Depth=3
	s_delay_alu instid0(SALU_CYCLE_1) | instskip(SKIP_3) | instid1(VALU_DEP_3)
	s_or_b32 exec_lo, exec_lo, s5
	v_add_nc_u64_e32 v[0:1], s[24:25], v[22:23]
	v_add_nc_u64_e32 v[2:3], v[66:67], v[34:35]
	v_mov_b64_e32 v[4:5], 0
	v_cmp_le_i64_e64 s5, s[40:41], v[0:1]
	s_nor_b32 s7, s5, s0
	s_delay_alu instid0(SALU_CYCLE_1)
	s_and_saveexec_b32 s6, s7
	s_cbranch_execz .LBB88_45
; %bb.44:                               ;   in Loop: Header=BB88_11 Depth=3
	global_load_b64 v[4:5], v[2:3], off offset:-128
.LBB88_45:                              ;   in Loop: Header=BB88_11 Depth=3
	s_wait_xcnt 0x0
	s_or_b32 exec_lo, exec_lo, s6
	s_nor_b32 s5, s5, s1
	s_wait_loadcnt 0x0
	ds_store_b64 v81, v[4:5]
	s_and_saveexec_b32 s6, s5
	s_delay_alu instid0(SALU_CYCLE_1)
	s_xor_b32 s5, exec_lo, s6
	s_cbranch_execz .LBB88_47
; %bb.46:                               ;   in Loop: Header=BB88_11 Depth=3
	global_load_b64 v[2:3], v[2:3], off
	s_wait_loadcnt 0x0
	ds_store_b64 v81, v[2:3] offset:128
.LBB88_47:                              ;   in Loop: Header=BB88_11 Depth=3
	s_wait_xcnt 0x0
	s_and_not1_saveexec_b32 s5, s5
; %bb.48:                               ;   in Loop: Header=BB88_11 Depth=3
	ds_store_b64 v81, v[40:41] offset:128
; %bb.49:                               ;   in Loop: Header=BB88_11 Depth=3
	s_or_b32 exec_lo, exec_lo, s5
	v_cmp_le_i64_e64 s5, s[16:17], v[0:1]
	v_add_nc_u64_e32 v[0:1], v[66:67], v[26:27]
	v_mov_b64_e32 v[2:3], 0
	s_nor_b32 s7, s5, s0
	s_delay_alu instid0(SALU_CYCLE_1)
	s_and_saveexec_b32 s6, s7
	s_cbranch_execz .LBB88_51
; %bb.50:                               ;   in Loop: Header=BB88_11 Depth=3
	global_load_b64 v[2:3], v[0:1], off offset:-128
.LBB88_51:                              ;   in Loop: Header=BB88_11 Depth=3
	s_wait_xcnt 0x0
	s_or_b32 exec_lo, exec_lo, s6
	s_nor_b32 s5, s5, s1
	s_wait_loadcnt 0x0
	ds_store_b64 v81, v[2:3] offset:4096
	s_and_saveexec_b32 s6, s5
	s_delay_alu instid0(SALU_CYCLE_1)
	s_xor_b32 s5, exec_lo, s6
	s_cbranch_execz .LBB88_53
; %bb.52:                               ;   in Loop: Header=BB88_11 Depth=3
	global_load_b64 v[0:1], v[0:1], off
	s_wait_loadcnt 0x0
	ds_store_b64 v81, v[0:1] offset:4224
.LBB88_53:                              ;   in Loop: Header=BB88_11 Depth=3
	s_wait_xcnt 0x0
	s_and_not1_saveexec_b32 s5, s5
	s_cbranch_execz .LBB88_10
; %bb.54:                               ;   in Loop: Header=BB88_11 Depth=3
	ds_store_b64 v81, v[40:41] offset:4224
	s_branch .LBB88_10
.LBB88_55:                              ;   in Loop: Header=BB88_8 Depth=2
	s_delay_alu instid0(VALU_DEP_2) | instskip(SKIP_2) | instid1(VALU_DEP_2)
	v_mul_u64_e32 v[0:1], s[28:29], v[56:57]
	v_cmp_gt_i32_e32 vcc_lo, s38, v56
	s_and_b32 s5, s2, vcc_lo
	v_lshl_add_u64 v[0:1], v[0:1], 3, s[22:23]
	s_and_saveexec_b32 s4, s5
	s_cbranch_execz .LBB88_57
; %bb.56:                               ;   in Loop: Header=BB88_8 Depth=2
	s_delay_alu instid0(VALU_DEP_1) | instskip(SKIP_4) | instid1(VALU_DEP_2)
	v_lshl_add_u64 v[2:3], v[24:25], 3, v[0:1]
	v_pk_mul_f32 v[6:7], v[84:85], v[52:53] op_sel_hi:[0,1]
	global_load_b64 v[4:5], v[2:3], off
	v_pk_fma_f32 v[8:9], v[80:81], v[44:45], v[6:7] op_sel_hi:[0,1,1]
	v_pk_fma_f32 v[6:7], v[80:81], v[44:45], v[6:7] neg_lo:[0,0,1] neg_hi:[0,0,1]
	v_mov_b32_e32 v7, v9
	s_wait_loadcnt 0x0
	s_delay_alu instid0(VALU_DEP_1)
	v_pk_add_f32 v[4:5], v[4:5], v[6:7]
	global_store_b64 v[2:3], v[4:5], off
.LBB88_57:                              ;   in Loop: Header=BB88_8 Depth=2
	s_wait_xcnt 0x0
	s_or_b32 exec_lo, exec_lo, s4
	s_and_b32 s5, s3, vcc_lo
	s_delay_alu instid0(SALU_CYCLE_1)
	s_and_saveexec_b32 s4, s5
	s_cbranch_execz .LBB88_59
; %bb.58:                               ;   in Loop: Header=BB88_8 Depth=2
	v_lshl_add_u64 v[0:1], v[28:29], 3, v[0:1]
	v_pk_mul_f32 v[4:5], v[82:83], v[52:53] op_sel_hi:[0,1]
	global_load_b64 v[2:3], v[0:1], off
	v_pk_fma_f32 v[6:7], v[78:79], v[44:45], v[4:5] op_sel_hi:[0,1,1]
	v_pk_fma_f32 v[4:5], v[78:79], v[44:45], v[4:5] neg_lo:[0,0,1] neg_hi:[0,0,1]
	s_delay_alu instid0(VALU_DEP_2) | instskip(SKIP_1) | instid1(VALU_DEP_1)
	v_mov_b32_e32 v5, v7
	s_wait_loadcnt 0x0
	v_pk_add_f32 v[2:3], v[2:3], v[4:5]
	global_store_b64 v[0:1], v[2:3], off
.LBB88_59:                              ;   in Loop: Header=BB88_8 Depth=2
	s_wait_xcnt 0x0
	s_or_b32 exec_lo, exec_lo, s4
	v_add_nc_u32_e32 v0, 16, v56
	s_delay_alu instid0(VALU_DEP_1) | instskip(SKIP_1) | instid1(VALU_DEP_2)
	v_ashrrev_i32_e32 v1, 31, v0
	v_cmp_gt_i32_e32 vcc_lo, s38, v0
	v_mul_u64_e32 v[2:3], s[28:29], v[0:1]
	s_and_b32 s5, s2, vcc_lo
	s_delay_alu instid0(VALU_DEP_1)
	v_lshl_add_u64 v[0:1], v[2:3], 3, s[22:23]
	s_and_saveexec_b32 s4, s5
	s_cbranch_execz .LBB88_61
; %bb.60:                               ;   in Loop: Header=BB88_8 Depth=2
	s_delay_alu instid0(VALU_DEP_1) | instskip(SKIP_4) | instid1(VALU_DEP_2)
	v_lshl_add_u64 v[2:3], v[24:25], 3, v[0:1]
	v_pk_mul_f32 v[6:7], v[76:77], v[52:53] op_sel_hi:[0,1]
	global_load_b64 v[4:5], v[2:3], off
	v_pk_fma_f32 v[8:9], v[74:75], v[44:45], v[6:7] op_sel_hi:[0,1,1]
	v_pk_fma_f32 v[6:7], v[74:75], v[44:45], v[6:7] neg_lo:[0,0,1] neg_hi:[0,0,1]
	v_mov_b32_e32 v7, v9
	s_wait_loadcnt 0x0
	s_delay_alu instid0(VALU_DEP_1)
	v_pk_add_f32 v[4:5], v[4:5], v[6:7]
	global_store_b64 v[2:3], v[4:5], off
.LBB88_61:                              ;   in Loop: Header=BB88_8 Depth=2
	s_wait_xcnt 0x0
	s_or_b32 exec_lo, exec_lo, s4
	s_and_b32 s5, s3, vcc_lo
	s_delay_alu instid0(SALU_CYCLE_1)
	s_and_saveexec_b32 s4, s5
	s_cbranch_execz .LBB88_7
; %bb.62:                               ;   in Loop: Header=BB88_8 Depth=2
	v_lshl_add_u64 v[0:1], v[28:29], 3, v[0:1]
	v_pk_mul_f32 v[4:5], v[16:17], v[52:53] op_sel_hi:[0,1]
	global_load_b64 v[2:3], v[0:1], off
	v_pk_fma_f32 v[6:7], v[18:19], v[44:45], v[4:5] op_sel_hi:[0,1,1]
	v_pk_fma_f32 v[4:5], v[18:19], v[44:45], v[4:5] neg_lo:[0,0,1] neg_hi:[0,0,1]
	s_delay_alu instid0(VALU_DEP_2) | instskip(SKIP_1) | instid1(VALU_DEP_1)
	v_mov_b32_e32 v5, v7
	s_wait_loadcnt 0x0
	v_pk_add_f32 v[2:3], v[2:3], v[4:5]
	global_store_b64 v[0:1], v[2:3], off
	s_branch .LBB88_7
.LBB88_63:
	s_sendmsg sendmsg(MSG_DEALLOC_VGPRS)
	s_endpgm
	.section	.rodata,"a",@progbits
	.p2align	6, 0x0
	.amdhsa_kernel _ZL30rocblas_trmm_outofplace_kernelI19rocblas_complex_numIfELi32ELi2ELb0ELb0ELb1ELb0EPKS1_S2_S1_Ev17rocblas_diagonal_iiT6_lPT7_lllS7_lllPT8_llli
		.amdhsa_group_segment_fixed_size 16384
		.amdhsa_private_segment_fixed_size 0
		.amdhsa_kernarg_size 392
		.amdhsa_user_sgpr_count 2
		.amdhsa_user_sgpr_dispatch_ptr 0
		.amdhsa_user_sgpr_queue_ptr 0
		.amdhsa_user_sgpr_kernarg_segment_ptr 1
		.amdhsa_user_sgpr_dispatch_id 0
		.amdhsa_user_sgpr_kernarg_preload_length 0
		.amdhsa_user_sgpr_kernarg_preload_offset 0
		.amdhsa_user_sgpr_private_segment_size 0
		.amdhsa_wavefront_size32 1
		.amdhsa_uses_dynamic_stack 0
		.amdhsa_enable_private_segment 0
		.amdhsa_system_sgpr_workgroup_id_x 1
		.amdhsa_system_sgpr_workgroup_id_y 1
		.amdhsa_system_sgpr_workgroup_id_z 1
		.amdhsa_system_sgpr_workgroup_info 0
		.amdhsa_system_vgpr_workitem_id 1
		.amdhsa_next_free_vgpr 108
		.amdhsa_next_free_sgpr 54
		.amdhsa_named_barrier_count 0
		.amdhsa_reserve_vcc 1
		.amdhsa_float_round_mode_32 0
		.amdhsa_float_round_mode_16_64 0
		.amdhsa_float_denorm_mode_32 3
		.amdhsa_float_denorm_mode_16_64 3
		.amdhsa_fp16_overflow 0
		.amdhsa_memory_ordered 1
		.amdhsa_forward_progress 1
		.amdhsa_inst_pref_size 59
		.amdhsa_round_robin_scheduling 0
		.amdhsa_exception_fp_ieee_invalid_op 0
		.amdhsa_exception_fp_denorm_src 0
		.amdhsa_exception_fp_ieee_div_zero 0
		.amdhsa_exception_fp_ieee_overflow 0
		.amdhsa_exception_fp_ieee_underflow 0
		.amdhsa_exception_fp_ieee_inexact 0
		.amdhsa_exception_int_div_zero 0
	.end_amdhsa_kernel
	.section	.text._ZL30rocblas_trmm_outofplace_kernelI19rocblas_complex_numIfELi32ELi2ELb0ELb0ELb1ELb0EPKS1_S2_S1_Ev17rocblas_diagonal_iiT6_lPT7_lllS7_lllPT8_llli,"axG",@progbits,_ZL30rocblas_trmm_outofplace_kernelI19rocblas_complex_numIfELi32ELi2ELb0ELb0ELb1ELb0EPKS1_S2_S1_Ev17rocblas_diagonal_iiT6_lPT7_lllS7_lllPT8_llli,comdat
.Lfunc_end88:
	.size	_ZL30rocblas_trmm_outofplace_kernelI19rocblas_complex_numIfELi32ELi2ELb0ELb0ELb1ELb0EPKS1_S2_S1_Ev17rocblas_diagonal_iiT6_lPT7_lllS7_lllPT8_llli, .Lfunc_end88-_ZL30rocblas_trmm_outofplace_kernelI19rocblas_complex_numIfELi32ELi2ELb0ELb0ELb1ELb0EPKS1_S2_S1_Ev17rocblas_diagonal_iiT6_lPT7_lllS7_lllPT8_llli
                                        ; -- End function
	.set _ZL30rocblas_trmm_outofplace_kernelI19rocblas_complex_numIfELi32ELi2ELb0ELb0ELb1ELb0EPKS1_S2_S1_Ev17rocblas_diagonal_iiT6_lPT7_lllS7_lllPT8_llli.num_vgpr, 108
	.set _ZL30rocblas_trmm_outofplace_kernelI19rocblas_complex_numIfELi32ELi2ELb0ELb0ELb1ELb0EPKS1_S2_S1_Ev17rocblas_diagonal_iiT6_lPT7_lllS7_lllPT8_llli.num_agpr, 0
	.set _ZL30rocblas_trmm_outofplace_kernelI19rocblas_complex_numIfELi32ELi2ELb0ELb0ELb1ELb0EPKS1_S2_S1_Ev17rocblas_diagonal_iiT6_lPT7_lllS7_lllPT8_llli.numbered_sgpr, 54
	.set _ZL30rocblas_trmm_outofplace_kernelI19rocblas_complex_numIfELi32ELi2ELb0ELb0ELb1ELb0EPKS1_S2_S1_Ev17rocblas_diagonal_iiT6_lPT7_lllS7_lllPT8_llli.num_named_barrier, 0
	.set _ZL30rocblas_trmm_outofplace_kernelI19rocblas_complex_numIfELi32ELi2ELb0ELb0ELb1ELb0EPKS1_S2_S1_Ev17rocblas_diagonal_iiT6_lPT7_lllS7_lllPT8_llli.private_seg_size, 0
	.set _ZL30rocblas_trmm_outofplace_kernelI19rocblas_complex_numIfELi32ELi2ELb0ELb0ELb1ELb0EPKS1_S2_S1_Ev17rocblas_diagonal_iiT6_lPT7_lllS7_lllPT8_llli.uses_vcc, 1
	.set _ZL30rocblas_trmm_outofplace_kernelI19rocblas_complex_numIfELi32ELi2ELb0ELb0ELb1ELb0EPKS1_S2_S1_Ev17rocblas_diagonal_iiT6_lPT7_lllS7_lllPT8_llli.uses_flat_scratch, 0
	.set _ZL30rocblas_trmm_outofplace_kernelI19rocblas_complex_numIfELi32ELi2ELb0ELb0ELb1ELb0EPKS1_S2_S1_Ev17rocblas_diagonal_iiT6_lPT7_lllS7_lllPT8_llli.has_dyn_sized_stack, 0
	.set _ZL30rocblas_trmm_outofplace_kernelI19rocblas_complex_numIfELi32ELi2ELb0ELb0ELb1ELb0EPKS1_S2_S1_Ev17rocblas_diagonal_iiT6_lPT7_lllS7_lllPT8_llli.has_recursion, 0
	.set _ZL30rocblas_trmm_outofplace_kernelI19rocblas_complex_numIfELi32ELi2ELb0ELb0ELb1ELb0EPKS1_S2_S1_Ev17rocblas_diagonal_iiT6_lPT7_lllS7_lllPT8_llli.has_indirect_call, 0
	.section	.AMDGPU.csdata,"",@progbits
; Kernel info:
; codeLenInByte = 7508
; TotalNumSgprs: 56
; NumVgprs: 108
; ScratchSize: 0
; MemoryBound: 1
; FloatMode: 240
; IeeeMode: 1
; LDSByteSize: 16384 bytes/workgroup (compile time only)
; SGPRBlocks: 0
; VGPRBlocks: 6
; NumSGPRsForWavesPerEU: 56
; NumVGPRsForWavesPerEU: 108
; NamedBarCnt: 0
; Occupancy: 9
; WaveLimiterHint : 0
; COMPUTE_PGM_RSRC2:SCRATCH_EN: 0
; COMPUTE_PGM_RSRC2:USER_SGPR: 2
; COMPUTE_PGM_RSRC2:TRAP_HANDLER: 0
; COMPUTE_PGM_RSRC2:TGID_X_EN: 1
; COMPUTE_PGM_RSRC2:TGID_Y_EN: 1
; COMPUTE_PGM_RSRC2:TGID_Z_EN: 1
; COMPUTE_PGM_RSRC2:TIDIG_COMP_CNT: 1
	.section	.text._ZL30rocblas_trmm_outofplace_kernelI19rocblas_complex_numIfELi32ELi2ELb0ELb0ELb1ELb0ES1_KS1_S1_Ev17rocblas_diagonal_iiT6_lPT7_lllS6_lllPT8_llli,"axG",@progbits,_ZL30rocblas_trmm_outofplace_kernelI19rocblas_complex_numIfELi32ELi2ELb0ELb0ELb1ELb0ES1_KS1_S1_Ev17rocblas_diagonal_iiT6_lPT7_lllS6_lllPT8_llli,comdat
	.globl	_ZL30rocblas_trmm_outofplace_kernelI19rocblas_complex_numIfELi32ELi2ELb0ELb0ELb1ELb0ES1_KS1_S1_Ev17rocblas_diagonal_iiT6_lPT7_lllS6_lllPT8_llli ; -- Begin function _ZL30rocblas_trmm_outofplace_kernelI19rocblas_complex_numIfELi32ELi2ELb0ELb0ELb1ELb0ES1_KS1_S1_Ev17rocblas_diagonal_iiT6_lPT7_lllS6_lllPT8_llli
	.p2align	8
	.type	_ZL30rocblas_trmm_outofplace_kernelI19rocblas_complex_numIfELi32ELi2ELb0ELb0ELb1ELb0ES1_KS1_S1_Ev17rocblas_diagonal_iiT6_lPT7_lllS6_lllPT8_llli,@function
_ZL30rocblas_trmm_outofplace_kernelI19rocblas_complex_numIfELi32ELi2ELb0ELb0ELb1ELb0ES1_KS1_S1_Ev17rocblas_diagonal_iiT6_lPT7_lllS6_lllPT8_llli: ; @_ZL30rocblas_trmm_outofplace_kernelI19rocblas_complex_numIfELi32ELi2ELb0ELb0ELb1ELb0ES1_KS1_S1_Ev17rocblas_diagonal_iiT6_lPT7_lllS6_lllPT8_llli
; %bb.0:
	s_load_b32 s31, s[0:1], 0x80
	s_bfe_u32 s2, ttmp6, 0x40014
	s_lshr_b32 s3, ttmp7, 16
	s_add_co_i32 s2, s2, 1
	s_bfe_u32 s5, ttmp6, 0x40008
	s_mul_i32 s4, s3, s2
	s_getreg_b32 s2, hwreg(HW_REG_IB_STS2, 6, 4)
	s_add_co_i32 s5, s5, s4
	s_cmp_eq_u32 s2, 0
	s_cselect_b32 s34, s3, s5
	s_wait_kmcnt 0x0
	s_cmp_ge_u32 s34, s31
	s_cbranch_scc1 .LBB89_62
; %bb.1:
	s_load_b64 s[36:37], s[0:1], 0xc
	s_wait_kmcnt 0x0
	s_or_b32 s3, s36, s37
	s_delay_alu instid0(SALU_CYCLE_1) | instskip(NEXT) | instid1(SALU_CYCLE_1)
	s_bitset0_b32 s3, 31
	s_cmp_eq_u32 s3, 0
	s_cbranch_scc1 .LBB89_62
; %bb.2:
	s_clause 0x1
	s_load_b96 s[28:30], s[0:1], 0x0
	s_load_b512 s[4:19], s[0:1], 0x20
	s_bfe_u32 s33, ttmp6, 0x4000c
	s_and_b32 s3, ttmp6, 15
	s_add_co_i32 s33, s33, 1
	s_bfe_u32 s39, ttmp6, 0x40010
	s_mul_i32 s33, ttmp9, s33
	s_and_b32 s38, ttmp7, 0xffff
	s_add_co_i32 s39, s39, 1
	s_add_co_i32 s3, s3, s33
	s_bfe_u32 s40, ttmp6, 0x40004
	s_mul_i32 s39, s38, s39
	v_and_b32_e32 v20, 0x3ff, v0
	v_bfe_u32 v22, v0, 10, 10
	v_mov_b32_e32 v21, 0
	s_add_co_i32 s40, s40, s39
	s_load_b256 s[20:27], s[0:1], 0x60
	s_delay_alu instid0(VALU_DEP_2) | instskip(NEXT) | instid1(VALU_DEP_2)
	v_dual_lshlrev_b32 v8, 3, v20 :: v_dual_lshlrev_b32 v71, 8, v22
	v_mov_b32_e32 v23, v21
	s_wait_kmcnt 0x0
	s_add_co_i32 s41, s30, -1
	v_lshlrev_b32_e32 v2, 3, v22
	s_ashr_i32 s42, s41, 31
	v_add_nc_u32_e32 v73, v71, v8
	s_lshr_b32 s33, s42, 27
	v_mul_u64_e32 v[0:1], s[16:17], v[22:23]
	s_add_co_i32 s41, s41, s33
	v_mul_u64_e32 v[4:5], s[8:9], v[20:21]
	s_ashr_i32 s33, s41, 5
	s_cmp_eq_u32 s2, 0
	v_or_b32_e32 v75, 0x2000, v8
	s_cselect_b32 s2, ttmp9, s3
	s_cselect_b32 s44, s38, s40
	v_lshl_add_u32 v24, s2, 5, v20
	s_cmp_le_i32 s44, s33
	s_mov_b32 s2, s29
	s_cselect_b32 s45, -1, 0
	s_cmp_eq_u32 s28, 0x84
	v_dual_ashrrev_i32 v25, 31, v24 :: v_dual_mov_b32 v3, v21
	s_cselect_b32 s46, -1, 0
	s_ashr_i32 s3, s29, 31
	v_dual_add_nc_u32 v77, v75, v71 :: v_dual_add_nc_u32 v28, 16, v24
	s_delay_alu instid0(VALU_DEP_2)
	v_add_nc_u64_e32 v[2:3], 0x80, v[2:3]
	v_sub_nc_u64_e32 v[6:7], s[2:3], v[24:25]
	s_lshl_b64 s[2:3], s[22:23], 3
	s_add_nc_u64 s[22:23], s[0:1], 0x88
	s_add_nc_u64 s[20:21], s[20:21], s[2:3]
	s_lshl_b64 s[2:3], s[6:7], 3
	s_lshl_b64 s[6:7], s[14:15], 3
	v_mul_u64_e32 v[26:27], s[16:17], v[2:3]
	v_cmp_gt_i64_e64 s0, 1, v[6:7]
	v_cmp_gt_i64_e64 s1, 17, v[6:7]
	v_add_nc_u32_e32 v6, 0x80, v8
	s_add_nc_u64 s[4:5], s[4:5], s[2:3]
	s_add_nc_u64 s[6:7], s[12:13], s[6:7]
	v_sub_nc_u64_e32 v[32:33], 0, v[20:21]
	v_lshl_add_u64 v[2:3], v[24:25], 3, s[6:7]
	v_mad_nc_u64_u32 v[30:31], s8, v6, s[4:5]
	v_lshlrev_b64_e32 v[34:35], 3, v[0:1]
	v_mov_b64_e32 v[40:41], 0
	v_mov_b64_e32 v[42:43], 0x3f800000
	v_add_nc_u64_e32 v[36:37], 0x80, v[2:3]
	v_cmp_gt_i32_e64 s2, s29, v24
	v_cmp_gt_i32_e64 s3, s29, v28
	v_ashrrev_i32_e32 v29, 31, v28
	v_lshl_add_u32 v79, s44, 5, v22
	v_lshl_add_u64 v[38:39], v[4:5], 3, s[4:5]
	v_add_nc_u32_e32 v81, 0x800, v75
	v_mad_u32 v31, s9, v6, v31
	v_add_nc_u32_e32 v82, 0x1000, v75
	v_add_nc_u32_e32 v83, 0x1800, v75
	s_mov_b32 s38, s30
	s_ashr_i32 s39, s30, 31
	s_mov_b32 s35, 0
	s_lshl_b64 s[40:41], s[8:9], 8
	s_lshl_b64 s[42:43], s[16:17], 8
	s_add_nc_u64 s[16:17], s[38:39], -16
	s_mov_b32 s12, s37
	s_mov_b32 s13, s36
	s_lshl_b64 s[14:15], s[18:19], 3
	s_lshl_b64 s[10:11], s[10:11], 3
	s_branch .LBB89_4
.LBB89_3:                               ;   in Loop: Header=BB89_4 Depth=1
	s_add_co_i32 s34, s34, 0x10000
	s_delay_alu instid0(SALU_CYCLE_1)
	s_cmp_ge_u32 s34, s31
	s_cbranch_scc1 .LBB89_62
.LBB89_4:                               ; =>This Loop Header: Depth=1
                                        ;     Child Loop BB89_7 Depth 2
                                        ;       Child Loop BB89_10 Depth 3
	s_and_not1_b32 vcc_lo, exec_lo, s45
	s_cbranch_vccnz .LBB89_3
; %bb.5:                                ;   in Loop: Header=BB89_4 Depth=1
	s_load_b32 s47, s[22:23], 0x4
	v_mad_nc_u64_u32 v[44:45], s14, s34, v[36:37]
	v_mad_nc_u64_u32 v[46:47], s10, s34, v[30:31]
	;; [unrolled: 1-line block ×3, first 2 shown]
	s_mul_i32 s6, s11, s34
	s_mul_u64 s[4:5], s[26:27], s[34:35]
	v_mov_b32_e32 v50, v79
	s_lshl_b64 s[4:5], s[4:5], 3
	s_mov_b32 s49, s44
	s_add_nc_u64 s[18:19], s[20:21], s[4:5]
	s_delay_alu instid0(VALU_DEP_4) | instskip(NEXT) | instid1(VALU_DEP_3)
	v_mad_u32 v45, s15, s34, v45
	v_dual_add_nc_u32 v47, s6, v47 :: v_dual_add_nc_u32 v49, s6, v49
	s_wait_kmcnt 0x0
	s_lshl_b32 s48, s47, 5
	s_branch .LBB89_7
.LBB89_6:                               ;   in Loop: Header=BB89_7 Depth=2
	s_wait_xcnt 0x0
	s_or_b32 exec_lo, exec_lo, s4
	v_add_nc_u32_e32 v50, s48, v50
	s_add_co_i32 s49, s47, s49
	s_delay_alu instid0(SALU_CYCLE_1)
	s_cmp_gt_i32 s49, s33
	s_cbranch_scc1 .LBB89_3
.LBB89_7:                               ;   Parent Loop BB89_4 Depth=1
                                        ; =>  This Loop Header: Depth=2
                                        ;       Child Loop BB89_10 Depth 3
	s_lshl_b32 s50, s49, 5
	s_delay_alu instid0(SALU_CYCLE_1) | instskip(SKIP_2) | instid1(VALU_DEP_3)
	v_dual_mov_b32 v78, 0 :: v_dual_add_nc_u32 v52, s50, v22
	v_dual_mov_b32 v80, 0 :: v_dual_mov_b32 v74, 0
	v_dual_mov_b32 v76, 0 :: v_dual_mov_b32 v70, 0
	v_dual_mov_b32 v72, 0 :: v_dual_ashrrev_i32 v53, 31, v52
	v_dual_mov_b32 v18, 0 :: v_dual_mov_b32 v16, 0
	s_cmp_lt_i32 s49, 0
	s_cbranch_scc1 .LBB89_54
; %bb.8:                                ;   in Loop: Header=BB89_7 Depth=2
	v_dual_mov_b32 v16, 0 :: v_dual_ashrrev_i32 v51, 31, v50
	v_add_nc_u64_e32 v[54:55], 16, v[52:53]
	v_mov_b64_e32 v[58:59], v[48:49]
	v_mov_b64_e32 v[60:61], v[46:47]
	s_delay_alu instid0(VALU_DEP_4)
	v_add_nc_u64_e32 v[56:57], v[32:33], v[50:51]
	v_mov_b64_e32 v[62:63], v[44:45]
	v_lshlrev_b64_e32 v[64:65], 3, v[50:51]
	v_dual_mov_b32 v18, 0 :: v_dual_mov_b32 v72, 0
	v_cmp_le_i64_e64 s4, s[38:39], v[54:55]
	v_dual_mov_b32 v70, 0 :: v_dual_mov_b32 v76, 0
	v_add_nc_u64_e32 v[66:67], 16, v[56:57]
	v_add_nc_u64_e32 v[68:69], -16, v[56:57]
	v_dual_mov_b32 v74, 0 :: v_dual_mov_b32 v80, 0
	v_mov_b32_e32 v78, 0
	s_mov_b64 s[28:29], 0
	v_cmp_le_i32_e32 vcc_lo, s30, v52
	s_branch .LBB89_10
.LBB89_9:                               ;   in Loop: Header=BB89_10 Depth=3
	s_or_b32 exec_lo, exec_lo, s5
	s_wait_dscnt 0x0
	s_barrier_signal -1
	s_barrier_wait -1
	ds_load_b128 v[84:87], v71
	ds_load_2addr_b64 v[88:91], v75 offset1:16
	ds_load_b128 v[92:95], v71 offset:4096
	ds_load_b128 v[8:11], v71 offset:16
	ds_load_b128 v[4:7], v71 offset:32
	ds_load_b128 v[0:3], v71 offset:48
	ds_load_2addr_b64 v[96:99], v75 offset0:32 offset1:48
	ds_load_b128 v[12:15], v71 offset:4112
	v_add_nc_u64_e32 v[62:63], s[42:43], v[62:63]
	v_add_nc_u64_e32 v[60:61], s[40:41], v[60:61]
	;; [unrolled: 1-line block ×3, first 2 shown]
	s_add_nc_u64 s[28:29], s[28:29], 32
	s_delay_alu instid0(SALU_CYCLE_1) | instskip(NEXT) | instid1(SALU_CYCLE_1)
	s_sub_co_i32 s5, s28, 32
	s_cmp_ge_i32 s5, s50
	s_wait_dscnt 0x6
	v_dual_mul_f32 v17, v85, v89 :: v_dual_mul_f32 v19, v84, v89
	v_dual_mul_f32 v51, v85, v91 :: v_dual_mul_f32 v100, v84, v91
	s_wait_dscnt 0x5
	v_dual_mul_f32 v101, v93, v89 :: v_dual_mul_f32 v89, v92, v89
	v_dual_mul_f32 v102, v93, v91 :: v_dual_mul_f32 v103, v92, v91
	v_dual_fma_f32 v17, v84, v88, -v17 :: v_dual_fmac_f32 v19, v85, v88
	v_dual_fma_f32 v51, v84, v90, -v51 :: v_dual_fmac_f32 v100, v85, v90
	s_delay_alu instid0(VALU_DEP_2) | instskip(NEXT) | instid1(VALU_DEP_4)
	v_dual_fmac_f32 v89, v93, v88 :: v_dual_add_f32 v17, v78, v17
	v_dual_fma_f32 v84, v92, v88, -v101 :: v_dual_fma_f32 v85, v92, v90, -v102
	s_delay_alu instid0(VALU_DEP_3) | instskip(NEXT) | instid1(VALU_DEP_3)
	v_dual_add_f32 v51, v74, v51 :: v_dual_add_f32 v74, v76, v100
	v_dual_add_f32 v72, v72, v89 :: v_dual_fmac_f32 v103, v93, v90
	s_wait_dscnt 0x1
	v_dual_mul_f32 v76, v87, v97 :: v_dual_mul_f32 v78, v86, v97
	ds_load_2addr_b64 v[88:91], v75 offset0:64 offset1:80
	v_dual_add_f32 v19, v80, v19 :: v_dual_add_f32 v70, v70, v84
	v_dual_add_f32 v18, v18, v85 :: v_dual_mul_f32 v80, v87, v99
	v_dual_fma_f32 v76, v86, v96, -v76 :: v_dual_add_f32 v84, v16, v103
	v_dual_fmac_f32 v78, v87, v96 :: v_dual_mul_f32 v16, v86, v99
	s_delay_alu instid0(VALU_DEP_2) | instskip(NEXT) | instid1(VALU_DEP_4)
	v_dual_mul_f32 v85, v94, v99 :: v_dual_add_f32 v76, v17, v76
	v_dual_fma_f32 v17, v86, v98, -v80 :: v_dual_mul_f32 v80, v95, v97
	s_delay_alu instid0(VALU_DEP_3) | instskip(NEXT) | instid1(VALU_DEP_4)
	v_add_f32_e32 v78, v19, v78
	v_dual_fmac_f32 v16, v87, v98 :: v_dual_mul_f32 v19, v94, v97
	s_delay_alu instid0(VALU_DEP_3) | instskip(NEXT) | instid1(VALU_DEP_2)
	v_dual_add_f32 v51, v51, v17 :: v_dual_fma_f32 v17, v94, v96, -v80
	v_dual_mul_f32 v80, v95, v99 :: v_dual_add_f32 v74, v74, v16
	s_delay_alu instid0(VALU_DEP_3) | instskip(NEXT) | instid1(VALU_DEP_3)
	v_dual_fmac_f32 v19, v95, v96 :: v_dual_fmac_f32 v85, v95, v98
	v_add_f32_e32 v70, v70, v17
	s_wait_dscnt 0x0
	s_delay_alu instid0(VALU_DEP_3) | instskip(NEXT) | instid1(VALU_DEP_3)
	v_dual_fma_f32 v16, v94, v98, -v80 :: v_dual_mul_f32 v17, v9, v89
	v_add_f32_e32 v72, v72, v19
	v_dual_mul_f32 v80, v8, v89 :: v_dual_mul_f32 v92, v9, v91
	s_delay_alu instid0(VALU_DEP_3) | instskip(NEXT) | instid1(VALU_DEP_4)
	v_add_f32_e32 v86, v18, v16
	v_fma_f32 v87, v8, v88, -v17
	ds_load_2addr_b64 v[16:19], v75 offset0:96 offset1:112
	v_dual_fmac_f32 v80, v9, v88 :: v_dual_add_f32 v93, v84, v85
	v_dual_mul_f32 v84, v8, v91 :: v_dual_fma_f32 v8, v8, v90, -v92
	s_delay_alu instid0(VALU_DEP_2) | instskip(SKIP_1) | instid1(VALU_DEP_3)
	v_dual_add_f32 v76, v76, v87 :: v_dual_add_f32 v78, v78, v80
	v_dual_mul_f32 v80, v13, v89 :: v_dual_mul_f32 v85, v12, v89
	v_dual_fmac_f32 v84, v9, v90 :: v_dual_add_f32 v8, v51, v8
	s_delay_alu instid0(VALU_DEP_2) | instskip(NEXT) | instid1(VALU_DEP_3)
	v_dual_mul_f32 v9, v13, v91 :: v_dual_fma_f32 v51, v12, v88, -v80
	v_dual_fmac_f32 v85, v13, v88 :: v_dual_mul_f32 v80, v12, v91
	s_delay_alu instid0(VALU_DEP_2) | instskip(NEXT) | instid1(VALU_DEP_2)
	v_dual_add_f32 v74, v74, v84 :: v_dual_fma_f32 v9, v12, v90, -v9
	v_dual_add_f32 v12, v70, v51 :: v_dual_add_f32 v51, v72, v85
	s_wait_dscnt 0x0
	s_delay_alu instid0(VALU_DEP_3)
	v_dual_fmac_f32 v80, v13, v90 :: v_dual_mul_f32 v13, v11, v17
	v_mul_f32_e32 v70, v10, v17
	v_dual_add_f32 v9, v86, v9 :: v_dual_mul_f32 v72, v11, v19
	ds_load_2addr_b64 v[84:87], v75 offset0:128 offset1:144
	v_dual_fma_f32 v13, v10, v16, -v13 :: v_dual_mul_f32 v88, v10, v19
	v_dual_add_f32 v80, v93, v80 :: v_dual_fma_f32 v10, v10, v18, -v72
	s_delay_alu instid0(VALU_DEP_2) | instskip(SKIP_1) | instid1(VALU_DEP_4)
	v_dual_fmac_f32 v70, v11, v16 :: v_dual_add_f32 v72, v76, v13
	v_mul_f32_e32 v13, v15, v17
	v_fmac_f32_e32 v88, v11, v18
	s_delay_alu instid0(VALU_DEP_3) | instskip(NEXT) | instid1(VALU_DEP_3)
	v_add_f32_e32 v11, v78, v70
	v_dual_add_f32 v70, v8, v10 :: v_dual_fma_f32 v10, v14, v16, -v13
	v_mul_f32_e32 v8, v14, v17
	s_delay_alu instid0(VALU_DEP_4) | instskip(SKIP_4) | instid1(VALU_DEP_2)
	v_dual_add_f32 v17, v74, v88 :: v_dual_mul_f32 v13, v15, v19
	ds_load_b128 v[88:91], v71 offset:4128
	v_dual_fmac_f32 v8, v15, v16 :: v_dual_add_f32 v16, v12, v10
	v_dual_mul_f32 v10, v14, v19 :: v_dual_fma_f32 v12, v14, v18, -v13
	s_wait_dscnt 0x1
	v_dual_mul_f32 v13, v5, v85 :: v_dual_add_f32 v19, v51, v8
	s_delay_alu instid0(VALU_DEP_2) | instskip(NEXT) | instid1(VALU_DEP_3)
	v_dual_mul_f32 v8, v4, v85 :: v_dual_fmac_f32 v10, v15, v18
	v_add_f32_e32 v18, v9, v12
	s_delay_alu instid0(VALU_DEP_3) | instskip(SKIP_4) | instid1(VALU_DEP_3)
	v_fma_f32 v9, v4, v84, -v13
	ds_load_2addr_b64 v[12:15], v75 offset0:160 offset1:176
	v_dual_fmac_f32 v8, v5, v84 :: v_dual_mul_f32 v51, v5, v87
	v_add_f32_e32 v74, v80, v10
	v_add_f32_e32 v72, v72, v9
	v_dual_mul_f32 v76, v4, v87 :: v_dual_add_f32 v78, v11, v8
	ds_load_b128 v[8:11], v71 offset:4144
	s_wait_dscnt 0x2
	v_dual_fma_f32 v4, v4, v86, -v51 :: v_dual_mul_f32 v51, v89, v85
	v_dual_fmac_f32 v76, v5, v86 :: v_dual_mul_f32 v5, v88, v85
	s_delay_alu instid0(VALU_DEP_2) | instskip(NEXT) | instid1(VALU_DEP_2)
	v_dual_add_f32 v4, v70, v4 :: v_dual_mul_f32 v70, v89, v87
	v_dual_fma_f32 v51, v88, v84, -v51 :: v_dual_fmac_f32 v5, v89, v84
	s_delay_alu instid0(VALU_DEP_3) | instskip(NEXT) | instid1(VALU_DEP_3)
	v_dual_add_f32 v17, v17, v76 :: v_dual_mul_f32 v76, v88, v87
	v_fma_f32 v70, v88, v86, -v70
	s_delay_alu instid0(VALU_DEP_3) | instskip(SKIP_1) | instid1(VALU_DEP_3)
	v_dual_add_f32 v16, v16, v51 :: v_dual_add_f32 v5, v19, v5
	s_wait_dscnt 0x1
	v_dual_mul_f32 v51, v7, v13 :: v_dual_fmac_f32 v76, v89, v86
	s_delay_alu instid0(VALU_DEP_3) | instskip(SKIP_4) | instid1(VALU_DEP_2)
	v_add_f32_e32 v70, v18, v70
	v_mul_f32_e32 v18, v6, v13
	ds_load_2addr_b64 v[84:87], v75 offset0:192 offset1:208
	v_dual_fma_f32 v19, v6, v12, -v51 :: v_dual_mul_f32 v51, v7, v15
	v_fmac_f32_e32 v18, v7, v12
	v_dual_add_f32 v74, v74, v76 :: v_dual_add_f32 v72, v72, v19
	s_delay_alu instid0(VALU_DEP_3) | instskip(SKIP_1) | instid1(VALU_DEP_4)
	v_dual_mul_f32 v19, v6, v15 :: v_dual_fma_f32 v6, v6, v14, -v51
	v_dual_mul_f32 v51, v91, v13 :: v_dual_mul_f32 v13, v90, v13
	v_add_f32_e32 v76, v78, v18
	s_delay_alu instid0(VALU_DEP_3) | instskip(NEXT) | instid1(VALU_DEP_3)
	v_fmac_f32_e32 v19, v7, v14
	v_dual_add_f32 v4, v4, v6 :: v_dual_fma_f32 v6, v90, v12, -v51
	s_delay_alu instid0(VALU_DEP_4) | instskip(NEXT) | instid1(VALU_DEP_2)
	v_dual_fmac_f32 v13, v91, v12 :: v_dual_mul_f32 v7, v91, v15
	v_dual_mul_f32 v15, v90, v15 :: v_dual_add_f32 v6, v16, v6
	s_delay_alu instid0(VALU_DEP_2)
	v_dual_add_f32 v12, v17, v19 :: v_dual_fma_f32 v7, v90, v14, -v7
	ds_load_2addr_b64 v[16:19], v75 offset0:224 offset1:240
	v_dual_add_f32 v5, v5, v13 :: v_dual_fmac_f32 v15, v91, v14
	s_wait_dscnt 0x1
	v_dual_mul_f32 v13, v1, v85 :: v_dual_mul_f32 v14, v0, v85
	v_mul_f32_e32 v51, v1, v87
	s_delay_alu instid0(VALU_DEP_2) | instskip(NEXT) | instid1(VALU_DEP_3)
	v_dual_add_f32 v7, v70, v7 :: v_dual_fma_f32 v13, v0, v84, -v13
	v_dual_fmac_f32 v14, v1, v84 :: v_dual_mul_f32 v70, v0, v87
	s_delay_alu instid0(VALU_DEP_3) | instskip(NEXT) | instid1(VALU_DEP_3)
	v_dual_fma_f32 v0, v0, v86, -v51 :: v_dual_add_f32 v74, v74, v15
	v_add_f32_e32 v72, v72, v13
	s_delay_alu instid0(VALU_DEP_3) | instskip(NEXT) | instid1(VALU_DEP_4)
	v_add_f32_e32 v51, v76, v14
	v_dual_fmac_f32 v70, v1, v86 :: v_dual_mul_f32 v13, v8, v85
	s_delay_alu instid0(VALU_DEP_4) | instskip(NEXT) | instid1(VALU_DEP_2)
	v_dual_mul_f32 v1, v9, v85 :: v_dual_add_f32 v0, v4, v0
	v_dual_mul_f32 v4, v9, v87 :: v_dual_add_f32 v70, v12, v70
	s_delay_alu instid0(VALU_DEP_3) | instskip(NEXT) | instid1(VALU_DEP_3)
	v_fmac_f32_e32 v13, v9, v84
	v_dual_fma_f32 v1, v8, v84, -v1 :: v_dual_mul_f32 v76, v8, v87
	s_wait_dscnt 0x0
	s_delay_alu instid0(VALU_DEP_3) | instskip(NEXT) | instid1(VALU_DEP_3)
	v_dual_fma_f32 v4, v8, v86, -v4 :: v_dual_mul_f32 v8, v3, v17
	v_add_f32_e32 v78, v5, v13
	s_delay_alu instid0(VALU_DEP_3) | instskip(NEXT) | instid1(VALU_DEP_3)
	v_dual_add_f32 v1, v6, v1 :: v_dual_fmac_f32 v76, v9, v86
	v_add_f32_e32 v9, v7, v4
	s_delay_alu instid0(VALU_DEP_4) | instskip(NEXT) | instid1(VALU_DEP_3)
	v_dual_fma_f32 v4, v2, v16, -v8 :: v_dual_mul_f32 v5, v2, v17
	v_dual_mul_f32 v6, v3, v19 :: v_dual_add_f32 v74, v74, v76
	ds_load_b128 v[12:15], v71 offset:64
	ds_load_2addr_b64 v[84:87], v81 offset1:16
	v_dual_mul_f32 v7, v2, v19 :: v_dual_fmac_f32 v5, v3, v16
	v_dual_add_f32 v72, v72, v4 :: v_dual_fma_f32 v2, v2, v18, -v6
	v_mul_f32_e32 v4, v11, v17
	s_delay_alu instid0(VALU_DEP_3) | instskip(NEXT) | instid1(VALU_DEP_4)
	v_fmac_f32_e32 v7, v3, v18
	v_add_f32_e32 v51, v51, v5
	s_delay_alu instid0(VALU_DEP_4) | instskip(NEXT) | instid1(VALU_DEP_4)
	v_dual_mul_f32 v3, v10, v17 :: v_dual_add_f32 v17, v0, v2
	v_dual_fma_f32 v0, v10, v16, -v4 :: v_dual_mul_f32 v2, v11, v19
	ds_load_b128 v[88:91], v71 offset:4160
	v_dual_add_f32 v70, v70, v7 :: v_dual_fmac_f32 v3, v11, v16
	v_dual_add_f32 v16, v1, v0 :: v_dual_fma_f32 v0, v10, v18, -v2
	v_mul_f32_e32 v1, v10, v19
	ds_load_b128 v[4:7], v71 offset:80
	s_wait_dscnt 0x2
	v_dual_add_f32 v19, v78, v3 :: v_dual_mul_f32 v2, v13, v85
	v_dual_mul_f32 v3, v12, v85 :: v_dual_fmac_f32 v1, v11, v18
	v_add_f32_e32 v18, v9, v0
	ds_load_2addr_b64 v[8:11], v81 offset0:32 offset1:48
	v_dual_fma_f32 v0, v12, v84, -v2 :: v_dual_fmac_f32 v3, v13, v84
	v_dual_mul_f32 v2, v13, v87 :: v_dual_add_f32 v74, v74, v1
	s_delay_alu instid0(VALU_DEP_2) | instskip(NEXT) | instid1(VALU_DEP_2)
	v_add_f32_e32 v72, v72, v0
	v_dual_mul_f32 v76, v12, v87 :: v_dual_fma_f32 v12, v12, v86, -v2
	s_wait_dscnt 0x2
	v_dual_add_f32 v51, v51, v3 :: v_dual_mul_f32 v78, v89, v85
	ds_load_b128 v[0:3], v71 offset:4176
	v_dual_fmac_f32 v76, v13, v86 :: v_dual_mul_f32 v13, v88, v85
	v_add_f32_e32 v12, v17, v12
	v_dual_mul_f32 v17, v89, v87 :: v_dual_fma_f32 v78, v88, v84, -v78
	s_delay_alu instid0(VALU_DEP_3) | instskip(NEXT) | instid1(VALU_DEP_4)
	v_add_f32_e32 v70, v70, v76
	v_dual_fmac_f32 v13, v89, v84 :: v_dual_mul_f32 v76, v88, v87
	s_delay_alu instid0(VALU_DEP_3) | instskip(SKIP_2) | instid1(VALU_DEP_3)
	v_fma_f32 v17, v88, v86, -v17
	s_wait_dscnt 0x1
	v_dual_add_f32 v78, v16, v78 :: v_dual_mul_f32 v16, v15, v9
	v_dual_mul_f32 v84, v14, v9 :: v_dual_fmac_f32 v76, v89, v86
	v_add_f32_e32 v13, v19, v13
	v_dual_add_f32 v80, v18, v17 :: v_dual_mul_f32 v86, v15, v11
	s_delay_alu instid0(VALU_DEP_4)
	v_fma_f32 v85, v14, v8, -v16
	ds_load_2addr_b64 v[16:19], v81 offset0:64 offset1:80
	v_add_f32_e32 v74, v74, v76
	v_dual_mul_f32 v76, v14, v11 :: v_dual_fmac_f32 v84, v15, v8
	v_dual_fma_f32 v14, v14, v10, -v86 :: v_dual_add_f32 v72, v72, v85
	v_dual_mul_f32 v85, v91, v9 :: v_dual_mul_f32 v9, v90, v9
	s_delay_alu instid0(VALU_DEP_2) | instskip(NEXT) | instid1(VALU_DEP_2)
	v_dual_add_f32 v51, v51, v84 :: v_dual_add_f32 v84, v12, v14
	v_dual_fmac_f32 v76, v15, v10 :: v_dual_fma_f32 v12, v90, v8, -v85
	s_delay_alu instid0(VALU_DEP_3) | instskip(SKIP_1) | instid1(VALU_DEP_3)
	v_dual_fmac_f32 v9, v91, v8 :: v_dual_mul_f32 v8, v91, v11
	v_mul_f32_e32 v11, v90, v11
	v_add_f32_e32 v70, v70, v76
	s_delay_alu instid0(VALU_DEP_3) | instskip(NEXT) | instid1(VALU_DEP_4)
	v_dual_add_f32 v76, v78, v12 :: v_dual_add_f32 v9, v13, v9
	v_fma_f32 v8, v90, v10, -v8
	ds_load_2addr_b64 v[12:15], v81 offset0:96 offset1:112
	s_wait_dscnt 0x1
	v_dual_mul_f32 v78, v5, v17 :: v_dual_fmac_f32 v11, v91, v10
	v_mul_f32_e32 v10, v4, v17
	v_dual_add_f32 v8, v80, v8 :: v_dual_mul_f32 v80, v5, v19
	s_delay_alu instid0(VALU_DEP_3) | instskip(NEXT) | instid1(VALU_DEP_3)
	v_dual_fma_f32 v78, v4, v16, -v78 :: v_dual_mul_f32 v85, v4, v19
	v_dual_fmac_f32 v10, v5, v16 :: v_dual_add_f32 v74, v74, v11
	s_delay_alu instid0(VALU_DEP_3) | instskip(NEXT) | instid1(VALU_DEP_3)
	v_fma_f32 v4, v4, v18, -v80
	v_add_f32_e32 v72, v72, v78
	s_delay_alu instid0(VALU_DEP_4) | instskip(NEXT) | instid1(VALU_DEP_4)
	v_fmac_f32_e32 v85, v5, v18
	v_dual_add_f32 v51, v51, v10 :: v_dual_mul_f32 v10, v0, v17
	s_delay_alu instid0(VALU_DEP_4) | instskip(NEXT) | instid1(VALU_DEP_3)
	v_dual_mul_f32 v5, v1, v17 :: v_dual_add_f32 v4, v84, v4
	v_dual_mul_f32 v11, v1, v19 :: v_dual_add_f32 v70, v70, v85
	s_delay_alu instid0(VALU_DEP_3) | instskip(NEXT) | instid1(VALU_DEP_2)
	v_dual_fmac_f32 v10, v1, v16 :: v_dual_mul_f32 v78, v0, v19
	v_dual_fma_f32 v5, v0, v16, -v5 :: v_dual_fma_f32 v0, v0, v18, -v11
	s_wait_dscnt 0x0
	v_dual_mul_f32 v11, v7, v13 :: v_dual_mul_f32 v80, v6, v13
	s_delay_alu instid0(VALU_DEP_2) | instskip(NEXT) | instid1(VALU_DEP_3)
	v_dual_fmac_f32 v78, v1, v18 :: v_dual_add_f32 v5, v76, v5
	v_dual_add_f32 v76, v9, v10 :: v_dual_add_f32 v0, v8, v0
	s_delay_alu instid0(VALU_DEP_3) | instskip(SKIP_4) | instid1(VALU_DEP_2)
	v_fma_f32 v1, v6, v12, -v11
	ds_load_b128 v[8:11], v71 offset:96
	ds_load_2addr_b64 v[16:19], v81 offset0:128 offset1:144
	v_dual_mul_f32 v84, v7, v15 :: v_dual_add_f32 v74, v74, v78
	v_dual_fmac_f32 v80, v7, v12 :: v_dual_mul_f32 v78, v6, v15
	v_dual_add_f32 v1, v72, v1 :: v_dual_fma_f32 v6, v6, v14, -v84
	v_dual_mul_f32 v72, v3, v13 :: v_dual_mul_f32 v13, v2, v13
	s_delay_alu instid0(VALU_DEP_3) | instskip(NEXT) | instid1(VALU_DEP_4)
	v_add_f32_e32 v51, v51, v80
	v_fmac_f32_e32 v78, v7, v14
	s_delay_alu instid0(VALU_DEP_3)
	v_dual_add_f32 v80, v4, v6 :: v_dual_fma_f32 v4, v2, v12, -v72
	v_mul_f32_e32 v6, v3, v15
	ds_load_b128 v[84:87], v71 offset:4192
	v_dual_add_f32 v70, v70, v78 :: v_dual_fmac_f32 v13, v3, v12
	v_dual_add_f32 v72, v5, v4 :: v_dual_fma_f32 v12, v2, v14, -v6
	s_wait_dscnt 0x1
	v_dual_mul_f32 v2, v2, v15 :: v_dual_mul_f32 v15, v9, v17
	v_mul_f32_e32 v78, v8, v17
	v_add_f32_e32 v76, v76, v13
	s_delay_alu instid0(VALU_DEP_3) | instskip(NEXT) | instid1(VALU_DEP_3)
	v_dual_add_f32 v88, v0, v12 :: v_dual_fmac_f32 v2, v3, v14
	v_dual_fma_f32 v0, v8, v16, -v15 :: v_dual_fmac_f32 v78, v9, v16
	ds_load_2addr_b64 v[12:15], v81 offset0:160 offset1:176
	v_mul_f32_e32 v3, v9, v19
	ds_load_b128 v[4:7], v71 offset:112
	v_dual_mul_f32 v90, v8, v19 :: v_dual_add_f32 v51, v51, v78
	v_dual_add_f32 v74, v74, v2 :: v_dual_add_f32 v89, v1, v0
	s_wait_dscnt 0x2
	v_dual_fma_f32 v8, v8, v18, -v3 :: v_dual_mul_f32 v78, v85, v17
	s_delay_alu instid0(VALU_DEP_3) | instskip(NEXT) | instid1(VALU_DEP_2)
	v_dual_fmac_f32 v90, v9, v18 :: v_dual_mul_f32 v9, v84, v17
	v_dual_mul_f32 v17, v85, v19 :: v_dual_add_f32 v8, v80, v8
	s_delay_alu instid0(VALU_DEP_2) | instskip(NEXT) | instid1(VALU_DEP_3)
	v_dual_fma_f32 v78, v84, v16, -v78 :: v_dual_add_f32 v70, v70, v90
	v_dual_fmac_f32 v9, v85, v16 :: v_dual_mul_f32 v80, v84, v19
	s_delay_alu instid0(VALU_DEP_3) | instskip(NEXT) | instid1(VALU_DEP_3)
	v_fma_f32 v16, v84, v18, -v17
	v_add_f32_e32 v72, v72, v78
	ds_load_b128 v[0:3], v71 offset:4208
	s_wait_dscnt 0x2
	v_mul_f32_e32 v17, v11, v13
	v_dual_add_f32 v9, v76, v9 :: v_dual_fmac_f32 v80, v85, v18
	v_dual_add_f32 v76, v88, v16 :: v_dual_mul_f32 v85, v11, v15
	s_delay_alu instid0(VALU_DEP_3)
	v_dual_mul_f32 v78, v10, v13 :: v_dual_fma_f32 v84, v10, v12, -v17
	ds_load_2addr_b64 v[16:19], v81 offset0:192 offset1:208
	v_add_f32_e32 v74, v74, v80
	v_fmac_f32_e32 v78, v11, v12
	v_dual_add_f32 v80, v89, v84 :: v_dual_mul_f32 v84, v10, v15
	v_dual_fma_f32 v10, v10, v14, -v85 :: v_dual_mul_f32 v85, v87, v13
	s_delay_alu instid0(VALU_DEP_3) | instskip(NEXT) | instid1(VALU_DEP_3)
	v_dual_mul_f32 v13, v86, v13 :: v_dual_add_f32 v51, v51, v78
	v_fmac_f32_e32 v84, v11, v14
	s_delay_alu instid0(VALU_DEP_3) | instskip(NEXT) | instid1(VALU_DEP_3)
	v_dual_add_f32 v8, v8, v10 :: v_dual_fma_f32 v10, v86, v12, -v85
	v_dual_fmac_f32 v13, v87, v12 :: v_dual_mul_f32 v11, v87, v15
	v_mul_f32_e32 v78, v86, v15
	s_delay_alu instid0(VALU_DEP_3) | instskip(NEXT) | instid1(VALU_DEP_3)
	v_dual_add_f32 v70, v70, v84 :: v_dual_add_f32 v10, v72, v10
	v_dual_add_f32 v9, v9, v13 :: v_dual_fma_f32 v11, v86, v14, -v11
	s_wait_dscnt 0x0
	s_delay_alu instid0(VALU_DEP_3)
	v_dual_mul_f32 v72, v5, v17 :: v_dual_fmac_f32 v78, v87, v14
	v_mul_f32_e32 v84, v4, v17
	ds_load_2addr_b64 v[12:15], v81 offset0:224 offset1:240
	v_add_f32_e32 v11, v76, v11
	v_dual_fma_f32 v72, v4, v16, -v72 :: v_dual_mul_f32 v76, v5, v19
	v_dual_fmac_f32 v84, v5, v16 :: v_dual_mul_f32 v85, v4, v19
	s_delay_alu instid0(VALU_DEP_2) | instskip(NEXT) | instid1(VALU_DEP_2)
	v_dual_add_f32 v74, v74, v78 :: v_dual_add_f32 v72, v80, v72
	v_dual_fma_f32 v4, v4, v18, -v76 :: v_dual_add_f32 v51, v51, v84
	s_delay_alu instid0(VALU_DEP_3) | instskip(SKIP_1) | instid1(VALU_DEP_3)
	v_fmac_f32_e32 v85, v5, v18
	v_dual_mul_f32 v5, v1, v17 :: v_dual_mul_f32 v17, v0, v17
	v_dual_add_f32 v4, v8, v4 :: v_dual_mul_f32 v8, v1, v19
	s_delay_alu instid0(VALU_DEP_2) | instskip(NEXT) | instid1(VALU_DEP_3)
	v_dual_add_f32 v70, v70, v85 :: v_dual_fma_f32 v5, v0, v16, -v5
	v_dual_fmac_f32 v17, v1, v16 :: v_dual_mul_f32 v76, v0, v19
	s_wait_dscnt 0x0
	s_delay_alu instid0(VALU_DEP_3) | instskip(NEXT) | instid1(VALU_DEP_3)
	v_dual_fma_f32 v0, v0, v18, -v8 :: v_dual_mul_f32 v8, v7, v13
	v_add_f32_e32 v5, v10, v5
	s_delay_alu instid0(VALU_DEP_3) | instskip(NEXT) | instid1(VALU_DEP_3)
	v_add_f32_e32 v78, v9, v17
	v_dual_fmac_f32 v76, v1, v18 :: v_dual_add_f32 v0, v11, v0
	s_delay_alu instid0(VALU_DEP_4) | instskip(SKIP_4) | instid1(VALU_DEP_2)
	v_dual_fma_f32 v1, v6, v12, -v8 :: v_dual_mul_f32 v80, v6, v13
	ds_load_b128 v[8:11], v71 offset:128
	ds_load_2addr_b64 v[16:19], v82 offset1:16
	v_dual_mul_f32 v84, v7, v15 :: v_dual_add_f32 v74, v74, v76
	v_dual_mul_f32 v76, v6, v15 :: v_dual_fmac_f32 v80, v7, v12
	v_dual_add_f32 v1, v72, v1 :: v_dual_fma_f32 v6, v6, v14, -v84
	v_dual_mul_f32 v72, v3, v13 :: v_dual_mul_f32 v13, v2, v13
	s_delay_alu instid0(VALU_DEP_3)
	v_add_f32_e32 v51, v51, v80
	ds_load_b128 v[84:87], v71 offset:4224
	v_dual_add_f32 v80, v4, v6 :: v_dual_fma_f32 v4, v2, v12, -v72
	v_mul_f32_e32 v6, v3, v15
	v_fmac_f32_e32 v76, v7, v14
	v_fmac_f32_e32 v13, v3, v12
	s_delay_alu instid0(VALU_DEP_3) | instskip(NEXT) | instid1(VALU_DEP_3)
	v_dual_add_f32 v72, v5, v4 :: v_dual_fma_f32 v12, v2, v14, -v6
	v_add_f32_e32 v70, v70, v76
	s_wait_dscnt 0x1
	v_dual_mul_f32 v2, v2, v15 :: v_dual_mul_f32 v15, v9, v17
	v_add_f32_e32 v76, v78, v13
	v_mul_f32_e32 v78, v8, v17
	s_delay_alu instid0(VALU_DEP_3) | instskip(NEXT) | instid1(VALU_DEP_4)
	v_dual_add_f32 v88, v0, v12 :: v_dual_fmac_f32 v2, v3, v14
	v_fma_f32 v0, v8, v16, -v15
	ds_load_2addr_b64 v[12:15], v82 offset0:32 offset1:48
	v_mul_f32_e32 v3, v9, v19
	ds_load_b128 v[4:7], v71 offset:144
	v_dual_fmac_f32 v78, v9, v16 :: v_dual_mul_f32 v90, v8, v19
	v_dual_add_f32 v74, v74, v2 :: v_dual_add_f32 v89, v1, v0
	v_fma_f32 v8, v8, v18, -v3
	s_wait_dscnt 0x2
	s_delay_alu instid0(VALU_DEP_3) | instskip(SKIP_1) | instid1(VALU_DEP_3)
	v_dual_add_f32 v51, v51, v78 :: v_dual_mul_f32 v78, v85, v17
	v_dual_fmac_f32 v90, v9, v18 :: v_dual_mul_f32 v9, v84, v17
	v_dual_add_f32 v8, v80, v8 :: v_dual_mul_f32 v17, v85, v19
	s_delay_alu instid0(VALU_DEP_2) | instskip(NEXT) | instid1(VALU_DEP_3)
	v_dual_fma_f32 v78, v84, v16, -v78 :: v_dual_add_f32 v70, v70, v90
	v_dual_fmac_f32 v9, v85, v16 :: v_dual_mul_f32 v80, v84, v19
	s_delay_alu instid0(VALU_DEP_3) | instskip(SKIP_1) | instid1(VALU_DEP_3)
	v_fma_f32 v16, v84, v18, -v17
	s_wait_dscnt 0x1
	v_dual_add_f32 v72, v72, v78 :: v_dual_mul_f32 v78, v10, v13
	v_mul_f32_e32 v17, v11, v13
	v_dual_add_f32 v9, v76, v9 :: v_dual_fmac_f32 v80, v85, v18
	v_dual_add_f32 v76, v88, v16 :: v_dual_mul_f32 v85, v11, v15
	s_delay_alu instid0(VALU_DEP_3)
	v_dual_fma_f32 v84, v10, v12, -v17 :: v_dual_fmac_f32 v78, v11, v12
	ds_load_2addr_b64 v[16:19], v82 offset0:64 offset1:80
	v_add_f32_e32 v74, v74, v80
	ds_load_b128 v[0:3], v71 offset:4240
	v_dual_add_f32 v80, v89, v84 :: v_dual_mul_f32 v84, v10, v15
	v_dual_fma_f32 v10, v10, v14, -v85 :: v_dual_mul_f32 v85, v87, v13
	v_dual_mul_f32 v13, v86, v13 :: v_dual_add_f32 v51, v51, v78
	s_delay_alu instid0(VALU_DEP_3) | instskip(NEXT) | instid1(VALU_DEP_3)
	v_fmac_f32_e32 v84, v11, v14
	v_dual_add_f32 v8, v8, v10 :: v_dual_fma_f32 v10, v86, v12, -v85
	s_delay_alu instid0(VALU_DEP_3) | instskip(SKIP_1) | instid1(VALU_DEP_3)
	v_dual_fmac_f32 v13, v87, v12 :: v_dual_mul_f32 v11, v87, v15
	v_mul_f32_e32 v78, v86, v15
	v_dual_add_f32 v70, v70, v84 :: v_dual_add_f32 v10, v72, v10
	s_delay_alu instid0(VALU_DEP_3) | instskip(SKIP_1) | instid1(VALU_DEP_3)
	v_dual_add_f32 v9, v9, v13 :: v_dual_fma_f32 v11, v86, v14, -v11
	s_wait_dscnt 0x1
	v_dual_fmac_f32 v78, v87, v14 :: v_dual_mul_f32 v84, v4, v17
	v_mul_f32_e32 v72, v5, v17
	ds_load_2addr_b64 v[12:15], v82 offset0:96 offset1:112
	v_add_f32_e32 v11, v76, v11
	v_dual_mul_f32 v76, v5, v19 :: v_dual_fmac_f32 v84, v5, v16
	v_dual_fma_f32 v72, v4, v16, -v72 :: v_dual_mul_f32 v85, v4, v19
	v_add_f32_e32 v74, v74, v78
	s_delay_alu instid0(VALU_DEP_3) | instskip(NEXT) | instid1(VALU_DEP_3)
	v_dual_fma_f32 v4, v4, v18, -v76 :: v_dual_add_f32 v51, v51, v84
	v_dual_add_f32 v72, v80, v72 :: v_dual_fmac_f32 v85, v5, v18
	s_wait_dscnt 0x1
	v_dual_mul_f32 v5, v1, v17 :: v_dual_mul_f32 v17, v0, v17
	s_delay_alu instid0(VALU_DEP_3) | instskip(NEXT) | instid1(VALU_DEP_2)
	v_dual_add_f32 v4, v8, v4 :: v_dual_mul_f32 v8, v1, v19
	v_dual_add_f32 v70, v70, v85 :: v_dual_fma_f32 v5, v0, v16, -v5
	s_delay_alu instid0(VALU_DEP_3) | instskip(SKIP_1) | instid1(VALU_DEP_3)
	v_dual_fmac_f32 v17, v1, v16 :: v_dual_mul_f32 v76, v0, v19
	s_wait_dscnt 0x0
	v_dual_fma_f32 v0, v0, v18, -v8 :: v_dual_mul_f32 v8, v7, v13
	s_delay_alu instid0(VALU_DEP_3) | instskip(NEXT) | instid1(VALU_DEP_3)
	v_add_f32_e32 v5, v10, v5
	v_add_f32_e32 v78, v9, v17
	s_delay_alu instid0(VALU_DEP_3) | instskip(NEXT) | instid1(VALU_DEP_4)
	v_dual_fmac_f32 v76, v1, v18 :: v_dual_add_f32 v0, v11, v0
	v_dual_fma_f32 v1, v6, v12, -v8 :: v_dual_mul_f32 v80, v6, v13
	ds_load_b128 v[8:11], v71 offset:160
	ds_load_2addr_b64 v[16:19], v82 offset0:128 offset1:144
	v_dual_mul_f32 v84, v7, v15 :: v_dual_add_f32 v74, v74, v76
	v_dual_mul_f32 v76, v6, v15 :: v_dual_fmac_f32 v80, v7, v12
	s_delay_alu instid0(VALU_DEP_2) | instskip(SKIP_1) | instid1(VALU_DEP_3)
	v_dual_add_f32 v1, v72, v1 :: v_dual_fma_f32 v6, v6, v14, -v84
	v_dual_mul_f32 v72, v3, v13 :: v_dual_mul_f32 v13, v2, v13
	v_add_f32_e32 v51, v51, v80
	ds_load_b128 v[84:87], v71 offset:4256
	v_dual_add_f32 v80, v4, v6 :: v_dual_fma_f32 v4, v2, v12, -v72
	v_mul_f32_e32 v6, v3, v15
	v_fmac_f32_e32 v76, v7, v14
	v_fmac_f32_e32 v13, v3, v12
	s_delay_alu instid0(VALU_DEP_3) | instskip(NEXT) | instid1(VALU_DEP_3)
	v_dual_add_f32 v72, v5, v4 :: v_dual_fma_f32 v12, v2, v14, -v6
	v_add_f32_e32 v70, v70, v76
	s_wait_dscnt 0x1
	v_dual_mul_f32 v2, v2, v15 :: v_dual_mul_f32 v15, v9, v17
	v_add_f32_e32 v76, v78, v13
	v_mul_f32_e32 v78, v8, v17
	s_delay_alu instid0(VALU_DEP_3) | instskip(NEXT) | instid1(VALU_DEP_4)
	v_dual_add_f32 v88, v0, v12 :: v_dual_fmac_f32 v2, v3, v14
	v_fma_f32 v0, v8, v16, -v15
	ds_load_2addr_b64 v[12:15], v82 offset0:160 offset1:176
	v_mul_f32_e32 v3, v9, v19
	ds_load_b128 v[4:7], v71 offset:176
	v_dual_fmac_f32 v78, v9, v16 :: v_dual_mul_f32 v90, v8, v19
	v_dual_add_f32 v74, v74, v2 :: v_dual_add_f32 v89, v1, v0
	v_fma_f32 v8, v8, v18, -v3
	s_wait_dscnt 0x2
	s_delay_alu instid0(VALU_DEP_3) | instskip(SKIP_1) | instid1(VALU_DEP_3)
	v_dual_add_f32 v51, v51, v78 :: v_dual_mul_f32 v78, v85, v17
	v_dual_fmac_f32 v90, v9, v18 :: v_dual_mul_f32 v9, v84, v17
	v_dual_add_f32 v8, v80, v8 :: v_dual_mul_f32 v17, v85, v19
	s_delay_alu instid0(VALU_DEP_2) | instskip(NEXT) | instid1(VALU_DEP_3)
	v_dual_fma_f32 v78, v84, v16, -v78 :: v_dual_add_f32 v70, v70, v90
	v_dual_fmac_f32 v9, v85, v16 :: v_dual_mul_f32 v80, v84, v19
	s_delay_alu instid0(VALU_DEP_3) | instskip(SKIP_1) | instid1(VALU_DEP_3)
	v_fma_f32 v16, v84, v18, -v17
	s_wait_dscnt 0x1
	v_dual_add_f32 v72, v72, v78 :: v_dual_mul_f32 v78, v10, v13
	v_mul_f32_e32 v17, v11, v13
	v_dual_add_f32 v9, v76, v9 :: v_dual_fmac_f32 v80, v85, v18
	v_dual_add_f32 v76, v88, v16 :: v_dual_mul_f32 v85, v11, v15
	s_delay_alu instid0(VALU_DEP_3)
	v_dual_fma_f32 v84, v10, v12, -v17 :: v_dual_fmac_f32 v78, v11, v12
	ds_load_2addr_b64 v[16:19], v82 offset0:192 offset1:208
	v_add_f32_e32 v74, v74, v80
	ds_load_b128 v[0:3], v71 offset:4272
	v_dual_add_f32 v80, v89, v84 :: v_dual_mul_f32 v84, v10, v15
	v_dual_fma_f32 v10, v10, v14, -v85 :: v_dual_mul_f32 v85, v87, v13
	v_dual_mul_f32 v13, v86, v13 :: v_dual_add_f32 v51, v51, v78
	s_delay_alu instid0(VALU_DEP_3) | instskip(NEXT) | instid1(VALU_DEP_3)
	v_fmac_f32_e32 v84, v11, v14
	v_dual_add_f32 v8, v8, v10 :: v_dual_fma_f32 v10, v86, v12, -v85
	s_delay_alu instid0(VALU_DEP_3) | instskip(SKIP_1) | instid1(VALU_DEP_3)
	v_dual_fmac_f32 v13, v87, v12 :: v_dual_mul_f32 v11, v87, v15
	v_mul_f32_e32 v78, v86, v15
	v_dual_add_f32 v70, v70, v84 :: v_dual_add_f32 v10, v72, v10
	s_delay_alu instid0(VALU_DEP_3) | instskip(SKIP_1) | instid1(VALU_DEP_3)
	v_dual_add_f32 v9, v9, v13 :: v_dual_fma_f32 v11, v86, v14, -v11
	s_wait_dscnt 0x1
	v_dual_fmac_f32 v78, v87, v14 :: v_dual_mul_f32 v84, v4, v17
	v_mul_f32_e32 v72, v5, v17
	ds_load_2addr_b64 v[12:15], v82 offset0:224 offset1:240
	v_add_f32_e32 v11, v76, v11
	v_dual_mul_f32 v76, v5, v19 :: v_dual_fmac_f32 v84, v5, v16
	v_dual_fma_f32 v72, v4, v16, -v72 :: v_dual_mul_f32 v85, v4, v19
	v_add_f32_e32 v74, v74, v78
	s_delay_alu instid0(VALU_DEP_3) | instskip(NEXT) | instid1(VALU_DEP_3)
	v_dual_fma_f32 v4, v4, v18, -v76 :: v_dual_add_f32 v51, v51, v84
	v_dual_add_f32 v72, v80, v72 :: v_dual_fmac_f32 v85, v5, v18
	s_wait_dscnt 0x1
	v_dual_mul_f32 v5, v1, v17 :: v_dual_mul_f32 v17, v0, v17
	s_delay_alu instid0(VALU_DEP_3) | instskip(NEXT) | instid1(VALU_DEP_2)
	v_dual_add_f32 v4, v8, v4 :: v_dual_mul_f32 v8, v1, v19
	v_dual_add_f32 v70, v70, v85 :: v_dual_fma_f32 v5, v0, v16, -v5
	s_delay_alu instid0(VALU_DEP_3) | instskip(SKIP_1) | instid1(VALU_DEP_3)
	v_dual_fmac_f32 v17, v1, v16 :: v_dual_mul_f32 v76, v0, v19
	s_wait_dscnt 0x0
	v_dual_fma_f32 v0, v0, v18, -v8 :: v_dual_mul_f32 v8, v7, v13
	s_delay_alu instid0(VALU_DEP_3) | instskip(NEXT) | instid1(VALU_DEP_3)
	v_add_f32_e32 v5, v10, v5
	v_add_f32_e32 v78, v9, v17
	s_delay_alu instid0(VALU_DEP_3) | instskip(NEXT) | instid1(VALU_DEP_4)
	v_dual_fmac_f32 v76, v1, v18 :: v_dual_add_f32 v0, v11, v0
	v_dual_fma_f32 v1, v6, v12, -v8 :: v_dual_mul_f32 v80, v6, v13
	ds_load_b128 v[8:11], v71 offset:192
	ds_load_2addr_b64 v[16:19], v83 offset1:16
	v_dual_mul_f32 v84, v7, v15 :: v_dual_add_f32 v74, v74, v76
	v_dual_mul_f32 v76, v6, v15 :: v_dual_fmac_f32 v80, v7, v12
	s_delay_alu instid0(VALU_DEP_2) | instskip(SKIP_1) | instid1(VALU_DEP_3)
	v_dual_add_f32 v1, v72, v1 :: v_dual_fma_f32 v6, v6, v14, -v84
	v_dual_mul_f32 v72, v3, v13 :: v_dual_mul_f32 v13, v2, v13
	v_add_f32_e32 v51, v51, v80
	ds_load_b128 v[84:87], v71 offset:4288
	v_dual_add_f32 v80, v4, v6 :: v_dual_fma_f32 v4, v2, v12, -v72
	v_mul_f32_e32 v6, v3, v15
	v_fmac_f32_e32 v76, v7, v14
	v_fmac_f32_e32 v13, v3, v12
	s_delay_alu instid0(VALU_DEP_3) | instskip(NEXT) | instid1(VALU_DEP_3)
	v_dual_add_f32 v72, v5, v4 :: v_dual_fma_f32 v12, v2, v14, -v6
	v_add_f32_e32 v70, v70, v76
	s_wait_dscnt 0x1
	v_dual_mul_f32 v2, v2, v15 :: v_dual_mul_f32 v15, v9, v17
	v_add_f32_e32 v76, v78, v13
	v_mul_f32_e32 v78, v8, v17
	s_delay_alu instid0(VALU_DEP_3) | instskip(NEXT) | instid1(VALU_DEP_4)
	v_dual_add_f32 v88, v0, v12 :: v_dual_fmac_f32 v2, v3, v14
	v_fma_f32 v0, v8, v16, -v15
	ds_load_2addr_b64 v[12:15], v83 offset0:32 offset1:48
	v_mul_f32_e32 v3, v9, v19
	ds_load_b128 v[4:7], v71 offset:208
	v_dual_fmac_f32 v78, v9, v16 :: v_dual_mul_f32 v90, v8, v19
	v_dual_add_f32 v74, v74, v2 :: v_dual_add_f32 v89, v1, v0
	v_fma_f32 v8, v8, v18, -v3
	s_wait_dscnt 0x2
	s_delay_alu instid0(VALU_DEP_3) | instskip(SKIP_1) | instid1(VALU_DEP_3)
	v_dual_add_f32 v51, v51, v78 :: v_dual_mul_f32 v78, v85, v17
	v_dual_fmac_f32 v90, v9, v18 :: v_dual_mul_f32 v9, v84, v17
	v_dual_add_f32 v8, v80, v8 :: v_dual_mul_f32 v17, v85, v19
	s_delay_alu instid0(VALU_DEP_2) | instskip(NEXT) | instid1(VALU_DEP_3)
	v_dual_fma_f32 v78, v84, v16, -v78 :: v_dual_add_f32 v70, v70, v90
	v_dual_fmac_f32 v9, v85, v16 :: v_dual_mul_f32 v80, v84, v19
	s_delay_alu instid0(VALU_DEP_3) | instskip(SKIP_1) | instid1(VALU_DEP_3)
	v_fma_f32 v16, v84, v18, -v17
	s_wait_dscnt 0x1
	v_dual_add_f32 v72, v72, v78 :: v_dual_mul_f32 v78, v10, v13
	v_mul_f32_e32 v17, v11, v13
	v_dual_add_f32 v9, v76, v9 :: v_dual_fmac_f32 v80, v85, v18
	v_dual_add_f32 v76, v88, v16 :: v_dual_mul_f32 v85, v11, v15
	s_delay_alu instid0(VALU_DEP_3)
	v_dual_fma_f32 v84, v10, v12, -v17 :: v_dual_fmac_f32 v78, v11, v12
	ds_load_2addr_b64 v[16:19], v83 offset0:64 offset1:80
	v_add_f32_e32 v74, v74, v80
	ds_load_b128 v[0:3], v71 offset:4304
	v_dual_add_f32 v80, v89, v84 :: v_dual_mul_f32 v84, v10, v15
	v_dual_fma_f32 v10, v10, v14, -v85 :: v_dual_mul_f32 v85, v87, v13
	v_dual_mul_f32 v13, v86, v13 :: v_dual_add_f32 v51, v51, v78
	s_delay_alu instid0(VALU_DEP_3) | instskip(NEXT) | instid1(VALU_DEP_3)
	v_fmac_f32_e32 v84, v11, v14
	v_dual_add_f32 v8, v8, v10 :: v_dual_fma_f32 v10, v86, v12, -v85
	s_delay_alu instid0(VALU_DEP_3) | instskip(SKIP_1) | instid1(VALU_DEP_3)
	v_dual_fmac_f32 v13, v87, v12 :: v_dual_mul_f32 v11, v87, v15
	v_mul_f32_e32 v78, v86, v15
	v_dual_add_f32 v70, v70, v84 :: v_dual_add_f32 v10, v72, v10
	s_delay_alu instid0(VALU_DEP_3) | instskip(SKIP_1) | instid1(VALU_DEP_3)
	v_dual_add_f32 v9, v9, v13 :: v_dual_fma_f32 v11, v86, v14, -v11
	s_wait_dscnt 0x1
	v_dual_fmac_f32 v78, v87, v14 :: v_dual_mul_f32 v84, v4, v17
	v_mul_f32_e32 v72, v5, v17
	ds_load_2addr_b64 v[12:15], v83 offset0:96 offset1:112
	v_add_f32_e32 v11, v76, v11
	v_dual_mul_f32 v76, v5, v19 :: v_dual_fmac_f32 v84, v5, v16
	v_dual_fma_f32 v72, v4, v16, -v72 :: v_dual_mul_f32 v85, v4, v19
	v_add_f32_e32 v74, v74, v78
	s_delay_alu instid0(VALU_DEP_3) | instskip(NEXT) | instid1(VALU_DEP_3)
	v_dual_fma_f32 v4, v4, v18, -v76 :: v_dual_add_f32 v51, v51, v84
	v_dual_add_f32 v72, v80, v72 :: v_dual_fmac_f32 v85, v5, v18
	s_wait_dscnt 0x1
	v_dual_mul_f32 v5, v1, v17 :: v_dual_mul_f32 v17, v0, v17
	s_delay_alu instid0(VALU_DEP_3) | instskip(NEXT) | instid1(VALU_DEP_2)
	v_dual_add_f32 v4, v8, v4 :: v_dual_mul_f32 v8, v1, v19
	v_dual_add_f32 v70, v70, v85 :: v_dual_fma_f32 v5, v0, v16, -v5
	s_delay_alu instid0(VALU_DEP_3) | instskip(SKIP_1) | instid1(VALU_DEP_3)
	v_dual_fmac_f32 v17, v1, v16 :: v_dual_mul_f32 v76, v0, v19
	s_wait_dscnt 0x0
	v_dual_fma_f32 v0, v0, v18, -v8 :: v_dual_mul_f32 v8, v7, v13
	s_delay_alu instid0(VALU_DEP_3) | instskip(NEXT) | instid1(VALU_DEP_3)
	v_add_f32_e32 v5, v10, v5
	v_add_f32_e32 v78, v9, v17
	s_delay_alu instid0(VALU_DEP_3) | instskip(NEXT) | instid1(VALU_DEP_4)
	v_dual_fmac_f32 v76, v1, v18 :: v_dual_add_f32 v0, v11, v0
	v_dual_fma_f32 v1, v6, v12, -v8 :: v_dual_mul_f32 v80, v6, v13
	ds_load_b128 v[8:11], v71 offset:224
	ds_load_2addr_b64 v[16:19], v83 offset0:128 offset1:144
	v_dual_mul_f32 v84, v7, v15 :: v_dual_add_f32 v74, v74, v76
	v_dual_mul_f32 v76, v6, v15 :: v_dual_fmac_f32 v80, v7, v12
	s_delay_alu instid0(VALU_DEP_2) | instskip(SKIP_1) | instid1(VALU_DEP_3)
	v_dual_add_f32 v72, v72, v1 :: v_dual_fma_f32 v6, v6, v14, -v84
	v_mul_f32_e32 v1, v3, v13
	v_dual_fmac_f32 v76, v7, v14 :: v_dual_mul_f32 v13, v2, v13
	s_delay_alu instid0(VALU_DEP_3) | instskip(NEXT) | instid1(VALU_DEP_3)
	v_dual_add_f32 v51, v51, v80 :: v_dual_add_f32 v80, v4, v6
	v_dual_fma_f32 v1, v2, v12, -v1 :: v_dual_mul_f32 v4, v3, v15
	ds_load_b128 v[84:87], v71 offset:4320
	v_add_f32_e32 v70, v70, v76
	v_dual_fmac_f32 v13, v3, v12 :: v_dual_mul_f32 v12, v2, v15
	v_dual_add_f32 v76, v5, v1 :: v_dual_fma_f32 v1, v2, v14, -v4
	s_wait_dscnt 0x1
	v_dual_mul_f32 v89, v8, v17 :: v_dual_mul_f32 v2, v9, v17
	s_delay_alu instid0(VALU_DEP_3) | instskip(NEXT) | instid1(VALU_DEP_3)
	v_dual_add_f32 v78, v78, v13 :: v_dual_fmac_f32 v12, v3, v14
	v_dual_add_f32 v88, v0, v1 :: v_dual_mul_f32 v14, v9, v19
	s_delay_alu instid0(VALU_DEP_3)
	v_dual_fma_f32 v13, v8, v16, -v2 :: v_dual_fmac_f32 v89, v9, v16
	ds_load_2addr_b64 v[0:3], v83 offset0:160 offset1:176
	ds_load_b128 v[4:7], v71 offset:240
	v_dual_mul_f32 v90, v8, v19 :: v_dual_fma_f32 v8, v8, v18, -v14
	v_dual_add_f32 v51, v51, v89 :: v_dual_add_f32 v74, v74, v12
	v_add_f32_e32 v72, v72, v13
	s_wait_dscnt 0x2
	v_mul_f32_e32 v91, v85, v17
	v_dual_fmac_f32 v90, v9, v18 :: v_dual_mul_f32 v9, v84, v17
	v_dual_add_f32 v8, v80, v8 :: v_dual_mul_f32 v80, v85, v19
	s_delay_alu instid0(VALU_DEP_2) | instskip(NEXT) | instid1(VALU_DEP_3)
	v_dual_fma_f32 v17, v84, v16, -v91 :: v_dual_add_f32 v70, v70, v90
	v_dual_fmac_f32 v9, v85, v16 :: v_dual_mul_f32 v89, v84, v19
	s_delay_alu instid0(VALU_DEP_3) | instskip(NEXT) | instid1(VALU_DEP_3)
	v_fma_f32 v16, v84, v18, -v80
	v_add_f32_e32 v76, v76, v17
	ds_load_b128 v[12:15], v71 offset:4336
	s_wait_dscnt 0x2
	v_mul_f32_e32 v17, v11, v1
	v_dual_add_f32 v9, v78, v9 :: v_dual_add_f32 v80, v88, v16
	v_dual_fmac_f32 v89, v85, v18 :: v_dual_mul_f32 v78, v10, v1
	s_delay_alu instid0(VALU_DEP_3) | instskip(SKIP_4) | instid1(VALU_DEP_3)
	v_fma_f32 v84, v10, v0, -v17
	ds_load_2addr_b64 v[16:19], v83 offset0:192 offset1:208
	v_dual_mul_f32 v85, v11, v3 :: v_dual_add_f32 v74, v74, v89
	v_fmac_f32_e32 v78, v11, v0
	v_dual_add_f32 v72, v72, v84 :: v_dual_mul_f32 v84, v10, v3
	v_fma_f32 v10, v10, v2, -v85
	s_delay_alu instid0(VALU_DEP_3) | instskip(SKIP_1) | instid1(VALU_DEP_3)
	v_add_f32_e32 v51, v51, v78
	v_dual_mul_f32 v78, v87, v1 :: v_dual_mul_f32 v1, v86, v1
	v_dual_add_f32 v8, v8, v10 :: v_dual_mul_f32 v10, v87, v3
	s_delay_alu instid0(VALU_DEP_2) | instskip(NEXT) | instid1(VALU_DEP_3)
	v_dual_fmac_f32 v84, v11, v2 :: v_dual_fma_f32 v11, v86, v0, -v78
	v_dual_fmac_f32 v1, v87, v0 :: v_dual_mul_f32 v78, v86, v3
	s_delay_alu instid0(VALU_DEP_3) | instskip(NEXT) | instid1(VALU_DEP_3)
	v_fma_f32 v0, v86, v2, -v10
	v_dual_add_f32 v70, v70, v84 :: v_dual_add_f32 v10, v76, v11
	s_delay_alu instid0(VALU_DEP_3) | instskip(SKIP_1) | instid1(VALU_DEP_3)
	v_dual_add_f32 v9, v9, v1 :: v_dual_fmac_f32 v78, v87, v2
	s_wait_dscnt 0x0
	v_dual_mul_f32 v11, v5, v17 :: v_dual_add_f32 v76, v80, v0
	ds_load_2addr_b64 v[0:3], v83 offset0:224 offset1:240
	v_dual_mul_f32 v80, v4, v17 :: v_dual_add_f32 v74, v74, v78
	v_dual_mul_f32 v78, v5, v19 :: v_dual_fma_f32 v11, v4, v16, -v11
	s_delay_alu instid0(VALU_DEP_2) | instskip(SKIP_1) | instid1(VALU_DEP_2)
	v_dual_mul_f32 v84, v4, v19 :: v_dual_fmac_f32 v80, v5, v16
	s_wait_dscnt 0x0
	v_fma_f32 v4, v4, v18, -v78
	s_delay_alu instid0(VALU_DEP_3) | instskip(NEXT) | instid1(VALU_DEP_3)
	v_dual_add_f32 v11, v72, v11 :: v_dual_mul_f32 v72, v13, v17
	v_dual_add_f32 v51, v51, v80 :: v_dual_fmac_f32 v84, v5, v18
	v_mul_f32_e32 v5, v12, v17
	s_barrier_signal -1
	s_delay_alu instid0(VALU_DEP_3) | instskip(SKIP_3) | instid1(VALU_DEP_3)
	v_fma_f32 v17, v12, v16, -v72
	v_dual_add_f32 v4, v8, v4 :: v_dual_mul_f32 v8, v13, v19
	v_add_f32_e32 v70, v70, v84
	v_dual_fmac_f32 v5, v13, v16 :: v_dual_mul_f32 v16, v12, v19
	v_dual_add_f32 v10, v10, v17 :: v_dual_fma_f32 v8, v12, v18, -v8
	v_dual_mul_f32 v12, v7, v1 :: v_dual_mul_f32 v17, v6, v1
	s_delay_alu instid0(VALU_DEP_3) | instskip(NEXT) | instid1(VALU_DEP_3)
	v_add_f32_e32 v5, v9, v5
	v_dual_fmac_f32 v16, v13, v18 :: v_dual_add_f32 v8, v76, v8
	s_delay_alu instid0(VALU_DEP_3) | instskip(NEXT) | instid1(VALU_DEP_4)
	v_dual_fma_f32 v9, v6, v0, -v12 :: v_dual_mul_f32 v12, v7, v3
	v_dual_mul_f32 v13, v6, v3 :: v_dual_fmac_f32 v17, v7, v0
	s_delay_alu instid0(VALU_DEP_2) | instskip(NEXT) | instid1(VALU_DEP_2)
	v_dual_add_f32 v16, v74, v16 :: v_dual_add_f32 v78, v11, v9
	v_dual_fma_f32 v6, v6, v2, -v12 :: v_dual_fmac_f32 v13, v7, v2
	v_dual_mul_f32 v7, v15, v1 :: v_dual_mul_f32 v1, v14, v1
	v_dual_mul_f32 v9, v15, v3 :: v_dual_mul_f32 v3, v14, v3
	s_delay_alu instid0(VALU_DEP_2) | instskip(NEXT) | instid1(VALU_DEP_3)
	v_dual_add_f32 v74, v4, v6 :: v_dual_fma_f32 v4, v14, v0, -v7
	v_fmac_f32_e32 v1, v15, v0
	v_add_f32_e32 v80, v51, v17
	s_delay_alu instid0(VALU_DEP_4) | instskip(SKIP_1) | instid1(VALU_DEP_3)
	v_dual_fmac_f32 v3, v15, v2 :: v_dual_fma_f32 v0, v14, v2, -v9
	s_barrier_wait -1
	v_add_f32_e32 v72, v5, v1
	v_add_f32_e32 v76, v70, v13
	s_delay_alu instid0(VALU_DEP_3)
	v_dual_add_f32 v70, v10, v4 :: v_dual_add_f32 v16, v16, v3
	v_add_f32_e32 v18, v8, v0
	s_cbranch_scc1 .LBB89_54
.LBB89_10:                              ;   Parent Loop BB89_4 Depth=1
                                        ;     Parent Loop BB89_7 Depth=2
                                        ; =>    This Inner Loop Header: Depth=3
	v_add_nc_u64_e32 v[2:3], s[28:29], v[20:21]
	v_cmp_eq_u64_e64 s7, s[28:29], v[56:57]
	v_add_nc_u64_e32 v[0:1], v[58:59], v[64:65]
	s_delay_alu instid0(VALU_DEP_3) | instskip(SKIP_3) | instid1(SALU_CYCLE_1)
	v_cmp_gt_i64_e64 s5, v[2:3], v[52:53]
	v_cmp_le_i64_e64 s6, s[38:39], v[2:3]
	s_and_b32 s52, s46, s7
	s_or_b32 s7, vcc_lo, s5
	s_or_b32 s7, s7, s52
	s_delay_alu instid0(SALU_CYCLE_1) | instskip(NEXT) | instid1(SALU_CYCLE_1)
	s_nor_b32 s7, s6, s7
	s_and_saveexec_b32 s8, s7
	s_delay_alu instid0(SALU_CYCLE_1)
	s_xor_b32 s7, exec_lo, s8
	s_cbranch_execz .LBB89_12
; %bb.11:                               ;   in Loop: Header=BB89_10 Depth=3
	global_load_b64 v[4:5], v[0:1], off
	s_wait_loadcnt 0x0
	ds_store_b64 v73, v[4:5]
.LBB89_12:                              ;   in Loop: Header=BB89_10 Depth=3
	s_wait_xcnt 0x0
	s_or_saveexec_b32 s7, s7
	s_xor_b32 s51, s52, -1
	s_xor_b32 exec_lo, exec_lo, s7
	s_cbranch_execz .LBB89_18
; %bb.13:                               ;   in Loop: Header=BB89_10 Depth=3
	s_and_saveexec_b32 s8, s51
	s_delay_alu instid0(SALU_CYCLE_1)
	s_xor_b32 s8, exec_lo, s8
; %bb.14:                               ;   in Loop: Header=BB89_10 Depth=3
	ds_store_b64 v73, v[40:41]
; %bb.15:                               ;   in Loop: Header=BB89_10 Depth=3
	s_and_not1_saveexec_b32 s8, s8
; %bb.16:                               ;   in Loop: Header=BB89_10 Depth=3
	ds_store_b64 v73, v[42:43]
; %bb.17:                               ;   in Loop: Header=BB89_10 Depth=3
	s_or_b32 exec_lo, exec_lo, s8
.LBB89_18:                              ;   in Loop: Header=BB89_10 Depth=3
	s_delay_alu instid0(SALU_CYCLE_1) | instskip(SKIP_2) | instid1(VALU_DEP_2)
	s_or_b32 exec_lo, exec_lo, s7
	v_add_nc_u64_e32 v[4:5], 16, v[2:3]
	v_cmp_eq_u64_e64 s8, s[28:29], v[68:69]
	v_cmp_gt_i64_e64 s9, v[4:5], v[52:53]
	v_cmp_le_i64_e64 s7, s[38:39], v[4:5]
	v_add_nc_u64_e32 v[4:5], v[60:61], v[64:65]
	s_and_b32 s53, s46, s8
	s_or_b32 s8, vcc_lo, s9
	s_delay_alu instid0(SALU_CYCLE_1) | instskip(NEXT) | instid1(SALU_CYCLE_1)
	s_or_b32 s8, s8, s53
	s_nor_b32 s8, s7, s8
	s_delay_alu instid0(SALU_CYCLE_1) | instskip(NEXT) | instid1(SALU_CYCLE_1)
	s_and_saveexec_b32 s9, s8
	s_xor_b32 s8, exec_lo, s9
	s_cbranch_execz .LBB89_20
; %bb.19:                               ;   in Loop: Header=BB89_10 Depth=3
	global_load_b64 v[6:7], v[4:5], off
	s_wait_loadcnt 0x0
	ds_store_b64 v73, v[6:7] offset:128
.LBB89_20:                              ;   in Loop: Header=BB89_10 Depth=3
	s_wait_xcnt 0x0
	s_and_not1_saveexec_b32 s8, s8
	s_cbranch_execz .LBB89_26
; %bb.21:                               ;   in Loop: Header=BB89_10 Depth=3
	s_xor_b32 s9, s53, -1
	s_delay_alu instid0(SALU_CYCLE_1) | instskip(NEXT) | instid1(SALU_CYCLE_1)
	s_and_saveexec_b32 s53, s9
	s_xor_b32 s9, exec_lo, s53
; %bb.22:                               ;   in Loop: Header=BB89_10 Depth=3
	ds_store_b64 v73, v[40:41] offset:128
; %bb.23:                               ;   in Loop: Header=BB89_10 Depth=3
	s_and_not1_saveexec_b32 s9, s9
; %bb.24:                               ;   in Loop: Header=BB89_10 Depth=3
	ds_store_b64 v73, v[42:43] offset:128
; %bb.25:                               ;   in Loop: Header=BB89_10 Depth=3
	s_or_b32 exec_lo, exec_lo, s9
.LBB89_26:                              ;   in Loop: Header=BB89_10 Depth=3
	s_delay_alu instid0(SALU_CYCLE_1) | instskip(SKIP_4) | instid1(SALU_CYCLE_1)
	s_or_b32 exec_lo, exec_lo, s8
	v_cmp_eq_u64_e64 s8, s[28:29], v[66:67]
	v_cmp_gt_i64_e64 s9, v[2:3], v[54:55]
	s_and_b32 s8, s46, s8
	s_or_b32 s9, s4, s9
	s_or_b32 s9, s9, s8
	s_delay_alu instid0(SALU_CYCLE_1) | instskip(NEXT) | instid1(SALU_CYCLE_1)
	s_nor_b32 s6, s6, s9
	s_and_saveexec_b32 s9, s6
	s_delay_alu instid0(SALU_CYCLE_1)
	s_xor_b32 s6, exec_lo, s9
	s_cbranch_execz .LBB89_28
; %bb.27:                               ;   in Loop: Header=BB89_10 Depth=3
	global_load_b64 v[0:1], v[0:1], off offset:128
	s_wait_loadcnt 0x0
	ds_store_b64 v73, v[0:1] offset:4096
.LBB89_28:                              ;   in Loop: Header=BB89_10 Depth=3
	s_wait_xcnt 0x0
	s_and_not1_saveexec_b32 s6, s6
	s_cbranch_execz .LBB89_34
; %bb.29:                               ;   in Loop: Header=BB89_10 Depth=3
	s_xor_b32 s8, s8, -1
	s_delay_alu instid0(SALU_CYCLE_1) | instskip(NEXT) | instid1(SALU_CYCLE_1)
	s_and_saveexec_b32 s9, s8
	s_xor_b32 s8, exec_lo, s9
; %bb.30:                               ;   in Loop: Header=BB89_10 Depth=3
	ds_store_b64 v73, v[40:41] offset:4096
; %bb.31:                               ;   in Loop: Header=BB89_10 Depth=3
	s_and_not1_saveexec_b32 s8, s8
; %bb.32:                               ;   in Loop: Header=BB89_10 Depth=3
	ds_store_b64 v73, v[42:43] offset:4096
; %bb.33:                               ;   in Loop: Header=BB89_10 Depth=3
	s_or_b32 exec_lo, exec_lo, s8
.LBB89_34:                              ;   in Loop: Header=BB89_10 Depth=3
	s_delay_alu instid0(SALU_CYCLE_1) | instskip(SKIP_1) | instid1(SALU_CYCLE_1)
	s_or_b32 exec_lo, exec_lo, s6
	s_or_b32 s5, s4, s5
	s_or_b32 s5, s5, s52
	s_delay_alu instid0(SALU_CYCLE_1) | instskip(NEXT) | instid1(SALU_CYCLE_1)
	s_nor_b32 s5, s7, s5
	s_and_saveexec_b32 s6, s5
	s_delay_alu instid0(SALU_CYCLE_1)
	s_xor_b32 s5, exec_lo, s6
	s_cbranch_execz .LBB89_36
; %bb.35:                               ;   in Loop: Header=BB89_10 Depth=3
	global_load_b64 v[0:1], v[4:5], off offset:128
	s_wait_loadcnt 0x0
	ds_store_b64 v73, v[0:1] offset:4224
.LBB89_36:                              ;   in Loop: Header=BB89_10 Depth=3
	s_wait_xcnt 0x0
	s_and_not1_saveexec_b32 s5, s5
	s_cbranch_execz .LBB89_42
; %bb.37:                               ;   in Loop: Header=BB89_10 Depth=3
	s_and_saveexec_b32 s6, s51
	s_delay_alu instid0(SALU_CYCLE_1)
	s_xor_b32 s6, exec_lo, s6
; %bb.38:                               ;   in Loop: Header=BB89_10 Depth=3
	ds_store_b64 v73, v[40:41] offset:4224
; %bb.39:                               ;   in Loop: Header=BB89_10 Depth=3
	s_and_not1_saveexec_b32 s6, s6
; %bb.40:                               ;   in Loop: Header=BB89_10 Depth=3
	ds_store_b64 v73, v[42:43] offset:4224
; %bb.41:                               ;   in Loop: Header=BB89_10 Depth=3
	s_or_b32 exec_lo, exec_lo, s6
.LBB89_42:                              ;   in Loop: Header=BB89_10 Depth=3
	s_delay_alu instid0(SALU_CYCLE_1) | instskip(SKIP_3) | instid1(VALU_DEP_3)
	s_or_b32 exec_lo, exec_lo, s5
	v_add_nc_u64_e32 v[0:1], s[28:29], v[22:23]
	v_add_nc_u64_e32 v[2:3], v[62:63], v[34:35]
	v_mov_b64_e32 v[4:5], 0
	v_cmp_le_i64_e64 s5, s[38:39], v[0:1]
	s_nor_b32 s7, s5, s0
	s_delay_alu instid0(SALU_CYCLE_1)
	s_and_saveexec_b32 s6, s7
	s_cbranch_execz .LBB89_44
; %bb.43:                               ;   in Loop: Header=BB89_10 Depth=3
	global_load_b64 v[4:5], v[2:3], off offset:-128
.LBB89_44:                              ;   in Loop: Header=BB89_10 Depth=3
	s_wait_xcnt 0x0
	s_or_b32 exec_lo, exec_lo, s6
	s_nor_b32 s5, s5, s1
	s_wait_loadcnt 0x0
	ds_store_b64 v77, v[4:5]
	s_and_saveexec_b32 s6, s5
	s_delay_alu instid0(SALU_CYCLE_1)
	s_xor_b32 s5, exec_lo, s6
	s_cbranch_execz .LBB89_46
; %bb.45:                               ;   in Loop: Header=BB89_10 Depth=3
	global_load_b64 v[2:3], v[2:3], off
	s_wait_loadcnt 0x0
	ds_store_b64 v77, v[2:3] offset:128
.LBB89_46:                              ;   in Loop: Header=BB89_10 Depth=3
	s_wait_xcnt 0x0
	s_and_not1_saveexec_b32 s5, s5
; %bb.47:                               ;   in Loop: Header=BB89_10 Depth=3
	ds_store_b64 v77, v[40:41] offset:128
; %bb.48:                               ;   in Loop: Header=BB89_10 Depth=3
	s_or_b32 exec_lo, exec_lo, s5
	v_cmp_le_i64_e64 s5, s[16:17], v[0:1]
	v_add_nc_u64_e32 v[0:1], v[62:63], v[26:27]
	v_mov_b64_e32 v[2:3], 0
	s_nor_b32 s7, s5, s0
	s_delay_alu instid0(SALU_CYCLE_1)
	s_and_saveexec_b32 s6, s7
	s_cbranch_execz .LBB89_50
; %bb.49:                               ;   in Loop: Header=BB89_10 Depth=3
	global_load_b64 v[2:3], v[0:1], off offset:-128
.LBB89_50:                              ;   in Loop: Header=BB89_10 Depth=3
	s_wait_xcnt 0x0
	s_or_b32 exec_lo, exec_lo, s6
	s_nor_b32 s5, s5, s1
	s_wait_loadcnt 0x0
	ds_store_b64 v77, v[2:3] offset:4096
	s_and_saveexec_b32 s6, s5
	s_delay_alu instid0(SALU_CYCLE_1)
	s_xor_b32 s5, exec_lo, s6
	s_cbranch_execz .LBB89_52
; %bb.51:                               ;   in Loop: Header=BB89_10 Depth=3
	global_load_b64 v[0:1], v[0:1], off
	s_wait_loadcnt 0x0
	ds_store_b64 v77, v[0:1] offset:4224
.LBB89_52:                              ;   in Loop: Header=BB89_10 Depth=3
	s_wait_xcnt 0x0
	s_and_not1_saveexec_b32 s5, s5
	s_cbranch_execz .LBB89_9
; %bb.53:                               ;   in Loop: Header=BB89_10 Depth=3
	ds_store_b64 v77, v[40:41] offset:4224
	s_branch .LBB89_9
.LBB89_54:                              ;   in Loop: Header=BB89_7 Depth=2
	s_delay_alu instid0(VALU_DEP_2) | instskip(SKIP_2) | instid1(VALU_DEP_2)
	v_mul_u64_e32 v[0:1], s[24:25], v[52:53]
	v_cmp_gt_i32_e32 vcc_lo, s30, v52
	s_and_b32 s5, s2, vcc_lo
	v_lshl_add_u64 v[0:1], v[0:1], 3, s[18:19]
	s_and_saveexec_b32 s4, s5
	s_cbranch_execz .LBB89_56
; %bb.55:                               ;   in Loop: Header=BB89_7 Depth=2
	s_delay_alu instid0(VALU_DEP_1) | instskip(SKIP_4) | instid1(VALU_DEP_1)
	v_lshl_add_u64 v[2:3], v[24:25], 3, v[0:1]
	v_mov_b64_e32 v[6:7], s[12:13]
	v_mov_b64_e32 v[8:9], s[36:37]
	global_load_b64 v[4:5], v[2:3], off
	v_pk_mul_f32 v[6:7], v[80:81], v[6:7] op_sel_hi:[0,1]
	v_pk_fma_f32 v[10:11], v[78:79], v[8:9], v[6:7] op_sel_hi:[0,1,1]
	v_pk_fma_f32 v[6:7], v[78:79], v[8:9], v[6:7] neg_lo:[0,0,1] neg_hi:[0,0,1]
	s_delay_alu instid0(VALU_DEP_2) | instskip(SKIP_1) | instid1(VALU_DEP_1)
	v_mov_b32_e32 v7, v11
	s_wait_loadcnt 0x0
	v_pk_add_f32 v[4:5], v[4:5], v[6:7]
	global_store_b64 v[2:3], v[4:5], off
.LBB89_56:                              ;   in Loop: Header=BB89_7 Depth=2
	s_wait_xcnt 0x0
	s_or_b32 exec_lo, exec_lo, s4
	s_and_b32 s5, s3, vcc_lo
	s_delay_alu instid0(SALU_CYCLE_1)
	s_and_saveexec_b32 s4, s5
	s_cbranch_execz .LBB89_58
; %bb.57:                               ;   in Loop: Header=BB89_7 Depth=2
	v_lshl_add_u64 v[0:1], v[28:29], 3, v[0:1]
	v_mov_b64_e32 v[4:5], s[12:13]
	v_mov_b64_e32 v[6:7], s[36:37]
	global_load_b64 v[2:3], v[0:1], off
	v_pk_mul_f32 v[4:5], v[76:77], v[4:5] op_sel_hi:[0,1]
	s_delay_alu instid0(VALU_DEP_1) | instskip(SKIP_1) | instid1(VALU_DEP_2)
	v_pk_fma_f32 v[8:9], v[74:75], v[6:7], v[4:5] op_sel_hi:[0,1,1]
	v_pk_fma_f32 v[4:5], v[74:75], v[6:7], v[4:5] neg_lo:[0,0,1] neg_hi:[0,0,1]
	v_mov_b32_e32 v5, v9
	s_wait_loadcnt 0x0
	s_delay_alu instid0(VALU_DEP_1)
	v_pk_add_f32 v[2:3], v[2:3], v[4:5]
	global_store_b64 v[0:1], v[2:3], off
.LBB89_58:                              ;   in Loop: Header=BB89_7 Depth=2
	s_wait_xcnt 0x0
	s_or_b32 exec_lo, exec_lo, s4
	v_add_nc_u32_e32 v0, 16, v52
	s_delay_alu instid0(VALU_DEP_1) | instskip(SKIP_1) | instid1(VALU_DEP_2)
	v_ashrrev_i32_e32 v1, 31, v0
	v_cmp_gt_i32_e32 vcc_lo, s30, v0
	v_mul_u64_e32 v[2:3], s[24:25], v[0:1]
	s_and_b32 s5, s2, vcc_lo
	s_delay_alu instid0(VALU_DEP_1)
	v_lshl_add_u64 v[0:1], v[2:3], 3, s[18:19]
	s_and_saveexec_b32 s4, s5
	s_cbranch_execz .LBB89_60
; %bb.59:                               ;   in Loop: Header=BB89_7 Depth=2
	s_delay_alu instid0(VALU_DEP_1) | instskip(SKIP_4) | instid1(VALU_DEP_1)
	v_lshl_add_u64 v[2:3], v[24:25], 3, v[0:1]
	v_mov_b64_e32 v[6:7], s[12:13]
	v_mov_b64_e32 v[8:9], s[36:37]
	global_load_b64 v[4:5], v[2:3], off
	v_pk_mul_f32 v[6:7], v[72:73], v[6:7] op_sel_hi:[0,1]
	v_pk_fma_f32 v[10:11], v[70:71], v[8:9], v[6:7] op_sel_hi:[0,1,1]
	v_pk_fma_f32 v[6:7], v[70:71], v[8:9], v[6:7] neg_lo:[0,0,1] neg_hi:[0,0,1]
	s_delay_alu instid0(VALU_DEP_2) | instskip(SKIP_1) | instid1(VALU_DEP_1)
	v_mov_b32_e32 v7, v11
	s_wait_loadcnt 0x0
	v_pk_add_f32 v[4:5], v[4:5], v[6:7]
	global_store_b64 v[2:3], v[4:5], off
.LBB89_60:                              ;   in Loop: Header=BB89_7 Depth=2
	s_wait_xcnt 0x0
	s_or_b32 exec_lo, exec_lo, s4
	s_and_b32 s5, s3, vcc_lo
	s_delay_alu instid0(SALU_CYCLE_1)
	s_and_saveexec_b32 s4, s5
	s_cbranch_execz .LBB89_6
; %bb.61:                               ;   in Loop: Header=BB89_7 Depth=2
	v_lshl_add_u64 v[0:1], v[28:29], 3, v[0:1]
	v_mov_b64_e32 v[4:5], s[12:13]
	v_mov_b64_e32 v[6:7], s[36:37]
	global_load_b64 v[2:3], v[0:1], off
	v_pk_mul_f32 v[4:5], v[16:17], v[4:5] op_sel_hi:[0,1]
	s_delay_alu instid0(VALU_DEP_1) | instskip(SKIP_1) | instid1(VALU_DEP_2)
	v_pk_fma_f32 v[8:9], v[18:19], v[6:7], v[4:5] op_sel_hi:[0,1,1]
	v_pk_fma_f32 v[4:5], v[18:19], v[6:7], v[4:5] neg_lo:[0,0,1] neg_hi:[0,0,1]
	v_mov_b32_e32 v5, v9
	s_wait_loadcnt 0x0
	s_delay_alu instid0(VALU_DEP_1)
	v_pk_add_f32 v[2:3], v[2:3], v[4:5]
	global_store_b64 v[0:1], v[2:3], off
	s_branch .LBB89_6
.LBB89_62:
	s_sendmsg sendmsg(MSG_DEALLOC_VGPRS)
	s_endpgm
	.section	.rodata,"a",@progbits
	.p2align	6, 0x0
	.amdhsa_kernel _ZL30rocblas_trmm_outofplace_kernelI19rocblas_complex_numIfELi32ELi2ELb0ELb0ELb1ELb0ES1_KS1_S1_Ev17rocblas_diagonal_iiT6_lPT7_lllS6_lllPT8_llli
		.amdhsa_group_segment_fixed_size 16384
		.amdhsa_private_segment_fixed_size 0
		.amdhsa_kernarg_size 392
		.amdhsa_user_sgpr_count 2
		.amdhsa_user_sgpr_dispatch_ptr 0
		.amdhsa_user_sgpr_queue_ptr 0
		.amdhsa_user_sgpr_kernarg_segment_ptr 1
		.amdhsa_user_sgpr_dispatch_id 0
		.amdhsa_user_sgpr_kernarg_preload_length 0
		.amdhsa_user_sgpr_kernarg_preload_offset 0
		.amdhsa_user_sgpr_private_segment_size 0
		.amdhsa_wavefront_size32 1
		.amdhsa_uses_dynamic_stack 0
		.amdhsa_enable_private_segment 0
		.amdhsa_system_sgpr_workgroup_id_x 1
		.amdhsa_system_sgpr_workgroup_id_y 1
		.amdhsa_system_sgpr_workgroup_id_z 1
		.amdhsa_system_sgpr_workgroup_info 0
		.amdhsa_system_vgpr_workitem_id 1
		.amdhsa_next_free_vgpr 104
		.amdhsa_next_free_sgpr 54
		.amdhsa_named_barrier_count 0
		.amdhsa_reserve_vcc 1
		.amdhsa_float_round_mode_32 0
		.amdhsa_float_round_mode_16_64 0
		.amdhsa_float_denorm_mode_32 3
		.amdhsa_float_denorm_mode_16_64 3
		.amdhsa_fp16_overflow 0
		.amdhsa_memory_ordered 1
		.amdhsa_forward_progress 1
		.amdhsa_inst_pref_size 59
		.amdhsa_round_robin_scheduling 0
		.amdhsa_exception_fp_ieee_invalid_op 0
		.amdhsa_exception_fp_denorm_src 0
		.amdhsa_exception_fp_ieee_div_zero 0
		.amdhsa_exception_fp_ieee_overflow 0
		.amdhsa_exception_fp_ieee_underflow 0
		.amdhsa_exception_fp_ieee_inexact 0
		.amdhsa_exception_int_div_zero 0
	.end_amdhsa_kernel
	.section	.text._ZL30rocblas_trmm_outofplace_kernelI19rocblas_complex_numIfELi32ELi2ELb0ELb0ELb1ELb0ES1_KS1_S1_Ev17rocblas_diagonal_iiT6_lPT7_lllS6_lllPT8_llli,"axG",@progbits,_ZL30rocblas_trmm_outofplace_kernelI19rocblas_complex_numIfELi32ELi2ELb0ELb0ELb1ELb0ES1_KS1_S1_Ev17rocblas_diagonal_iiT6_lPT7_lllS6_lllPT8_llli,comdat
.Lfunc_end89:
	.size	_ZL30rocblas_trmm_outofplace_kernelI19rocblas_complex_numIfELi32ELi2ELb0ELb0ELb1ELb0ES1_KS1_S1_Ev17rocblas_diagonal_iiT6_lPT7_lllS6_lllPT8_llli, .Lfunc_end89-_ZL30rocblas_trmm_outofplace_kernelI19rocblas_complex_numIfELi32ELi2ELb0ELb0ELb1ELb0ES1_KS1_S1_Ev17rocblas_diagonal_iiT6_lPT7_lllS6_lllPT8_llli
                                        ; -- End function
	.set _ZL30rocblas_trmm_outofplace_kernelI19rocblas_complex_numIfELi32ELi2ELb0ELb0ELb1ELb0ES1_KS1_S1_Ev17rocblas_diagonal_iiT6_lPT7_lllS6_lllPT8_llli.num_vgpr, 104
	.set _ZL30rocblas_trmm_outofplace_kernelI19rocblas_complex_numIfELi32ELi2ELb0ELb0ELb1ELb0ES1_KS1_S1_Ev17rocblas_diagonal_iiT6_lPT7_lllS6_lllPT8_llli.num_agpr, 0
	.set _ZL30rocblas_trmm_outofplace_kernelI19rocblas_complex_numIfELi32ELi2ELb0ELb0ELb1ELb0ES1_KS1_S1_Ev17rocblas_diagonal_iiT6_lPT7_lllS6_lllPT8_llli.numbered_sgpr, 54
	.set _ZL30rocblas_trmm_outofplace_kernelI19rocblas_complex_numIfELi32ELi2ELb0ELb0ELb1ELb0ES1_KS1_S1_Ev17rocblas_diagonal_iiT6_lPT7_lllS6_lllPT8_llli.num_named_barrier, 0
	.set _ZL30rocblas_trmm_outofplace_kernelI19rocblas_complex_numIfELi32ELi2ELb0ELb0ELb1ELb0ES1_KS1_S1_Ev17rocblas_diagonal_iiT6_lPT7_lllS6_lllPT8_llli.private_seg_size, 0
	.set _ZL30rocblas_trmm_outofplace_kernelI19rocblas_complex_numIfELi32ELi2ELb0ELb0ELb1ELb0ES1_KS1_S1_Ev17rocblas_diagonal_iiT6_lPT7_lllS6_lllPT8_llli.uses_vcc, 1
	.set _ZL30rocblas_trmm_outofplace_kernelI19rocblas_complex_numIfELi32ELi2ELb0ELb0ELb1ELb0ES1_KS1_S1_Ev17rocblas_diagonal_iiT6_lPT7_lllS6_lllPT8_llli.uses_flat_scratch, 0
	.set _ZL30rocblas_trmm_outofplace_kernelI19rocblas_complex_numIfELi32ELi2ELb0ELb0ELb1ELb0ES1_KS1_S1_Ev17rocblas_diagonal_iiT6_lPT7_lllS6_lllPT8_llli.has_dyn_sized_stack, 0
	.set _ZL30rocblas_trmm_outofplace_kernelI19rocblas_complex_numIfELi32ELi2ELb0ELb0ELb1ELb0ES1_KS1_S1_Ev17rocblas_diagonal_iiT6_lPT7_lllS6_lllPT8_llli.has_recursion, 0
	.set _ZL30rocblas_trmm_outofplace_kernelI19rocblas_complex_numIfELi32ELi2ELb0ELb0ELb1ELb0ES1_KS1_S1_Ev17rocblas_diagonal_iiT6_lPT7_lllS6_lllPT8_llli.has_indirect_call, 0
	.section	.AMDGPU.csdata,"",@progbits
; Kernel info:
; codeLenInByte = 7500
; TotalNumSgprs: 56
; NumVgprs: 104
; ScratchSize: 0
; MemoryBound: 1
; FloatMode: 240
; IeeeMode: 1
; LDSByteSize: 16384 bytes/workgroup (compile time only)
; SGPRBlocks: 0
; VGPRBlocks: 6
; NumSGPRsForWavesPerEU: 56
; NumVGPRsForWavesPerEU: 104
; NamedBarCnt: 0
; Occupancy: 9
; WaveLimiterHint : 0
; COMPUTE_PGM_RSRC2:SCRATCH_EN: 0
; COMPUTE_PGM_RSRC2:USER_SGPR: 2
; COMPUTE_PGM_RSRC2:TRAP_HANDLER: 0
; COMPUTE_PGM_RSRC2:TGID_X_EN: 1
; COMPUTE_PGM_RSRC2:TGID_Y_EN: 1
; COMPUTE_PGM_RSRC2:TGID_Z_EN: 1
; COMPUTE_PGM_RSRC2:TIDIG_COMP_CNT: 1
	.section	.text._ZL30rocblas_trmm_outofplace_kernelI19rocblas_complex_numIfELi32ELi2ELb0ELb1ELb1ELb0EPKS1_S2_S1_Ev17rocblas_diagonal_iiT6_lPT7_lllS7_lllPT8_llli,"axG",@progbits,_ZL30rocblas_trmm_outofplace_kernelI19rocblas_complex_numIfELi32ELi2ELb0ELb1ELb1ELb0EPKS1_S2_S1_Ev17rocblas_diagonal_iiT6_lPT7_lllS7_lllPT8_llli,comdat
	.globl	_ZL30rocblas_trmm_outofplace_kernelI19rocblas_complex_numIfELi32ELi2ELb0ELb1ELb1ELb0EPKS1_S2_S1_Ev17rocblas_diagonal_iiT6_lPT7_lllS7_lllPT8_llli ; -- Begin function _ZL30rocblas_trmm_outofplace_kernelI19rocblas_complex_numIfELi32ELi2ELb0ELb1ELb1ELb0EPKS1_S2_S1_Ev17rocblas_diagonal_iiT6_lPT7_lllS7_lllPT8_llli
	.p2align	8
	.type	_ZL30rocblas_trmm_outofplace_kernelI19rocblas_complex_numIfELi32ELi2ELb0ELb1ELb1ELb0EPKS1_S2_S1_Ev17rocblas_diagonal_iiT6_lPT7_lllS7_lllPT8_llli,@function
_ZL30rocblas_trmm_outofplace_kernelI19rocblas_complex_numIfELi32ELi2ELb0ELb1ELb1ELb0EPKS1_S2_S1_Ev17rocblas_diagonal_iiT6_lPT7_lllS7_lllPT8_llli: ; @_ZL30rocblas_trmm_outofplace_kernelI19rocblas_complex_numIfELi32ELi2ELb0ELb1ELb1ELb0EPKS1_S2_S1_Ev17rocblas_diagonal_iiT6_lPT7_lllS7_lllPT8_llli
; %bb.0:
	s_load_b32 s11, s[0:1], 0x80
	s_bfe_u32 s2, ttmp6, 0x40014
	s_lshr_b32 s3, ttmp7, 16
	s_add_co_i32 s2, s2, 1
	s_bfe_u32 s5, ttmp6, 0x40008
	s_mul_i32 s4, s3, s2
	s_getreg_b32 s2, hwreg(HW_REG_IB_STS2, 6, 4)
	s_add_co_i32 s5, s5, s4
	s_cmp_eq_u32 s2, 0
	s_mov_b32 s35, 0
	s_cselect_b32 s34, s3, s5
	s_wait_kmcnt 0x0
	s_cmp_ge_u32 s34, s11
	s_cbranch_scc1 .LBB90_64
; %bb.1:
	s_clause 0x3
	s_load_b96 s[8:10], s[0:1], 0x0
	s_load_b512 s[12:27], s[0:1], 0x10
	s_load_b128 s[28:31], s[0:1], 0x70
	s_load_b256 s[36:43], s[0:1], 0x50
	s_bfe_u32 s4, ttmp6, 0x4000c
	s_bfe_u32 s6, ttmp6, 0x40010
	s_add_co_i32 s4, s4, 1
	s_and_b32 s3, ttmp6, 15
	s_and_b32 s5, ttmp7, 0xffff
	s_add_nc_u64 s[44:45], s[0:1], 0x88
	s_add_co_i32 s6, s6, 1
	s_wait_xcnt 0x0
	s_mul_i32 s0, ttmp9, s4
	s_bfe_u32 s7, ttmp6, 0x40004
	s_mul_i32 s1, s5, s6
	s_add_co_i32 s3, s3, s0
	s_add_co_i32 s7, s7, s1
	v_bfe_u32 v59, v0, 10, 10
	v_and_b32_e32 v2, 0x3ff, v0
	v_mov_b64_e32 v[26:27], 0
	v_mov_b64_e32 v[28:29], 0x3f800000
	s_wait_kmcnt 0x0
	s_add_co_i32 s0, s10, -1
	v_dual_lshlrev_b32 v61, 8, v59 :: v_dual_lshlrev_b32 v0, 3, v2
	s_ashr_i32 s1, s0, 31
	s_delay_alu instid0(SALU_CYCLE_1) | instskip(NEXT) | instid1(SALU_CYCLE_1)
	s_lshr_b32 s1, s1, 27
	s_add_co_i32 s4, s0, s1
	s_lshl_b64 s[0:1], s[42:43], 3
	s_ashr_i32 s33, s4, 5
	s_cmp_eq_u32 s2, 0
	v_or_b32_e32 v65, 0x2000, v0
	s_cselect_b32 s2, ttmp9, s3
	s_cselect_b32 s56, s5, s7
	v_lshl_add_u32 v20, s2, 5, v2
	s_cmp_le_i32 s56, s33
	v_add_nc_u32_e32 v67, v65, v61
	s_cselect_b32 s57, -1, 0
	s_cmp_eq_u32 s8, 0x84
	v_ashrrev_i32_e32 v21, 31, v20
	s_mov_b32 s2, s9
	s_cselect_b32 s58, -1, 0
	s_ashr_i32 s3, s9, 31
	s_lshl_b32 s6, s56, 5
	s_delay_alu instid0(SALU_CYCLE_1)
	v_dual_add_nc_u32 v22, 16, v20 :: v_dual_add_nc_u32 v69, s6, v2
	v_add_nc_u32_e32 v63, v61, v0
	v_sub_nc_u64_e32 v[0:1], s[2:3], v[20:21]
	s_lshl_b64 s[4:5], s[26:27], 3
	s_add_nc_u64 s[40:41], s[40:41], s[0:1]
	s_add_nc_u64 s[4:5], s[24:25], s[4:5]
	v_cmp_gt_i32_e64 s0, s9, v20
	v_cmp_gt_i32_e64 s3, s9, v22
	v_ashrrev_i32_e32 v23, 31, v22
	v_cmp_gt_i64_e64 s1, 1, v[0:1]
	v_cmp_gt_i64_e64 s2, 17, v[0:1]
	v_add_nc_u32_e32 v70, s6, v59
	v_lshl_add_u64 v[24:25], v[20:21], 3, s[4:5]
	v_add_nc_u32_e32 v71, 0x800, v65
	v_add_nc_u32_e32 v72, 0x1000, v65
	;; [unrolled: 1-line block ×3, first 2 shown]
	s_mov_b32 s42, s10
	s_ashr_i32 s43, s10, 31
	s_lshl_b64 s[4:5], s[18:19], 3
	s_lshl_b64 s[46:47], s[20:21], 8
	;; [unrolled: 1-line block ×3, first 2 shown]
	s_add_nc_u64 s[50:51], s[42:43], -16
	s_lshl_b64 s[24:25], s[36:37], 3
	s_lshl_b64 s[26:27], s[38:39], 3
	s_add_nc_u64 s[16:17], s[16:17], s[4:5]
	s_lshl_b64 s[18:19], s[22:23], 3
	s_lshl_b64 s[22:23], s[20:21], 3
	s_branch .LBB90_4
.LBB90_2:                               ;   in Loop: Header=BB90_4 Depth=1
	s_add_co_i32 s34, s34, 0x10000
	s_delay_alu instid0(SALU_CYCLE_1)
	s_cmp_ge_u32 s34, s11
	s_cselect_b32 s4, -1, 0
.LBB90_3:                               ;   in Loop: Header=BB90_4 Depth=1
	s_delay_alu instid0(SALU_CYCLE_1)
	s_and_b32 vcc_lo, exec_lo, s4
	s_cbranch_vccnz .LBB90_64
.LBB90_4:                               ; =>This Loop Header: Depth=1
                                        ;     Child Loop BB90_8 Depth 2
                                        ;       Child Loop BB90_11 Depth 3
	s_mul_u64 s[4:5], s[14:15], s[34:35]
	v_mov_b32_e32 v0, 0
	s_lshl_b64 s[4:5], s[4:5], 3
	s_delay_alu instid0(SALU_CYCLE_1)
	s_add_nc_u64 s[4:5], s[12:13], s[4:5]
	global_load_b64 v[30:31], v0, s[4:5]
	s_wait_xcnt 0x0
	s_mov_b32 s4, -1
	s_wait_loadcnt 0x0
	v_or_b32_e32 v0, v30, v31
	s_delay_alu instid0(VALU_DEP_1) | instskip(NEXT) | instid1(VALU_DEP_1)
	v_and_b32_e32 v0, 0x7fffffff, v0
	v_cmp_eq_u32_e32 vcc_lo, 0, v0
	s_cbranch_vccnz .LBB90_3
; %bb.5:                                ;   in Loop: Header=BB90_4 Depth=1
	s_and_not1_b32 vcc_lo, exec_lo, s57
	s_cbranch_vccnz .LBB90_2
; %bb.6:                                ;   in Loop: Header=BB90_4 Depth=1
	s_load_b32 s59, s[44:45], 0x4
	v_mad_nc_u64_u32 v[32:33], s26, s34, v[24:25]
	s_mul_u64 s[6:7], s[30:31], s[34:35]
	v_dual_mov_b32 v34, v31 :: v_dual_mov_b32 v35, v30
	v_dual_mov_b32 v36, v70 :: v_dual_mov_b32 v38, v69
	s_mul_u64 s[4:5], s[18:19], s[34:35]
	s_lshl_b64 s[6:7], s[6:7], 3
	s_add_nc_u64 s[38:39], s[16:17], s[4:5]
	s_add_nc_u64 s[52:53], s[40:41], s[6:7]
	s_mov_b32 s61, s56
	s_delay_alu instid0(VALU_DEP_3)
	v_mad_u32 v33, s27, s34, v33
	s_wait_kmcnt 0x0
	s_lshl_b32 s60, s59, 5
	s_branch .LBB90_8
.LBB90_7:                               ;   in Loop: Header=BB90_8 Depth=2
	s_wait_xcnt 0x0
	s_or_b32 exec_lo, exec_lo, s4
	v_dual_add_nc_u32 v38, s60, v38 :: v_dual_add_nc_u32 v36, s60, v36
	s_add_co_i32 s61, s59, s61
	s_delay_alu instid0(SALU_CYCLE_1)
	s_cmp_gt_i32 s61, s33
	s_cbranch_scc1 .LBB90_2
.LBB90_8:                               ;   Parent Loop BB90_4 Depth=1
                                        ; =>  This Loop Header: Depth=2
                                        ;       Child Loop BB90_11 Depth 3
	s_lshl_b32 s4, s61, 5
	s_delay_alu instid0(SALU_CYCLE_1) | instskip(SKIP_2) | instid1(SALU_CYCLE_1)
	v_dual_ashrrev_i32 v37, 31, v36 :: v_dual_add_nc_u32 v40, s4, v59
	v_ashrrev_i32_e32 v39, 31, v38
	s_sub_co_i32 s62, s10, s4
	s_cmp_lt_i32 s62, 1
	s_delay_alu instid0(VALU_DEP_2)
	v_ashrrev_i32_e32 v41, 31, v40
	s_cbranch_scc1 .LBB90_55
; %bb.9:                                ;   in Loop: Header=BB90_8 Depth=2
	v_lshlrev_b64_e32 v[42:43], 3, v[36:37]
	v_lshl_add_u64 v[2:3], v[38:39], 3, 0x80
	v_mad_nc_u64_u32 v[44:45], s24, v36, 0x80
	v_mad_nc_u64_u32 v[46:47], s22, v38, s[38:39]
	v_add_nc_u64_e32 v[52:53], 16, v[40:41]
	v_sub_nc_u64_e32 v[54:55], v[36:37], v[38:39]
	v_mad_nc_u64_u32 v[48:49], s20, v2, s[38:39]
	v_add_nc_u64_e32 v[0:1], 0x80, v[42:43]
	v_mov_b64_e32 v[56:57], v[32:33]
	v_dual_mov_b32 v16, 0 :: v_dual_mov_b32 v18, 0
	v_cmp_le_i64_e64 s4, s[42:43], v[52:53]
	v_dual_mov_b32 v60, 0 :: v_dual_mov_b32 v58, 0
	v_mad_nc_u64_u32 v[50:51], s36, v0, 0x80
	v_mad_u32 v4, s25, v36, v45
	v_mad_u32 v5, s23, v38, v47
	;; [unrolled: 1-line block ×3, first 2 shown]
	v_dual_mov_b32 v64, 0 :: v_dual_mov_b32 v62, 0
	v_dual_mov_b32 v68, 0 :: v_dual_mov_b32 v66, 0
	s_mov_b64 s[54:55], 0
	v_cmp_le_i32_e32 vcc_lo, s10, v40
	v_mad_u32 v0, s37, v0, v51
	v_mad_u32 v45, s24, v37, v4
	;; [unrolled: 1-line block ×4, first 2 shown]
	s_delay_alu instid0(VALU_DEP_4)
	v_mad_u32 v51, s36, v1, v0
	s_branch .LBB90_11
.LBB90_10:                              ;   in Loop: Header=BB90_11 Depth=3
	s_or_b32 exec_lo, exec_lo, s5
	s_wait_dscnt 0x0
	s_barrier_signal -1
	s_barrier_wait -1
	ds_load_b128 v[74:77], v61
	ds_load_2addr_b64 v[78:81], v65 offset1:16
	ds_load_b128 v[82:85], v61 offset:4096
	ds_load_b128 v[8:11], v61 offset:16
	;; [unrolled: 1-line block ×4, first 2 shown]
	ds_load_2addr_b64 v[86:89], v65 offset0:32 offset1:48
	ds_load_b128 v[12:15], v61 offset:4112
	v_add_nc_u64_e32 v[56:57], s[48:49], v[56:57]
	v_add_nc_u64_e32 v[48:49], s[46:47], v[48:49]
	;; [unrolled: 1-line block ×3, first 2 shown]
	s_add_nc_u64 s[54:55], s[54:55], 32
	s_delay_alu instid0(SALU_CYCLE_1)
	s_cmp_ge_i32 s54, s62
	s_wait_dscnt 0x6
	v_dual_mul_f32 v17, v75, v79 :: v_dual_mul_f32 v19, v74, v79
	v_dual_mul_f32 v90, v75, v81 :: v_dual_mul_f32 v91, v74, v81
	s_wait_dscnt 0x5
	v_dual_mul_f32 v92, v83, v79 :: v_dual_mul_f32 v79, v82, v79
	v_dual_mul_f32 v93, v83, v81 :: v_dual_mul_f32 v94, v82, v81
	v_dual_fma_f32 v17, v74, v78, -v17 :: v_dual_fmac_f32 v19, v75, v78
	v_dual_fma_f32 v74, v74, v80, -v90 :: v_dual_fmac_f32 v91, v75, v80
	s_delay_alu instid0(VALU_DEP_4) | instskip(NEXT) | instid1(VALU_DEP_3)
	v_dual_fma_f32 v75, v82, v78, -v92 :: v_dual_fmac_f32 v79, v83, v78
	v_dual_fma_f32 v78, v82, v80, -v93 :: v_dual_add_f32 v19, v68, v19
	s_delay_alu instid0(VALU_DEP_3) | instskip(NEXT) | instid1(VALU_DEP_3)
	v_dual_add_f32 v17, v66, v17 :: v_dual_add_f32 v64, v64, v91
	v_dual_add_f32 v62, v62, v74 :: v_dual_add_f32 v60, v60, v79
	s_delay_alu instid0(VALU_DEP_4)
	v_dual_add_f32 v58, v58, v75 :: v_dual_fmac_f32 v94, v83, v80
	s_wait_dscnt 0x1
	v_dual_mul_f32 v66, v77, v87 :: v_dual_add_f32 v18, v18, v78
	ds_load_2addr_b64 v[78:81], v65 offset0:64 offset1:80
	v_dual_mul_f32 v68, v76, v87 :: v_dual_mul_f32 v74, v77, v89
	v_add_f32_e32 v75, v16, v94
	v_dual_fma_f32 v66, v76, v86, -v66 :: v_dual_mul_f32 v16, v76, v89
	s_delay_alu instid0(VALU_DEP_3) | instskip(NEXT) | instid1(VALU_DEP_2)
	v_fmac_f32_e32 v68, v77, v86
	v_dual_add_f32 v66, v17, v66 :: v_dual_fma_f32 v17, v76, v88, -v74
	s_delay_alu instid0(VALU_DEP_2) | instskip(NEXT) | instid1(VALU_DEP_4)
	v_dual_mul_f32 v74, v85, v87 :: v_dual_add_f32 v68, v19, v68
	v_dual_fmac_f32 v16, v77, v88 :: v_dual_mul_f32 v19, v84, v87
	s_delay_alu instid0(VALU_DEP_2) | instskip(NEXT) | instid1(VALU_DEP_2)
	v_dual_add_f32 v62, v62, v17 :: v_dual_fma_f32 v17, v84, v86, -v74
	v_dual_mul_f32 v74, v85, v89 :: v_dual_add_f32 v64, v64, v16
	s_delay_alu instid0(VALU_DEP_3) | instskip(NEXT) | instid1(VALU_DEP_2)
	v_dual_fmac_f32 v19, v85, v86 :: v_dual_mul_f32 v76, v84, v89
	v_dual_add_f32 v58, v58, v17 :: v_dual_fma_f32 v16, v84, v88, -v74
	s_wait_dscnt 0x0
	v_dual_mul_f32 v17, v9, v79 :: v_dual_mul_f32 v74, v8, v79
	s_delay_alu instid0(VALU_DEP_3) | instskip(NEXT) | instid1(VALU_DEP_2)
	v_dual_add_f32 v60, v60, v19 :: v_dual_fmac_f32 v76, v85, v88
	v_dual_add_f32 v77, v18, v16 :: v_dual_fma_f32 v82, v8, v78, -v17
	s_delay_alu instid0(VALU_DEP_3) | instskip(SKIP_4) | instid1(VALU_DEP_2)
	v_dual_mul_f32 v83, v9, v81 :: v_dual_fmac_f32 v74, v9, v78
	ds_load_2addr_b64 v[16:19], v65 offset0:96 offset1:112
	v_dual_add_f32 v84, v75, v76 :: v_dual_add_f32 v66, v66, v82
	v_dual_mul_f32 v75, v8, v81 :: v_dual_fma_f32 v8, v8, v80, -v83
	v_dual_add_f32 v68, v68, v74 :: v_dual_mul_f32 v74, v13, v79
	v_dual_mul_f32 v76, v12, v79 :: v_dual_fmac_f32 v75, v9, v80
	s_delay_alu instid0(VALU_DEP_3) | instskip(NEXT) | instid1(VALU_DEP_2)
	v_dual_add_f32 v8, v62, v8 :: v_dual_mul_f32 v9, v13, v81
	v_dual_fma_f32 v62, v12, v78, -v74 :: v_dual_fmac_f32 v76, v13, v78
	v_mul_f32_e32 v78, v12, v81
	s_delay_alu instid0(VALU_DEP_4) | instskip(NEXT) | instid1(VALU_DEP_3)
	v_add_f32_e32 v64, v64, v75
	v_dual_fma_f32 v9, v12, v80, -v9 :: v_dual_add_f32 v12, v58, v62
	s_delay_alu instid0(VALU_DEP_4)
	v_add_f32_e32 v58, v60, v76
	s_wait_dscnt 0x0
	v_dual_fmac_f32 v78, v13, v80 :: v_dual_mul_f32 v60, v10, v17
	v_mul_f32_e32 v13, v11, v17
	v_dual_add_f32 v9, v77, v9 :: v_dual_mul_f32 v62, v11, v19
	ds_load_2addr_b64 v[74:77], v65 offset0:128 offset1:144
	v_dual_add_f32 v82, v84, v78 :: v_dual_fma_f32 v13, v10, v16, -v13
	v_dual_mul_f32 v78, v10, v19 :: v_dual_fmac_f32 v60, v11, v16
	v_fma_f32 v10, v10, v18, -v62
	s_delay_alu instid0(VALU_DEP_2) | instskip(NEXT) | instid1(VALU_DEP_3)
	v_dual_add_f32 v62, v66, v13 :: v_dual_fmac_f32 v78, v11, v18
	v_dual_mul_f32 v13, v15, v17 :: v_dual_add_f32 v11, v68, v60
	s_delay_alu instid0(VALU_DEP_3) | instskip(NEXT) | instid1(VALU_DEP_2)
	v_dual_add_f32 v60, v8, v10 :: v_dual_mul_f32 v8, v14, v17
	v_dual_add_f32 v17, v64, v78 :: v_dual_fma_f32 v10, v14, v16, -v13
	v_mul_f32_e32 v13, v15, v19
	ds_load_b128 v[78:81], v61 offset:4128
	v_dual_fmac_f32 v8, v15, v16 :: v_dual_add_f32 v16, v12, v10
	v_dual_mul_f32 v10, v14, v19 :: v_dual_fma_f32 v12, v14, v18, -v13
	s_wait_dscnt 0x1
	s_delay_alu instid0(VALU_DEP_2) | instskip(NEXT) | instid1(VALU_DEP_2)
	v_dual_mul_f32 v13, v5, v75 :: v_dual_add_f32 v19, v58, v8
	v_dual_mul_f32 v8, v4, v75 :: v_dual_fmac_f32 v10, v15, v18
	s_delay_alu instid0(VALU_DEP_2) | instskip(SKIP_3) | instid1(VALU_DEP_2)
	v_dual_add_f32 v18, v9, v12 :: v_dual_fma_f32 v9, v4, v74, -v13
	ds_load_2addr_b64 v[12:15], v65 offset0:160 offset1:176
	v_dual_fmac_f32 v8, v5, v74 :: v_dual_mul_f32 v58, v5, v77
	v_dual_add_f32 v64, v82, v10 :: v_dual_mul_f32 v66, v4, v77
	v_dual_add_f32 v62, v62, v9 :: v_dual_add_f32 v68, v11, v8
	ds_load_b128 v[8:11], v61 offset:4144
	s_wait_dscnt 0x2
	v_dual_fma_f32 v4, v4, v76, -v58 :: v_dual_mul_f32 v58, v79, v75
	v_dual_fmac_f32 v66, v5, v76 :: v_dual_mul_f32 v5, v78, v75
	s_delay_alu instid0(VALU_DEP_2) | instskip(NEXT) | instid1(VALU_DEP_2)
	v_dual_add_f32 v4, v60, v4 :: v_dual_mul_f32 v60, v79, v77
	v_dual_fma_f32 v58, v78, v74, -v58 :: v_dual_fmac_f32 v5, v79, v74
	s_delay_alu instid0(VALU_DEP_3) | instskip(NEXT) | instid1(VALU_DEP_2)
	v_dual_add_f32 v17, v17, v66 :: v_dual_mul_f32 v66, v78, v77
	v_dual_fma_f32 v60, v78, v76, -v60 :: v_dual_add_f32 v16, v16, v58
	s_wait_dscnt 0x1
	v_mul_f32_e32 v58, v7, v13
	s_delay_alu instid0(VALU_DEP_3) | instskip(NEXT) | instid1(VALU_DEP_3)
	v_fmac_f32_e32 v66, v79, v76
	v_dual_add_f32 v60, v18, v60 :: v_dual_add_f32 v5, v19, v5
	s_delay_alu instid0(VALU_DEP_3) | instskip(SKIP_3) | instid1(VALU_DEP_2)
	v_dual_fma_f32 v19, v6, v12, -v58 :: v_dual_mul_f32 v18, v6, v13
	ds_load_2addr_b64 v[74:77], v65 offset0:192 offset1:208
	v_dual_mul_f32 v58, v7, v15 :: v_dual_add_f32 v64, v64, v66
	v_dual_add_f32 v62, v62, v19 :: v_dual_fmac_f32 v18, v7, v12
	v_dual_mul_f32 v19, v6, v15 :: v_dual_fma_f32 v6, v6, v14, -v58
	v_dual_mul_f32 v58, v81, v13 :: v_dual_mul_f32 v13, v80, v13
	s_delay_alu instid0(VALU_DEP_3) | instskip(NEXT) | instid1(VALU_DEP_3)
	v_add_f32_e32 v66, v68, v18
	v_fmac_f32_e32 v19, v7, v14
	s_delay_alu instid0(VALU_DEP_4) | instskip(NEXT) | instid1(VALU_DEP_4)
	v_dual_add_f32 v4, v4, v6 :: v_dual_mul_f32 v7, v81, v15
	v_dual_fma_f32 v6, v80, v12, -v58 :: v_dual_fmac_f32 v13, v81, v12
	s_delay_alu instid0(VALU_DEP_3) | instskip(NEXT) | instid1(VALU_DEP_3)
	v_add_f32_e32 v12, v17, v19
	v_dual_mul_f32 v15, v80, v15 :: v_dual_fma_f32 v7, v80, v14, -v7
	s_delay_alu instid0(VALU_DEP_3)
	v_add_f32_e32 v6, v16, v6
	ds_load_2addr_b64 v[16:19], v65 offset0:224 offset1:240
	v_add_f32_e32 v5, v5, v13
	s_wait_dscnt 0x1
	v_mul_f32_e32 v13, v1, v75
	v_dual_fmac_f32 v15, v81, v14 :: v_dual_mul_f32 v14, v0, v75
	v_dual_add_f32 v7, v60, v7 :: v_dual_mul_f32 v58, v1, v77
	s_delay_alu instid0(VALU_DEP_3) | instskip(NEXT) | instid1(VALU_DEP_3)
	v_dual_fma_f32 v13, v0, v74, -v13 :: v_dual_mul_f32 v60, v0, v77
	v_dual_fmac_f32 v14, v1, v74 :: v_dual_add_f32 v64, v64, v15
	s_delay_alu instid0(VALU_DEP_2) | instskip(NEXT) | instid1(VALU_DEP_2)
	v_dual_fma_f32 v0, v0, v76, -v58 :: v_dual_add_f32 v62, v62, v13
	v_dual_fmac_f32 v60, v1, v76 :: v_dual_add_f32 v58, v66, v14
	v_dual_mul_f32 v1, v9, v75 :: v_dual_mul_f32 v13, v8, v75
	s_delay_alu instid0(VALU_DEP_3) | instskip(NEXT) | instid1(VALU_DEP_3)
	v_dual_add_f32 v0, v4, v0 :: v_dual_mul_f32 v4, v9, v77
	v_add_f32_e32 v60, v12, v60
	s_delay_alu instid0(VALU_DEP_3) | instskip(NEXT) | instid1(VALU_DEP_3)
	v_dual_fma_f32 v1, v8, v74, -v1 :: v_dual_mul_f32 v66, v8, v77
	v_dual_fmac_f32 v13, v9, v74 :: v_dual_fma_f32 v4, v8, v76, -v4
	s_wait_dscnt 0x0
	v_mul_f32_e32 v8, v3, v17
	s_delay_alu instid0(VALU_DEP_3) | instskip(NEXT) | instid1(VALU_DEP_3)
	v_dual_add_f32 v1, v6, v1 :: v_dual_fmac_f32 v66, v9, v76
	v_dual_add_f32 v68, v5, v13 :: v_dual_add_f32 v9, v7, v4
	s_delay_alu instid0(VALU_DEP_3) | instskip(NEXT) | instid1(VALU_DEP_3)
	v_dual_fma_f32 v4, v2, v16, -v8 :: v_dual_mul_f32 v5, v2, v17
	v_dual_mul_f32 v6, v3, v19 :: v_dual_add_f32 v64, v64, v66
	ds_load_b128 v[12:15], v61 offset:64
	ds_load_2addr_b64 v[74:77], v71 offset1:16
	v_dual_mul_f32 v7, v2, v19 :: v_dual_fmac_f32 v5, v3, v16
	v_dual_add_f32 v62, v62, v4 :: v_dual_mul_f32 v4, v11, v17
	s_delay_alu instid0(VALU_DEP_2) | instskip(NEXT) | instid1(VALU_DEP_3)
	v_dual_fma_f32 v2, v2, v18, -v6 :: v_dual_fmac_f32 v7, v3, v18
	v_add_f32_e32 v58, v58, v5
	v_mul_f32_e32 v3, v10, v17
	ds_load_b128 v[78:81], v61 offset:4160
	v_dual_add_f32 v17, v0, v2 :: v_dual_fma_f32 v0, v10, v16, -v4
	v_dual_mul_f32 v2, v11, v19 :: v_dual_fmac_f32 v3, v11, v16
	v_add_f32_e32 v60, v60, v7
	ds_load_b128 v[4:7], v61 offset:80
	v_dual_add_f32 v16, v1, v0 :: v_dual_fma_f32 v0, v10, v18, -v2
	v_mul_f32_e32 v1, v10, v19
	v_add_f32_e32 v19, v68, v3
	s_wait_dscnt 0x2
	v_dual_mul_f32 v2, v13, v75 :: v_dual_mul_f32 v3, v12, v75
	s_delay_alu instid0(VALU_DEP_3) | instskip(NEXT) | instid1(VALU_DEP_2)
	v_dual_fmac_f32 v1, v11, v18 :: v_dual_add_f32 v18, v9, v0
	v_fma_f32 v0, v12, v74, -v2
	ds_load_2addr_b64 v[8:11], v71 offset0:32 offset1:48
	v_dual_fmac_f32 v3, v13, v74 :: v_dual_mul_f32 v2, v13, v77
	s_wait_dscnt 0x2
	v_dual_mul_f32 v66, v12, v77 :: v_dual_mul_f32 v68, v79, v75
	v_dual_add_f32 v64, v64, v1 :: v_dual_add_f32 v62, v62, v0
	s_delay_alu instid0(VALU_DEP_3) | instskip(NEXT) | instid1(VALU_DEP_3)
	v_dual_fma_f32 v12, v12, v76, -v2 :: v_dual_add_f32 v58, v58, v3
	v_dual_fmac_f32 v66, v13, v76 :: v_dual_mul_f32 v13, v78, v75
	s_delay_alu instid0(VALU_DEP_2) | instskip(NEXT) | instid1(VALU_DEP_2)
	v_dual_fma_f32 v68, v78, v74, -v68 :: v_dual_add_f32 v12, v17, v12
	v_dual_mul_f32 v17, v79, v77 :: v_dual_add_f32 v60, v60, v66
	s_delay_alu instid0(VALU_DEP_3) | instskip(NEXT) | instid1(VALU_DEP_3)
	v_dual_mul_f32 v66, v78, v77 :: v_dual_fmac_f32 v13, v79, v74
	v_add_f32_e32 v68, v16, v68
	s_delay_alu instid0(VALU_DEP_3)
	v_fma_f32 v17, v78, v76, -v17
	ds_load_b128 v[0:3], v61 offset:4176
	s_wait_dscnt 0x1
	v_mul_f32_e32 v16, v15, v9
	v_add_f32_e32 v13, v19, v13
	v_dual_fmac_f32 v66, v79, v76 :: v_dual_add_f32 v74, v18, v17
	s_delay_alu instid0(VALU_DEP_3) | instskip(SKIP_4) | instid1(VALU_DEP_3)
	v_dual_mul_f32 v75, v14, v9 :: v_dual_fma_f32 v76, v14, v8, -v16
	ds_load_2addr_b64 v[16:19], v71 offset0:64 offset1:80
	v_dual_mul_f32 v77, v15, v11 :: v_dual_add_f32 v64, v64, v66
	v_dual_fmac_f32 v75, v15, v8 :: v_dual_mul_f32 v66, v14, v11
	v_dual_add_f32 v62, v62, v76 :: v_dual_mul_f32 v76, v81, v9
	v_dual_fma_f32 v14, v14, v10, -v77 :: v_dual_mul_f32 v9, v80, v9
	s_delay_alu instid0(VALU_DEP_3) | instskip(NEXT) | instid1(VALU_DEP_2)
	v_dual_add_f32 v58, v58, v75 :: v_dual_fmac_f32 v66, v15, v10
	v_dual_add_f32 v75, v12, v14 :: v_dual_fmac_f32 v9, v81, v8
	s_delay_alu instid0(VALU_DEP_4) | instskip(NEXT) | instid1(VALU_DEP_3)
	v_dual_fma_f32 v12, v80, v8, -v76 :: v_dual_mul_f32 v8, v81, v11
	v_add_f32_e32 v60, v60, v66
	s_delay_alu instid0(VALU_DEP_3) | instskip(SKIP_1) | instid1(VALU_DEP_3)
	v_dual_mul_f32 v11, v80, v11 :: v_dual_add_f32 v9, v13, v9
	s_wait_dscnt 0x0
	v_dual_add_f32 v66, v68, v12 :: v_dual_mul_f32 v68, v5, v17
	v_fma_f32 v8, v80, v10, -v8
	ds_load_2addr_b64 v[12:15], v71 offset0:96 offset1:112
	v_dual_fmac_f32 v11, v81, v10 :: v_dual_mul_f32 v10, v4, v17
	v_fma_f32 v68, v4, v16, -v68
	v_dual_add_f32 v8, v74, v8 :: v_dual_mul_f32 v74, v5, v19
	s_delay_alu instid0(VALU_DEP_3) | instskip(NEXT) | instid1(VALU_DEP_2)
	v_dual_fmac_f32 v10, v5, v16 :: v_dual_mul_f32 v76, v4, v19
	v_dual_add_f32 v62, v62, v68 :: v_dual_fma_f32 v4, v4, v18, -v74
	s_delay_alu instid0(VALU_DEP_2) | instskip(NEXT) | instid1(VALU_DEP_3)
	v_dual_add_f32 v64, v64, v11 :: v_dual_add_f32 v58, v58, v10
	v_fmac_f32_e32 v76, v5, v18
	v_dual_mul_f32 v5, v1, v17 :: v_dual_mul_f32 v10, v0, v17
	s_delay_alu instid0(VALU_DEP_4) | instskip(NEXT) | instid1(VALU_DEP_3)
	v_dual_add_f32 v4, v75, v4 :: v_dual_mul_f32 v11, v1, v19
	v_add_f32_e32 v60, v60, v76
	s_delay_alu instid0(VALU_DEP_3) | instskip(NEXT) | instid1(VALU_DEP_3)
	v_dual_fma_f32 v5, v0, v16, -v5 :: v_dual_fmac_f32 v10, v1, v16
	v_dual_mul_f32 v68, v0, v19 :: v_dual_fma_f32 v0, v0, v18, -v11
	s_wait_dscnt 0x0
	v_mul_f32_e32 v11, v7, v13
	s_delay_alu instid0(VALU_DEP_3) | instskip(NEXT) | instid1(VALU_DEP_3)
	v_dual_add_f32 v5, v66, v5 :: v_dual_add_f32 v66, v9, v10
	v_dual_fmac_f32 v68, v1, v18 :: v_dual_add_f32 v0, v8, v0
	s_delay_alu instid0(VALU_DEP_3)
	v_dual_fma_f32 v1, v6, v12, -v11 :: v_dual_mul_f32 v74, v6, v13
	ds_load_b128 v[8:11], v61 offset:96
	ds_load_2addr_b64 v[16:19], v71 offset0:128 offset1:144
	v_dual_mul_f32 v75, v7, v15 :: v_dual_add_f32 v64, v64, v68
	v_dual_mul_f32 v68, v6, v15 :: v_dual_fmac_f32 v74, v7, v12
	v_add_f32_e32 v1, v62, v1
	s_delay_alu instid0(VALU_DEP_3) | instskip(NEXT) | instid1(VALU_DEP_3)
	v_dual_fma_f32 v6, v6, v14, -v75 :: v_dual_mul_f32 v62, v3, v13
	v_fmac_f32_e32 v68, v7, v14
	s_delay_alu instid0(VALU_DEP_4) | instskip(NEXT) | instid1(VALU_DEP_3)
	v_add_f32_e32 v58, v58, v74
	v_dual_mul_f32 v13, v2, v13 :: v_dual_add_f32 v78, v4, v6
	s_delay_alu instid0(VALU_DEP_4) | instskip(NEXT) | instid1(VALU_DEP_4)
	v_dual_fma_f32 v4, v2, v12, -v62 :: v_dual_mul_f32 v6, v3, v15
	v_add_f32_e32 v60, v60, v68
	s_delay_alu instid0(VALU_DEP_3)
	v_fmac_f32_e32 v13, v3, v12
	ds_load_b128 v[74:77], v61 offset:4192
	v_dual_add_f32 v62, v5, v4 :: v_dual_fma_f32 v12, v2, v14, -v6
	s_wait_dscnt 0x1
	v_dual_mul_f32 v2, v2, v15 :: v_dual_mul_f32 v15, v9, v17
	v_mul_f32_e32 v68, v8, v17
	s_delay_alu instid0(VALU_DEP_3) | instskip(NEXT) | instid1(VALU_DEP_3)
	v_dual_add_f32 v66, v66, v13 :: v_dual_add_f32 v79, v0, v12
	v_dual_fmac_f32 v2, v3, v14 :: v_dual_fma_f32 v0, v8, v16, -v15
	s_delay_alu instid0(VALU_DEP_3)
	v_fmac_f32_e32 v68, v9, v16
	ds_load_2addr_b64 v[12:15], v71 offset0:160 offset1:176
	v_mul_f32_e32 v3, v9, v19
	ds_load_b128 v[4:7], v61 offset:112
	v_dual_mul_f32 v81, v8, v19 :: v_dual_add_f32 v58, v58, v68
	v_dual_add_f32 v64, v64, v2 :: v_dual_add_f32 v80, v1, v0
	s_delay_alu instid0(VALU_DEP_2) | instskip(SKIP_2) | instid1(VALU_DEP_2)
	v_dual_fma_f32 v8, v8, v18, -v3 :: v_dual_fmac_f32 v81, v9, v18
	s_wait_dscnt 0x2
	v_dual_mul_f32 v9, v74, v17 :: v_dual_mul_f32 v68, v75, v17
	v_dual_mul_f32 v17, v75, v19 :: v_dual_add_f32 v8, v78, v8
	s_delay_alu instid0(VALU_DEP_2) | instskip(NEXT) | instid1(VALU_DEP_3)
	v_dual_mul_f32 v78, v74, v19 :: v_dual_fmac_f32 v9, v75, v16
	v_dual_fma_f32 v68, v74, v16, -v68 :: v_dual_add_f32 v60, v60, v81
	s_delay_alu instid0(VALU_DEP_2) | instskip(SKIP_4) | instid1(VALU_DEP_2)
	v_dual_fma_f32 v16, v74, v18, -v17 :: v_dual_fmac_f32 v78, v75, v18
	ds_load_b128 v[0:3], v61 offset:4208
	s_wait_dscnt 0x2
	v_dual_mul_f32 v17, v11, v13 :: v_dual_add_f32 v62, v62, v68
	v_dual_add_f32 v9, v66, v9 :: v_dual_add_f32 v66, v79, v16
	v_dual_mul_f32 v68, v10, v13 :: v_dual_fma_f32 v74, v10, v12, -v17
	ds_load_2addr_b64 v[16:19], v71 offset0:192 offset1:208
	v_dual_mul_f32 v75, v11, v15 :: v_dual_add_f32 v64, v64, v78
	v_dual_fmac_f32 v68, v11, v12 :: v_dual_add_f32 v74, v80, v74
	s_delay_alu instid0(VALU_DEP_2) | instskip(SKIP_1) | instid1(VALU_DEP_2)
	v_dual_mul_f32 v78, v10, v15 :: v_dual_fma_f32 v10, v10, v14, -v75
	v_dual_mul_f32 v75, v77, v13 :: v_dual_mul_f32 v13, v76, v13
	v_dual_add_f32 v58, v58, v68 :: v_dual_fmac_f32 v78, v11, v14
	s_delay_alu instid0(VALU_DEP_3) | instskip(NEXT) | instid1(VALU_DEP_3)
	v_add_f32_e32 v8, v8, v10
	v_dual_fma_f32 v10, v76, v12, -v75 :: v_dual_mul_f32 v11, v77, v15
	s_delay_alu instid0(VALU_DEP_4) | instskip(NEXT) | instid1(VALU_DEP_4)
	v_dual_fmac_f32 v13, v77, v12 :: v_dual_mul_f32 v68, v76, v15
	v_add_f32_e32 v60, v60, v78
	s_delay_alu instid0(VALU_DEP_3) | instskip(NEXT) | instid1(VALU_DEP_3)
	v_add_f32_e32 v10, v62, v10
	v_dual_fma_f32 v11, v76, v14, -v11 :: v_dual_add_f32 v9, v9, v13
	s_wait_dscnt 0x0
	v_mul_f32_e32 v62, v5, v17
	v_dual_fmac_f32 v68, v77, v14 :: v_dual_mul_f32 v75, v4, v17
	ds_load_2addr_b64 v[12:15], v71 offset0:224 offset1:240
	v_dual_add_f32 v11, v66, v11 :: v_dual_fma_f32 v62, v4, v16, -v62
	v_dual_mul_f32 v66, v5, v19 :: v_dual_fmac_f32 v75, v5, v16
	v_mul_f32_e32 v76, v4, v19
	s_delay_alu instid0(VALU_DEP_3) | instskip(NEXT) | instid1(VALU_DEP_3)
	v_dual_add_f32 v64, v64, v68 :: v_dual_add_f32 v62, v74, v62
	v_fma_f32 v4, v4, v18, -v66
	s_delay_alu instid0(VALU_DEP_3) | instskip(SKIP_1) | instid1(VALU_DEP_3)
	v_dual_mul_f32 v66, v0, v19 :: v_dual_fmac_f32 v76, v5, v18
	v_dual_mul_f32 v5, v1, v17 :: v_dual_mul_f32 v17, v0, v17
	v_dual_add_f32 v4, v8, v4 :: v_dual_mul_f32 v8, v1, v19
	s_delay_alu instid0(VALU_DEP_3) | instskip(NEXT) | instid1(VALU_DEP_3)
	v_add_f32_e32 v60, v60, v76
	v_fma_f32 v5, v0, v16, -v5
	s_delay_alu instid0(VALU_DEP_4) | instskip(SKIP_2) | instid1(VALU_DEP_3)
	v_dual_fmac_f32 v17, v1, v16 :: v_dual_fmac_f32 v66, v1, v18
	s_wait_dscnt 0x0
	v_dual_fma_f32 v0, v0, v18, -v8 :: v_dual_mul_f32 v8, v7, v13
	v_add_f32_e32 v5, v10, v5
	s_delay_alu instid0(VALU_DEP_3) | instskip(NEXT) | instid1(VALU_DEP_3)
	v_dual_add_f32 v68, v9, v17 :: v_dual_add_f32 v58, v58, v75
	v_add_f32_e32 v0, v11, v0
	s_delay_alu instid0(VALU_DEP_4)
	v_dual_fma_f32 v1, v6, v12, -v8 :: v_dual_mul_f32 v74, v6, v13
	ds_load_b128 v[8:11], v61 offset:128
	ds_load_2addr_b64 v[16:19], v72 offset1:16
	v_dual_mul_f32 v75, v7, v15 :: v_dual_add_f32 v64, v64, v66
	v_dual_mul_f32 v66, v6, v15 :: v_dual_fmac_f32 v74, v7, v12
	v_add_f32_e32 v1, v62, v1
	s_delay_alu instid0(VALU_DEP_3) | instskip(NEXT) | instid1(VALU_DEP_3)
	v_dual_fma_f32 v6, v6, v14, -v75 :: v_dual_mul_f32 v62, v3, v13
	v_fmac_f32_e32 v66, v7, v14
	s_delay_alu instid0(VALU_DEP_4) | instskip(NEXT) | instid1(VALU_DEP_3)
	v_add_f32_e32 v58, v58, v74
	v_dual_mul_f32 v13, v2, v13 :: v_dual_add_f32 v78, v4, v6
	s_delay_alu instid0(VALU_DEP_3) | instskip(NEXT) | instid1(VALU_DEP_2)
	v_dual_fma_f32 v4, v2, v12, -v62 :: v_dual_add_f32 v60, v60, v66
	v_dual_mul_f32 v6, v3, v15 :: v_dual_fmac_f32 v13, v3, v12
	ds_load_b128 v[74:77], v61 offset:4224
	v_dual_add_f32 v62, v5, v4 :: v_dual_fma_f32 v12, v2, v14, -v6
	s_wait_dscnt 0x1
	v_dual_mul_f32 v2, v2, v15 :: v_dual_mul_f32 v15, v9, v17
	v_add_f32_e32 v66, v68, v13
	v_mul_f32_e32 v68, v8, v17
	s_delay_alu instid0(VALU_DEP_3) | instskip(NEXT) | instid1(VALU_DEP_4)
	v_dual_add_f32 v79, v0, v12 :: v_dual_fmac_f32 v2, v3, v14
	v_fma_f32 v0, v8, v16, -v15
	ds_load_2addr_b64 v[12:15], v72 offset0:32 offset1:48
	v_mul_f32_e32 v3, v9, v19
	ds_load_b128 v[4:7], v61 offset:144
	v_dual_fmac_f32 v68, v9, v16 :: v_dual_mul_f32 v81, v8, v19
	v_dual_add_f32 v64, v64, v2 :: v_dual_add_f32 v80, v1, v0
	s_delay_alu instid0(VALU_DEP_2) | instskip(SKIP_1) | instid1(VALU_DEP_3)
	v_dual_fma_f32 v8, v8, v18, -v3 :: v_dual_add_f32 v58, v58, v68
	s_wait_dscnt 0x2
	v_dual_mul_f32 v68, v75, v17 :: v_dual_fmac_f32 v81, v9, v18
	v_mul_f32_e32 v9, v74, v17
	s_delay_alu instid0(VALU_DEP_3) | instskip(NEXT) | instid1(VALU_DEP_3)
	v_dual_add_f32 v8, v78, v8 :: v_dual_mul_f32 v17, v75, v19
	v_dual_fma_f32 v68, v74, v16, -v68 :: v_dual_add_f32 v60, v60, v81
	s_delay_alu instid0(VALU_DEP_3) | instskip(NEXT) | instid1(VALU_DEP_3)
	v_dual_fmac_f32 v9, v75, v16 :: v_dual_mul_f32 v78, v74, v19
	v_fma_f32 v16, v74, v18, -v17
	s_wait_dscnt 0x1
	s_delay_alu instid0(VALU_DEP_3) | instskip(NEXT) | instid1(VALU_DEP_3)
	v_dual_add_f32 v62, v62, v68 :: v_dual_mul_f32 v17, v11, v13
	v_dual_add_f32 v9, v66, v9 :: v_dual_fmac_f32 v78, v75, v18
	s_delay_alu instid0(VALU_DEP_3) | instskip(NEXT) | instid1(VALU_DEP_3)
	v_dual_add_f32 v66, v79, v16 :: v_dual_mul_f32 v68, v10, v13
	v_fma_f32 v74, v10, v12, -v17
	ds_load_2addr_b64 v[16:19], v72 offset0:64 offset1:80
	v_dual_mul_f32 v75, v11, v15 :: v_dual_add_f32 v64, v64, v78
	v_dual_fmac_f32 v68, v11, v12 :: v_dual_add_f32 v74, v80, v74
	s_delay_alu instid0(VALU_DEP_2)
	v_dual_mul_f32 v78, v10, v15 :: v_dual_fma_f32 v10, v10, v14, -v75
	v_dual_mul_f32 v75, v77, v13 :: v_dual_mul_f32 v13, v76, v13
	ds_load_b128 v[0:3], v61 offset:4240
	v_dual_add_f32 v58, v58, v68 :: v_dual_fmac_f32 v78, v11, v14
	v_dual_add_f32 v8, v8, v10 :: v_dual_fmac_f32 v13, v77, v12
	v_dual_fma_f32 v10, v76, v12, -v75 :: v_dual_mul_f32 v11, v77, v15
	v_mul_f32_e32 v68, v76, v15
	s_delay_alu instid0(VALU_DEP_3) | instskip(NEXT) | instid1(VALU_DEP_3)
	v_dual_add_f32 v60, v60, v78 :: v_dual_add_f32 v9, v9, v13
	v_add_f32_e32 v10, v62, v10
	s_wait_dscnt 0x1
	v_dual_fma_f32 v11, v76, v14, -v11 :: v_dual_mul_f32 v62, v5, v17
	v_dual_fmac_f32 v68, v77, v14 :: v_dual_mul_f32 v75, v4, v17
	ds_load_2addr_b64 v[12:15], v72 offset0:96 offset1:112
	v_dual_add_f32 v11, v66, v11 :: v_dual_fma_f32 v62, v4, v16, -v62
	v_dual_mul_f32 v66, v5, v19 :: v_dual_fmac_f32 v75, v5, v16
	v_mul_f32_e32 v76, v4, v19
	s_delay_alu instid0(VALU_DEP_3) | instskip(NEXT) | instid1(VALU_DEP_3)
	v_dual_add_f32 v64, v64, v68 :: v_dual_add_f32 v62, v74, v62
	v_fma_f32 v4, v4, v18, -v66
	s_wait_dscnt 0x1
	s_delay_alu instid0(VALU_DEP_3) | instskip(SKIP_1) | instid1(VALU_DEP_3)
	v_dual_mul_f32 v66, v0, v19 :: v_dual_fmac_f32 v76, v5, v18
	v_dual_mul_f32 v5, v1, v17 :: v_dual_mul_f32 v17, v0, v17
	v_dual_add_f32 v4, v8, v4 :: v_dual_mul_f32 v8, v1, v19
	s_delay_alu instid0(VALU_DEP_3) | instskip(NEXT) | instid1(VALU_DEP_3)
	v_add_f32_e32 v60, v60, v76
	v_fma_f32 v5, v0, v16, -v5
	s_delay_alu instid0(VALU_DEP_4) | instskip(SKIP_2) | instid1(VALU_DEP_3)
	v_dual_fmac_f32 v17, v1, v16 :: v_dual_fmac_f32 v66, v1, v18
	s_wait_dscnt 0x0
	v_dual_fma_f32 v0, v0, v18, -v8 :: v_dual_mul_f32 v8, v7, v13
	v_add_f32_e32 v5, v10, v5
	s_delay_alu instid0(VALU_DEP_3) | instskip(NEXT) | instid1(VALU_DEP_3)
	v_dual_add_f32 v68, v9, v17 :: v_dual_add_f32 v58, v58, v75
	v_add_f32_e32 v0, v11, v0
	s_delay_alu instid0(VALU_DEP_4)
	v_dual_fma_f32 v1, v6, v12, -v8 :: v_dual_mul_f32 v74, v6, v13
	ds_load_b128 v[8:11], v61 offset:160
	ds_load_2addr_b64 v[16:19], v72 offset0:128 offset1:144
	v_dual_mul_f32 v75, v7, v15 :: v_dual_add_f32 v64, v64, v66
	v_dual_mul_f32 v66, v6, v15 :: v_dual_fmac_f32 v74, v7, v12
	v_add_f32_e32 v1, v62, v1
	s_delay_alu instid0(VALU_DEP_3) | instskip(NEXT) | instid1(VALU_DEP_3)
	v_dual_fma_f32 v6, v6, v14, -v75 :: v_dual_mul_f32 v62, v3, v13
	v_fmac_f32_e32 v66, v7, v14
	s_delay_alu instid0(VALU_DEP_4) | instskip(NEXT) | instid1(VALU_DEP_3)
	v_add_f32_e32 v58, v58, v74
	v_dual_mul_f32 v13, v2, v13 :: v_dual_add_f32 v78, v4, v6
	s_delay_alu instid0(VALU_DEP_3) | instskip(NEXT) | instid1(VALU_DEP_2)
	v_dual_fma_f32 v4, v2, v12, -v62 :: v_dual_add_f32 v60, v60, v66
	v_dual_mul_f32 v6, v3, v15 :: v_dual_fmac_f32 v13, v3, v12
	ds_load_b128 v[74:77], v61 offset:4256
	v_dual_add_f32 v62, v5, v4 :: v_dual_fma_f32 v12, v2, v14, -v6
	s_wait_dscnt 0x1
	v_dual_mul_f32 v2, v2, v15 :: v_dual_mul_f32 v15, v9, v17
	v_add_f32_e32 v66, v68, v13
	v_mul_f32_e32 v68, v8, v17
	s_delay_alu instid0(VALU_DEP_3) | instskip(NEXT) | instid1(VALU_DEP_4)
	v_dual_add_f32 v79, v0, v12 :: v_dual_fmac_f32 v2, v3, v14
	v_fma_f32 v0, v8, v16, -v15
	ds_load_2addr_b64 v[12:15], v72 offset0:160 offset1:176
	v_mul_f32_e32 v3, v9, v19
	ds_load_b128 v[4:7], v61 offset:176
	v_dual_fmac_f32 v68, v9, v16 :: v_dual_mul_f32 v81, v8, v19
	v_dual_add_f32 v64, v64, v2 :: v_dual_add_f32 v80, v1, v0
	s_delay_alu instid0(VALU_DEP_2) | instskip(SKIP_1) | instid1(VALU_DEP_3)
	v_dual_fma_f32 v8, v8, v18, -v3 :: v_dual_add_f32 v58, v58, v68
	s_wait_dscnt 0x2
	v_dual_mul_f32 v68, v75, v17 :: v_dual_fmac_f32 v81, v9, v18
	v_mul_f32_e32 v9, v74, v17
	s_delay_alu instid0(VALU_DEP_3) | instskip(NEXT) | instid1(VALU_DEP_3)
	v_dual_add_f32 v8, v78, v8 :: v_dual_mul_f32 v17, v75, v19
	v_dual_fma_f32 v68, v74, v16, -v68 :: v_dual_add_f32 v60, v60, v81
	s_delay_alu instid0(VALU_DEP_3) | instskip(NEXT) | instid1(VALU_DEP_3)
	v_dual_fmac_f32 v9, v75, v16 :: v_dual_mul_f32 v78, v74, v19
	v_fma_f32 v16, v74, v18, -v17
	s_wait_dscnt 0x1
	s_delay_alu instid0(VALU_DEP_3) | instskip(NEXT) | instid1(VALU_DEP_3)
	v_dual_add_f32 v62, v62, v68 :: v_dual_mul_f32 v17, v11, v13
	v_dual_add_f32 v9, v66, v9 :: v_dual_fmac_f32 v78, v75, v18
	s_delay_alu instid0(VALU_DEP_3) | instskip(NEXT) | instid1(VALU_DEP_3)
	v_dual_add_f32 v66, v79, v16 :: v_dual_mul_f32 v68, v10, v13
	v_fma_f32 v74, v10, v12, -v17
	ds_load_2addr_b64 v[16:19], v72 offset0:192 offset1:208
	v_dual_mul_f32 v75, v11, v15 :: v_dual_add_f32 v64, v64, v78
	v_dual_fmac_f32 v68, v11, v12 :: v_dual_add_f32 v74, v80, v74
	s_delay_alu instid0(VALU_DEP_2)
	v_dual_mul_f32 v78, v10, v15 :: v_dual_fma_f32 v10, v10, v14, -v75
	v_dual_mul_f32 v75, v77, v13 :: v_dual_mul_f32 v13, v76, v13
	ds_load_b128 v[0:3], v61 offset:4272
	v_dual_add_f32 v58, v58, v68 :: v_dual_fmac_f32 v78, v11, v14
	v_dual_add_f32 v8, v8, v10 :: v_dual_fmac_f32 v13, v77, v12
	v_dual_fma_f32 v10, v76, v12, -v75 :: v_dual_mul_f32 v11, v77, v15
	v_mul_f32_e32 v68, v76, v15
	s_delay_alu instid0(VALU_DEP_3) | instskip(NEXT) | instid1(VALU_DEP_3)
	v_dual_add_f32 v60, v60, v78 :: v_dual_add_f32 v9, v9, v13
	v_add_f32_e32 v10, v62, v10
	s_wait_dscnt 0x1
	v_dual_fma_f32 v11, v76, v14, -v11 :: v_dual_mul_f32 v62, v5, v17
	v_dual_fmac_f32 v68, v77, v14 :: v_dual_mul_f32 v75, v4, v17
	ds_load_2addr_b64 v[12:15], v72 offset0:224 offset1:240
	v_dual_add_f32 v11, v66, v11 :: v_dual_fma_f32 v62, v4, v16, -v62
	v_dual_mul_f32 v66, v5, v19 :: v_dual_fmac_f32 v75, v5, v16
	v_mul_f32_e32 v76, v4, v19
	s_delay_alu instid0(VALU_DEP_3) | instskip(NEXT) | instid1(VALU_DEP_3)
	v_dual_add_f32 v64, v64, v68 :: v_dual_add_f32 v62, v74, v62
	v_fma_f32 v4, v4, v18, -v66
	s_wait_dscnt 0x1
	s_delay_alu instid0(VALU_DEP_3) | instskip(SKIP_1) | instid1(VALU_DEP_3)
	v_dual_mul_f32 v66, v0, v19 :: v_dual_fmac_f32 v76, v5, v18
	v_dual_mul_f32 v5, v1, v17 :: v_dual_mul_f32 v17, v0, v17
	v_dual_add_f32 v4, v8, v4 :: v_dual_mul_f32 v8, v1, v19
	s_delay_alu instid0(VALU_DEP_3) | instskip(NEXT) | instid1(VALU_DEP_3)
	v_add_f32_e32 v60, v60, v76
	v_fma_f32 v5, v0, v16, -v5
	s_delay_alu instid0(VALU_DEP_4) | instskip(SKIP_2) | instid1(VALU_DEP_3)
	v_dual_fmac_f32 v17, v1, v16 :: v_dual_fmac_f32 v66, v1, v18
	s_wait_dscnt 0x0
	v_dual_fma_f32 v0, v0, v18, -v8 :: v_dual_mul_f32 v8, v7, v13
	v_add_f32_e32 v5, v10, v5
	s_delay_alu instid0(VALU_DEP_3) | instskip(NEXT) | instid1(VALU_DEP_3)
	v_dual_add_f32 v68, v9, v17 :: v_dual_add_f32 v58, v58, v75
	v_add_f32_e32 v0, v11, v0
	s_delay_alu instid0(VALU_DEP_4)
	v_dual_fma_f32 v1, v6, v12, -v8 :: v_dual_mul_f32 v74, v6, v13
	ds_load_b128 v[8:11], v61 offset:192
	ds_load_2addr_b64 v[16:19], v73 offset1:16
	v_dual_mul_f32 v75, v7, v15 :: v_dual_add_f32 v64, v64, v66
	v_dual_mul_f32 v66, v6, v15 :: v_dual_fmac_f32 v74, v7, v12
	v_add_f32_e32 v1, v62, v1
	s_delay_alu instid0(VALU_DEP_3) | instskip(NEXT) | instid1(VALU_DEP_3)
	v_dual_fma_f32 v6, v6, v14, -v75 :: v_dual_mul_f32 v62, v3, v13
	v_fmac_f32_e32 v66, v7, v14
	s_delay_alu instid0(VALU_DEP_4) | instskip(NEXT) | instid1(VALU_DEP_3)
	v_add_f32_e32 v58, v58, v74
	v_dual_mul_f32 v13, v2, v13 :: v_dual_add_f32 v78, v4, v6
	s_delay_alu instid0(VALU_DEP_3) | instskip(NEXT) | instid1(VALU_DEP_2)
	v_dual_fma_f32 v4, v2, v12, -v62 :: v_dual_add_f32 v60, v60, v66
	v_dual_mul_f32 v6, v3, v15 :: v_dual_fmac_f32 v13, v3, v12
	ds_load_b128 v[74:77], v61 offset:4288
	v_dual_add_f32 v62, v5, v4 :: v_dual_fma_f32 v12, v2, v14, -v6
	s_wait_dscnt 0x1
	v_dual_mul_f32 v2, v2, v15 :: v_dual_mul_f32 v15, v9, v17
	v_add_f32_e32 v66, v68, v13
	v_mul_f32_e32 v68, v8, v17
	s_delay_alu instid0(VALU_DEP_3) | instskip(NEXT) | instid1(VALU_DEP_4)
	v_dual_add_f32 v79, v0, v12 :: v_dual_fmac_f32 v2, v3, v14
	v_fma_f32 v0, v8, v16, -v15
	ds_load_2addr_b64 v[12:15], v73 offset0:32 offset1:48
	v_mul_f32_e32 v3, v9, v19
	ds_load_b128 v[4:7], v61 offset:208
	v_dual_fmac_f32 v68, v9, v16 :: v_dual_mul_f32 v81, v8, v19
	v_dual_add_f32 v64, v64, v2 :: v_dual_add_f32 v80, v1, v0
	s_delay_alu instid0(VALU_DEP_2) | instskip(SKIP_1) | instid1(VALU_DEP_3)
	v_dual_fma_f32 v8, v8, v18, -v3 :: v_dual_add_f32 v58, v58, v68
	s_wait_dscnt 0x2
	v_dual_mul_f32 v68, v75, v17 :: v_dual_fmac_f32 v81, v9, v18
	v_mul_f32_e32 v9, v74, v17
	s_delay_alu instid0(VALU_DEP_3) | instskip(NEXT) | instid1(VALU_DEP_3)
	v_dual_add_f32 v8, v78, v8 :: v_dual_mul_f32 v17, v75, v19
	v_dual_fma_f32 v68, v74, v16, -v68 :: v_dual_add_f32 v60, v60, v81
	s_delay_alu instid0(VALU_DEP_3) | instskip(NEXT) | instid1(VALU_DEP_3)
	v_dual_fmac_f32 v9, v75, v16 :: v_dual_mul_f32 v78, v74, v19
	v_fma_f32 v16, v74, v18, -v17
	s_wait_dscnt 0x1
	s_delay_alu instid0(VALU_DEP_3) | instskip(NEXT) | instid1(VALU_DEP_3)
	v_dual_add_f32 v62, v62, v68 :: v_dual_mul_f32 v17, v11, v13
	v_dual_add_f32 v9, v66, v9 :: v_dual_fmac_f32 v78, v75, v18
	s_delay_alu instid0(VALU_DEP_3) | instskip(NEXT) | instid1(VALU_DEP_3)
	v_dual_add_f32 v66, v79, v16 :: v_dual_mul_f32 v68, v10, v13
	v_fma_f32 v74, v10, v12, -v17
	ds_load_2addr_b64 v[16:19], v73 offset0:64 offset1:80
	v_dual_mul_f32 v75, v11, v15 :: v_dual_add_f32 v64, v64, v78
	v_dual_fmac_f32 v68, v11, v12 :: v_dual_add_f32 v74, v80, v74
	s_delay_alu instid0(VALU_DEP_2)
	v_dual_mul_f32 v78, v10, v15 :: v_dual_fma_f32 v10, v10, v14, -v75
	v_dual_mul_f32 v75, v77, v13 :: v_dual_mul_f32 v13, v76, v13
	ds_load_b128 v[0:3], v61 offset:4304
	v_dual_add_f32 v58, v58, v68 :: v_dual_fmac_f32 v78, v11, v14
	v_dual_add_f32 v8, v8, v10 :: v_dual_fmac_f32 v13, v77, v12
	v_dual_fma_f32 v10, v76, v12, -v75 :: v_dual_mul_f32 v11, v77, v15
	v_mul_f32_e32 v68, v76, v15
	s_delay_alu instid0(VALU_DEP_3) | instskip(NEXT) | instid1(VALU_DEP_3)
	v_dual_add_f32 v60, v60, v78 :: v_dual_add_f32 v9, v9, v13
	v_add_f32_e32 v10, v62, v10
	s_wait_dscnt 0x1
	v_dual_fma_f32 v11, v76, v14, -v11 :: v_dual_mul_f32 v62, v5, v17
	v_dual_fmac_f32 v68, v77, v14 :: v_dual_mul_f32 v75, v4, v17
	ds_load_2addr_b64 v[12:15], v73 offset0:96 offset1:112
	v_dual_add_f32 v11, v66, v11 :: v_dual_fma_f32 v62, v4, v16, -v62
	v_dual_mul_f32 v66, v5, v19 :: v_dual_fmac_f32 v75, v5, v16
	v_mul_f32_e32 v76, v4, v19
	s_delay_alu instid0(VALU_DEP_3) | instskip(NEXT) | instid1(VALU_DEP_3)
	v_dual_add_f32 v64, v64, v68 :: v_dual_add_f32 v62, v74, v62
	v_fma_f32 v4, v4, v18, -v66
	s_wait_dscnt 0x1
	s_delay_alu instid0(VALU_DEP_3) | instskip(SKIP_1) | instid1(VALU_DEP_3)
	v_dual_mul_f32 v66, v0, v19 :: v_dual_fmac_f32 v76, v5, v18
	v_dual_mul_f32 v5, v1, v17 :: v_dual_mul_f32 v17, v0, v17
	v_dual_add_f32 v4, v8, v4 :: v_dual_mul_f32 v8, v1, v19
	s_delay_alu instid0(VALU_DEP_3) | instskip(NEXT) | instid1(VALU_DEP_3)
	v_add_f32_e32 v60, v60, v76
	v_fma_f32 v5, v0, v16, -v5
	s_delay_alu instid0(VALU_DEP_4) | instskip(SKIP_2) | instid1(VALU_DEP_3)
	v_dual_fmac_f32 v17, v1, v16 :: v_dual_fmac_f32 v66, v1, v18
	s_wait_dscnt 0x0
	v_dual_fma_f32 v0, v0, v18, -v8 :: v_dual_mul_f32 v8, v7, v13
	v_add_f32_e32 v5, v10, v5
	s_delay_alu instid0(VALU_DEP_3) | instskip(NEXT) | instid1(VALU_DEP_3)
	v_dual_add_f32 v68, v9, v17 :: v_dual_add_f32 v58, v58, v75
	v_add_f32_e32 v0, v11, v0
	s_delay_alu instid0(VALU_DEP_4)
	v_dual_fma_f32 v1, v6, v12, -v8 :: v_dual_mul_f32 v74, v6, v13
	ds_load_b128 v[8:11], v61 offset:224
	ds_load_2addr_b64 v[16:19], v73 offset0:128 offset1:144
	v_dual_mul_f32 v75, v7, v15 :: v_dual_add_f32 v64, v64, v66
	v_dual_mul_f32 v66, v6, v15 :: v_dual_fmac_f32 v74, v7, v12
	v_add_f32_e32 v62, v62, v1
	s_delay_alu instid0(VALU_DEP_3) | instskip(NEXT) | instid1(VALU_DEP_3)
	v_dual_fma_f32 v6, v6, v14, -v75 :: v_dual_mul_f32 v1, v3, v13
	v_fmac_f32_e32 v66, v7, v14
	s_delay_alu instid0(VALU_DEP_4) | instskip(NEXT) | instid1(VALU_DEP_3)
	v_add_f32_e32 v58, v58, v74
	v_dual_mul_f32 v13, v2, v13 :: v_dual_add_f32 v78, v4, v6
	s_delay_alu instid0(VALU_DEP_3)
	v_dual_fma_f32 v1, v2, v12, -v1 :: v_dual_add_f32 v60, v60, v66
	v_mul_f32_e32 v4, v3, v15
	ds_load_b128 v[74:77], v61 offset:4320
	v_dual_fmac_f32 v13, v3, v12 :: v_dual_add_f32 v66, v5, v1
	v_dual_mul_f32 v12, v2, v15 :: v_dual_fma_f32 v1, v2, v14, -v4
	s_wait_dscnt 0x1
	v_mul_f32_e32 v2, v9, v17
	s_delay_alu instid0(VALU_DEP_3)
	v_add_f32_e32 v68, v68, v13
	ds_load_b128 v[4:7], v61 offset:240
	v_dual_fmac_f32 v12, v3, v14 :: v_dual_mul_f32 v80, v8, v17
	v_fma_f32 v13, v8, v16, -v2
	v_add_f32_e32 v79, v0, v1
	ds_load_2addr_b64 v[0:3], v73 offset0:160 offset1:176
	v_dual_mul_f32 v14, v9, v19 :: v_dual_fmac_f32 v80, v9, v16
	v_mul_f32_e32 v81, v8, v19
	v_dual_add_f32 v64, v64, v12 :: v_dual_add_f32 v62, v62, v13
	s_delay_alu instid0(VALU_DEP_3) | instskip(SKIP_1) | instid1(VALU_DEP_3)
	v_dual_fma_f32 v8, v8, v18, -v14 :: v_dual_add_f32 v58, v58, v80
	s_wait_dscnt 0x2
	v_dual_mul_f32 v82, v75, v17 :: v_dual_fmac_f32 v81, v9, v18
	v_mul_f32_e32 v9, v74, v17
	s_delay_alu instid0(VALU_DEP_3) | instskip(NEXT) | instid1(VALU_DEP_3)
	v_dual_add_f32 v8, v78, v8 :: v_dual_mul_f32 v78, v75, v19
	v_dual_fma_f32 v17, v74, v16, -v82 :: v_dual_add_f32 v60, v60, v81
	s_delay_alu instid0(VALU_DEP_3) | instskip(NEXT) | instid1(VALU_DEP_3)
	v_dual_fmac_f32 v9, v75, v16 :: v_dual_mul_f32 v80, v74, v19
	v_fma_f32 v16, v74, v18, -v78
	s_delay_alu instid0(VALU_DEP_3)
	v_add_f32_e32 v66, v66, v17
	ds_load_b128 v[12:15], v61 offset:4336
	s_wait_dscnt 0x1
	v_mul_f32_e32 v17, v11, v1
	v_dual_add_f32 v9, v68, v9 :: v_dual_add_f32 v74, v79, v16
	v_dual_fmac_f32 v80, v75, v18 :: v_dual_mul_f32 v68, v10, v1
	s_delay_alu instid0(VALU_DEP_3) | instskip(SKIP_3) | instid1(VALU_DEP_2)
	v_fma_f32 v75, v10, v0, -v17
	ds_load_2addr_b64 v[16:19], v73 offset0:192 offset1:208
	v_dual_mul_f32 v78, v11, v3 :: v_dual_add_f32 v64, v64, v80
	v_dual_fmac_f32 v68, v11, v0 :: v_dual_add_f32 v62, v62, v75
	v_dual_mul_f32 v75, v10, v3 :: v_dual_fma_f32 v10, v10, v2, -v78
	s_delay_alu instid0(VALU_DEP_2) | instskip(NEXT) | instid1(VALU_DEP_2)
	v_dual_add_f32 v58, v58, v68 :: v_dual_mul_f32 v68, v77, v1
	v_dual_mul_f32 v1, v76, v1 :: v_dual_fmac_f32 v75, v11, v2
	s_delay_alu instid0(VALU_DEP_3) | instskip(NEXT) | instid1(VALU_DEP_2)
	v_dual_add_f32 v8, v8, v10 :: v_dual_mul_f32 v10, v77, v3
	v_dual_fma_f32 v11, v76, v0, -v68 :: v_dual_fmac_f32 v1, v77, v0
	v_mul_f32_e32 v68, v76, v3
	s_delay_alu instid0(VALU_DEP_4) | instskip(NEXT) | instid1(VALU_DEP_3)
	v_add_f32_e32 v60, v60, v75
	v_dual_fma_f32 v0, v76, v2, -v10 :: v_dual_add_f32 v10, v66, v11
	s_wait_dscnt 0x0
	v_mul_f32_e32 v11, v5, v17
	v_add_f32_e32 v9, v9, v1
	s_delay_alu instid0(VALU_DEP_3) | instskip(SKIP_3) | instid1(VALU_DEP_2)
	v_dual_fmac_f32 v68, v77, v2 :: v_dual_add_f32 v66, v74, v0
	ds_load_2addr_b64 v[0:3], v73 offset0:224 offset1:240
	v_dual_mul_f32 v74, v4, v17 :: v_dual_fma_f32 v11, v4, v16, -v11
	v_dual_add_f32 v64, v64, v68 :: v_dual_mul_f32 v68, v5, v19
	v_dual_mul_f32 v75, v4, v19 :: v_dual_fmac_f32 v74, v5, v16
	s_delay_alu instid0(VALU_DEP_3) | instskip(NEXT) | instid1(VALU_DEP_2)
	v_dual_add_f32 v11, v62, v11 :: v_dual_mul_f32 v62, v13, v17
	v_dual_fma_f32 v4, v4, v18, -v68 :: v_dual_fmac_f32 v75, v5, v18
	s_delay_alu instid0(VALU_DEP_3) | instskip(NEXT) | instid1(VALU_DEP_3)
	v_dual_add_f32 v58, v58, v74 :: v_dual_mul_f32 v5, v12, v17
	v_fma_f32 v17, v12, v16, -v62
	s_delay_alu instid0(VALU_DEP_3) | instskip(NEXT) | instid1(VALU_DEP_3)
	v_dual_add_f32 v4, v8, v4 :: v_dual_mul_f32 v8, v13, v19
	v_dual_add_f32 v60, v60, v75 :: v_dual_fmac_f32 v5, v13, v16
	s_delay_alu instid0(VALU_DEP_3) | instskip(SKIP_1) | instid1(VALU_DEP_3)
	v_dual_add_f32 v10, v10, v17 :: v_dual_mul_f32 v16, v12, v19
	s_wait_dscnt 0x0
	v_dual_fma_f32 v8, v12, v18, -v8 :: v_dual_mul_f32 v12, v7, v1
	v_mul_f32_e32 v17, v6, v1
	v_add_f32_e32 v5, v9, v5
	s_delay_alu instid0(VALU_DEP_3) | instskip(NEXT) | instid1(VALU_DEP_4)
	v_dual_fmac_f32 v16, v13, v18 :: v_dual_add_f32 v8, v66, v8
	v_dual_fma_f32 v9, v6, v0, -v12 :: v_dual_mul_f32 v12, v7, v3
	s_delay_alu instid0(VALU_DEP_4) | instskip(NEXT) | instid1(VALU_DEP_2)
	v_dual_fmac_f32 v17, v7, v0 :: v_dual_mul_f32 v13, v6, v3
	v_dual_add_f32 v16, v64, v16 :: v_dual_add_f32 v66, v11, v9
	s_delay_alu instid0(VALU_DEP_3) | instskip(NEXT) | instid1(VALU_DEP_3)
	v_fma_f32 v6, v6, v2, -v12
	v_dual_add_f32 v68, v58, v17 :: v_dual_fmac_f32 v13, v7, v2
	v_dual_mul_f32 v7, v15, v1 :: v_dual_mul_f32 v1, v14, v1
	v_dual_mul_f32 v9, v15, v3 :: v_dual_mul_f32 v3, v14, v3
	s_delay_alu instid0(VALU_DEP_2) | instskip(NEXT) | instid1(VALU_DEP_3)
	v_dual_add_f32 v62, v4, v6 :: v_dual_fma_f32 v4, v14, v0, -v7
	v_fmac_f32_e32 v1, v15, v0
	s_delay_alu instid0(VALU_DEP_3) | instskip(NEXT) | instid1(VALU_DEP_3)
	v_dual_fma_f32 v0, v14, v2, -v9 :: v_dual_add_f32 v64, v60, v13
	v_dual_fmac_f32 v3, v15, v2 :: v_dual_add_f32 v58, v10, v4
	s_delay_alu instid0(VALU_DEP_2) | instskip(NEXT) | instid1(VALU_DEP_2)
	v_dual_add_f32 v60, v5, v1 :: v_dual_add_f32 v18, v8, v0
	v_add_f32_e32 v16, v16, v3
	s_barrier_signal -1
	s_barrier_wait -1
	s_cbranch_scc1 .LBB90_56
.LBB90_11:                              ;   Parent Loop BB90_4 Depth=1
                                        ;     Parent Loop BB90_8 Depth=2
                                        ; =>    This Inner Loop Header: Depth=3
	v_add_nc_u64_e32 v[2:3], s[54:55], v[38:39]
	v_cmp_eq_u64_e64 s7, s[54:55], v[54:55]
	v_add_nc_u64_e32 v[0:1], v[46:47], v[42:43]
	s_delay_alu instid0(VALU_DEP_3) | instskip(SKIP_3) | instid1(SALU_CYCLE_1)
	v_cmp_lt_i64_e64 s5, v[2:3], v[40:41]
	v_cmp_le_i64_e64 s6, s[42:43], v[2:3]
	s_and_b32 s64, s58, s7
	s_or_b32 s8, vcc_lo, s5
	s_or_b32 s7, s6, s8
	s_delay_alu instid0(SALU_CYCLE_1) | instskip(NEXT) | instid1(SALU_CYCLE_1)
	s_nor_b32 s7, s7, s64
	s_and_saveexec_b32 s8, s7
	s_delay_alu instid0(SALU_CYCLE_1)
	s_xor_b32 s7, exec_lo, s8
	s_cbranch_execz .LBB90_13
; %bb.12:                               ;   in Loop: Header=BB90_11 Depth=3
	global_load_b64 v[4:5], v[0:1], off
	s_wait_loadcnt 0x0
	ds_store_b64 v63, v[4:5]
.LBB90_13:                              ;   in Loop: Header=BB90_11 Depth=3
	s_wait_xcnt 0x0
	s_or_saveexec_b32 s7, s7
	s_xor_b32 s63, s64, -1
	s_xor_b32 exec_lo, exec_lo, s7
	s_cbranch_execz .LBB90_19
; %bb.14:                               ;   in Loop: Header=BB90_11 Depth=3
	s_and_saveexec_b32 s8, s63
	s_delay_alu instid0(SALU_CYCLE_1)
	s_xor_b32 s8, exec_lo, s8
; %bb.15:                               ;   in Loop: Header=BB90_11 Depth=3
	ds_store_b64 v63, v[26:27]
; %bb.16:                               ;   in Loop: Header=BB90_11 Depth=3
	s_and_not1_saveexec_b32 s8, s8
; %bb.17:                               ;   in Loop: Header=BB90_11 Depth=3
	ds_store_b64 v63, v[28:29]
; %bb.18:                               ;   in Loop: Header=BB90_11 Depth=3
	s_or_b32 exec_lo, exec_lo, s8
.LBB90_19:                              ;   in Loop: Header=BB90_11 Depth=3
	s_delay_alu instid0(SALU_CYCLE_1) | instskip(SKIP_2) | instid1(VALU_DEP_2)
	s_or_b32 exec_lo, exec_lo, s7
	v_add_nc_u64_e32 v[4:5], 16, v[2:3]
	v_add_nc_u64_e32 v[6:7], -16, v[54:55]
	v_cmp_lt_i64_e64 s8, v[4:5], v[40:41]
	s_delay_alu instid0(VALU_DEP_2)
	v_cmp_eq_u64_e64 s9, s[54:55], v[6:7]
	v_cmp_le_i64_e64 s7, s[42:43], v[4:5]
	v_add_nc_u64_e32 v[4:5], v[48:49], v[42:43]
	s_or_b32 s8, vcc_lo, s8
	s_and_b32 s9, s58, s9
	s_or_b32 s8, s7, s8
	s_delay_alu instid0(SALU_CYCLE_1) | instskip(NEXT) | instid1(SALU_CYCLE_1)
	s_nor_b32 s8, s8, s9
	s_and_saveexec_b32 s65, s8
	s_delay_alu instid0(SALU_CYCLE_1)
	s_xor_b32 s8, exec_lo, s65
	s_cbranch_execz .LBB90_21
; %bb.20:                               ;   in Loop: Header=BB90_11 Depth=3
	global_load_b64 v[6:7], v[4:5], off
	s_wait_loadcnt 0x0
	ds_store_b64 v63, v[6:7] offset:128
.LBB90_21:                              ;   in Loop: Header=BB90_11 Depth=3
	s_wait_xcnt 0x0
	s_and_not1_saveexec_b32 s8, s8
	s_cbranch_execz .LBB90_27
; %bb.22:                               ;   in Loop: Header=BB90_11 Depth=3
	s_xor_b32 s9, s9, -1
	s_delay_alu instid0(SALU_CYCLE_1) | instskip(NEXT) | instid1(SALU_CYCLE_1)
	s_and_saveexec_b32 s65, s9
	s_xor_b32 s9, exec_lo, s65
; %bb.23:                               ;   in Loop: Header=BB90_11 Depth=3
	ds_store_b64 v63, v[26:27] offset:128
; %bb.24:                               ;   in Loop: Header=BB90_11 Depth=3
	s_and_not1_saveexec_b32 s9, s9
; %bb.25:                               ;   in Loop: Header=BB90_11 Depth=3
	ds_store_b64 v63, v[28:29] offset:128
; %bb.26:                               ;   in Loop: Header=BB90_11 Depth=3
	s_or_b32 exec_lo, exec_lo, s9
.LBB90_27:                              ;   in Loop: Header=BB90_11 Depth=3
	s_delay_alu instid0(SALU_CYCLE_1) | instskip(SKIP_2) | instid1(VALU_DEP_2)
	s_or_b32 exec_lo, exec_lo, s8
	v_add_nc_u64_e32 v[6:7], 16, v[54:55]
	v_cmp_lt_i64_e64 s9, v[2:3], v[52:53]
	v_cmp_eq_u64_e64 s8, s[54:55], v[6:7]
	s_or_b32 s9, s4, s9
	s_and_b32 s8, s58, s8
	s_delay_alu instid0(SALU_CYCLE_1) | instskip(NEXT) | instid1(SALU_CYCLE_1)
	s_or_b32 s9, s9, s8
	s_nor_b32 s6, s6, s9
	s_delay_alu instid0(SALU_CYCLE_1) | instskip(NEXT) | instid1(SALU_CYCLE_1)
	s_and_saveexec_b32 s9, s6
	s_xor_b32 s6, exec_lo, s9
	s_cbranch_execz .LBB90_29
; %bb.28:                               ;   in Loop: Header=BB90_11 Depth=3
	global_load_b64 v[0:1], v[0:1], off offset:128
	s_wait_loadcnt 0x0
	ds_store_b64 v63, v[0:1] offset:4096
.LBB90_29:                              ;   in Loop: Header=BB90_11 Depth=3
	s_wait_xcnt 0x0
	s_and_not1_saveexec_b32 s6, s6
	s_cbranch_execz .LBB90_35
; %bb.30:                               ;   in Loop: Header=BB90_11 Depth=3
	s_xor_b32 s8, s8, -1
	s_delay_alu instid0(SALU_CYCLE_1) | instskip(NEXT) | instid1(SALU_CYCLE_1)
	s_and_saveexec_b32 s9, s8
	s_xor_b32 s8, exec_lo, s9
; %bb.31:                               ;   in Loop: Header=BB90_11 Depth=3
	ds_store_b64 v63, v[26:27] offset:4096
; %bb.32:                               ;   in Loop: Header=BB90_11 Depth=3
	s_and_not1_saveexec_b32 s8, s8
; %bb.33:                               ;   in Loop: Header=BB90_11 Depth=3
	ds_store_b64 v63, v[28:29] offset:4096
; %bb.34:                               ;   in Loop: Header=BB90_11 Depth=3
	s_or_b32 exec_lo, exec_lo, s8
.LBB90_35:                              ;   in Loop: Header=BB90_11 Depth=3
	s_delay_alu instid0(SALU_CYCLE_1) | instskip(SKIP_1) | instid1(SALU_CYCLE_1)
	s_or_b32 exec_lo, exec_lo, s6
	s_or_b32 s5, s4, s5
	s_or_b32 s5, s7, s5
	s_delay_alu instid0(SALU_CYCLE_1) | instskip(NEXT) | instid1(SALU_CYCLE_1)
	s_nor_b32 s5, s5, s64
	s_and_saveexec_b32 s6, s5
	s_delay_alu instid0(SALU_CYCLE_1)
	s_xor_b32 s5, exec_lo, s6
	s_cbranch_execz .LBB90_37
; %bb.36:                               ;   in Loop: Header=BB90_11 Depth=3
	global_load_b64 v[0:1], v[4:5], off offset:128
	s_wait_loadcnt 0x0
	ds_store_b64 v63, v[0:1] offset:4224
.LBB90_37:                              ;   in Loop: Header=BB90_11 Depth=3
	s_wait_xcnt 0x0
	s_and_not1_saveexec_b32 s5, s5
	s_cbranch_execz .LBB90_43
; %bb.38:                               ;   in Loop: Header=BB90_11 Depth=3
	s_and_saveexec_b32 s6, s63
	s_delay_alu instid0(SALU_CYCLE_1)
	s_xor_b32 s6, exec_lo, s6
; %bb.39:                               ;   in Loop: Header=BB90_11 Depth=3
	ds_store_b64 v63, v[26:27] offset:4224
; %bb.40:                               ;   in Loop: Header=BB90_11 Depth=3
	s_and_not1_saveexec_b32 s6, s6
; %bb.41:                               ;   in Loop: Header=BB90_11 Depth=3
	ds_store_b64 v63, v[28:29] offset:4224
; %bb.42:                               ;   in Loop: Header=BB90_11 Depth=3
	s_or_b32 exec_lo, exec_lo, s6
.LBB90_43:                              ;   in Loop: Header=BB90_11 Depth=3
	s_delay_alu instid0(SALU_CYCLE_1) | instskip(SKIP_3) | instid1(VALU_DEP_3)
	s_or_b32 exec_lo, exec_lo, s5
	v_add_nc_u64_e32 v[0:1], s[54:55], v[36:37]
	v_add_nc_u64_e32 v[2:3], v[56:57], v[44:45]
	v_mov_b64_e32 v[4:5], 0
	v_cmp_le_i64_e64 s5, s[42:43], v[0:1]
	s_nor_b32 s7, s5, s1
	s_delay_alu instid0(SALU_CYCLE_1)
	s_and_saveexec_b32 s6, s7
	s_cbranch_execz .LBB90_45
; %bb.44:                               ;   in Loop: Header=BB90_11 Depth=3
	global_load_b64 v[4:5], v[2:3], off offset:-128
.LBB90_45:                              ;   in Loop: Header=BB90_11 Depth=3
	s_wait_xcnt 0x0
	s_or_b32 exec_lo, exec_lo, s6
	s_nor_b32 s5, s5, s2
	s_wait_loadcnt 0x0
	ds_store_b64 v67, v[4:5]
	s_and_saveexec_b32 s6, s5
	s_delay_alu instid0(SALU_CYCLE_1)
	s_xor_b32 s5, exec_lo, s6
	s_cbranch_execz .LBB90_47
; %bb.46:                               ;   in Loop: Header=BB90_11 Depth=3
	global_load_b64 v[2:3], v[2:3], off
	s_wait_loadcnt 0x0
	ds_store_b64 v67, v[2:3] offset:128
.LBB90_47:                              ;   in Loop: Header=BB90_11 Depth=3
	s_wait_xcnt 0x0
	s_and_not1_saveexec_b32 s5, s5
; %bb.48:                               ;   in Loop: Header=BB90_11 Depth=3
	ds_store_b64 v67, v[26:27] offset:128
; %bb.49:                               ;   in Loop: Header=BB90_11 Depth=3
	s_or_b32 exec_lo, exec_lo, s5
	v_cmp_le_i64_e64 s5, s[50:51], v[0:1]
	v_add_nc_u64_e32 v[0:1], v[56:57], v[50:51]
	v_mov_b64_e32 v[2:3], 0
	s_nor_b32 s7, s5, s1
	s_delay_alu instid0(SALU_CYCLE_1)
	s_and_saveexec_b32 s6, s7
	s_cbranch_execz .LBB90_51
; %bb.50:                               ;   in Loop: Header=BB90_11 Depth=3
	global_load_b64 v[2:3], v[0:1], off offset:-128
.LBB90_51:                              ;   in Loop: Header=BB90_11 Depth=3
	s_wait_xcnt 0x0
	s_or_b32 exec_lo, exec_lo, s6
	s_nor_b32 s5, s5, s2
	s_wait_loadcnt 0x0
	ds_store_b64 v67, v[2:3] offset:4096
	s_and_saveexec_b32 s6, s5
	s_delay_alu instid0(SALU_CYCLE_1)
	s_xor_b32 s5, exec_lo, s6
	s_cbranch_execz .LBB90_53
; %bb.52:                               ;   in Loop: Header=BB90_11 Depth=3
	global_load_b64 v[0:1], v[0:1], off
	s_wait_loadcnt 0x0
	ds_store_b64 v67, v[0:1] offset:4224
.LBB90_53:                              ;   in Loop: Header=BB90_11 Depth=3
	s_wait_xcnt 0x0
	s_and_not1_saveexec_b32 s5, s5
	s_cbranch_execz .LBB90_10
; %bb.54:                               ;   in Loop: Header=BB90_11 Depth=3
	ds_store_b64 v67, v[26:27] offset:4224
	s_branch .LBB90_10
.LBB90_55:                              ;   in Loop: Header=BB90_8 Depth=2
	v_dual_mov_b32 v66, 0 :: v_dual_mov_b32 v68, 0
	v_dual_mov_b32 v62, 0 :: v_dual_mov_b32 v64, 0
	;; [unrolled: 1-line block ×4, first 2 shown]
.LBB90_56:                              ;   in Loop: Header=BB90_8 Depth=2
	v_mul_u64_e32 v[0:1], s[28:29], v[40:41]
	v_cmp_gt_i32_e32 vcc_lo, s10, v40
	s_and_b32 s5, s0, vcc_lo
	s_delay_alu instid0(VALU_DEP_2)
	v_lshl_add_u64 v[0:1], v[0:1], 3, s[52:53]
	s_and_saveexec_b32 s4, s5
	s_cbranch_execz .LBB90_58
; %bb.57:                               ;   in Loop: Header=BB90_8 Depth=2
	s_delay_alu instid0(VALU_DEP_1) | instskip(SKIP_4) | instid1(VALU_DEP_2)
	v_lshl_add_u64 v[2:3], v[20:21], 3, v[0:1]
	v_pk_mul_f32 v[6:7], v[68:69], v[34:35] op_sel_hi:[0,1]
	global_load_b64 v[4:5], v[2:3], off
	v_pk_fma_f32 v[8:9], v[66:67], v[30:31], v[6:7] op_sel_hi:[0,1,1]
	v_pk_fma_f32 v[6:7], v[66:67], v[30:31], v[6:7] neg_lo:[0,0,1] neg_hi:[0,0,1]
	v_mov_b32_e32 v7, v9
	s_wait_loadcnt 0x0
	s_delay_alu instid0(VALU_DEP_1)
	v_pk_add_f32 v[4:5], v[4:5], v[6:7]
	global_store_b64 v[2:3], v[4:5], off
.LBB90_58:                              ;   in Loop: Header=BB90_8 Depth=2
	s_wait_xcnt 0x0
	s_or_b32 exec_lo, exec_lo, s4
	s_and_b32 s5, s3, vcc_lo
	s_delay_alu instid0(SALU_CYCLE_1)
	s_and_saveexec_b32 s4, s5
	s_cbranch_execz .LBB90_60
; %bb.59:                               ;   in Loop: Header=BB90_8 Depth=2
	v_lshl_add_u64 v[0:1], v[22:23], 3, v[0:1]
	v_pk_mul_f32 v[4:5], v[64:65], v[34:35] op_sel_hi:[0,1]
	global_load_b64 v[2:3], v[0:1], off
	v_pk_fma_f32 v[6:7], v[62:63], v[30:31], v[4:5] op_sel_hi:[0,1,1]
	v_pk_fma_f32 v[4:5], v[62:63], v[30:31], v[4:5] neg_lo:[0,0,1] neg_hi:[0,0,1]
	s_delay_alu instid0(VALU_DEP_2) | instskip(SKIP_1) | instid1(VALU_DEP_1)
	v_mov_b32_e32 v5, v7
	s_wait_loadcnt 0x0
	v_pk_add_f32 v[2:3], v[2:3], v[4:5]
	global_store_b64 v[0:1], v[2:3], off
.LBB90_60:                              ;   in Loop: Header=BB90_8 Depth=2
	s_wait_xcnt 0x0
	s_or_b32 exec_lo, exec_lo, s4
	v_add_nc_u32_e32 v0, 16, v40
	s_delay_alu instid0(VALU_DEP_1) | instskip(SKIP_1) | instid1(VALU_DEP_2)
	v_ashrrev_i32_e32 v1, 31, v0
	v_cmp_gt_i32_e32 vcc_lo, s10, v0
	v_mul_u64_e32 v[2:3], s[28:29], v[0:1]
	s_and_b32 s5, s0, vcc_lo
	s_delay_alu instid0(VALU_DEP_1)
	v_lshl_add_u64 v[0:1], v[2:3], 3, s[52:53]
	s_and_saveexec_b32 s4, s5
	s_cbranch_execz .LBB90_62
; %bb.61:                               ;   in Loop: Header=BB90_8 Depth=2
	s_delay_alu instid0(VALU_DEP_1) | instskip(SKIP_4) | instid1(VALU_DEP_2)
	v_lshl_add_u64 v[2:3], v[20:21], 3, v[0:1]
	v_pk_mul_f32 v[6:7], v[60:61], v[34:35] op_sel_hi:[0,1]
	global_load_b64 v[4:5], v[2:3], off
	v_pk_fma_f32 v[8:9], v[58:59], v[30:31], v[6:7] op_sel_hi:[0,1,1]
	v_pk_fma_f32 v[6:7], v[58:59], v[30:31], v[6:7] neg_lo:[0,0,1] neg_hi:[0,0,1]
	v_mov_b32_e32 v7, v9
	s_wait_loadcnt 0x0
	s_delay_alu instid0(VALU_DEP_1)
	v_pk_add_f32 v[4:5], v[4:5], v[6:7]
	global_store_b64 v[2:3], v[4:5], off
.LBB90_62:                              ;   in Loop: Header=BB90_8 Depth=2
	s_wait_xcnt 0x0
	s_or_b32 exec_lo, exec_lo, s4
	s_and_b32 s5, s3, vcc_lo
	s_delay_alu instid0(SALU_CYCLE_1)
	s_and_saveexec_b32 s4, s5
	s_cbranch_execz .LBB90_7
; %bb.63:                               ;   in Loop: Header=BB90_8 Depth=2
	v_lshl_add_u64 v[0:1], v[22:23], 3, v[0:1]
	v_pk_mul_f32 v[4:5], v[16:17], v[34:35] op_sel_hi:[0,1]
	global_load_b64 v[2:3], v[0:1], off
	v_pk_fma_f32 v[6:7], v[18:19], v[30:31], v[4:5] op_sel_hi:[0,1,1]
	v_pk_fma_f32 v[4:5], v[18:19], v[30:31], v[4:5] neg_lo:[0,0,1] neg_hi:[0,0,1]
	s_delay_alu instid0(VALU_DEP_2) | instskip(SKIP_1) | instid1(VALU_DEP_1)
	v_mov_b32_e32 v5, v7
	s_wait_loadcnt 0x0
	v_pk_add_f32 v[2:3], v[2:3], v[4:5]
	global_store_b64 v[0:1], v[2:3], off
	s_branch .LBB90_7
.LBB90_64:
	s_sendmsg sendmsg(MSG_DEALLOC_VGPRS)
	s_endpgm
	.section	.rodata,"a",@progbits
	.p2align	6, 0x0
	.amdhsa_kernel _ZL30rocblas_trmm_outofplace_kernelI19rocblas_complex_numIfELi32ELi2ELb0ELb1ELb1ELb0EPKS1_S2_S1_Ev17rocblas_diagonal_iiT6_lPT7_lllS7_lllPT8_llli
		.amdhsa_group_segment_fixed_size 16384
		.amdhsa_private_segment_fixed_size 0
		.amdhsa_kernarg_size 392
		.amdhsa_user_sgpr_count 2
		.amdhsa_user_sgpr_dispatch_ptr 0
		.amdhsa_user_sgpr_queue_ptr 0
		.amdhsa_user_sgpr_kernarg_segment_ptr 1
		.amdhsa_user_sgpr_dispatch_id 0
		.amdhsa_user_sgpr_kernarg_preload_length 0
		.amdhsa_user_sgpr_kernarg_preload_offset 0
		.amdhsa_user_sgpr_private_segment_size 0
		.amdhsa_wavefront_size32 1
		.amdhsa_uses_dynamic_stack 0
		.amdhsa_enable_private_segment 0
		.amdhsa_system_sgpr_workgroup_id_x 1
		.amdhsa_system_sgpr_workgroup_id_y 1
		.amdhsa_system_sgpr_workgroup_id_z 1
		.amdhsa_system_sgpr_workgroup_info 0
		.amdhsa_system_vgpr_workitem_id 1
		.amdhsa_next_free_vgpr 95
		.amdhsa_next_free_sgpr 66
		.amdhsa_named_barrier_count 0
		.amdhsa_reserve_vcc 1
		.amdhsa_float_round_mode_32 0
		.amdhsa_float_round_mode_16_64 0
		.amdhsa_float_denorm_mode_32 3
		.amdhsa_float_denorm_mode_16_64 3
		.amdhsa_fp16_overflow 0
		.amdhsa_memory_ordered 1
		.amdhsa_forward_progress 1
		.amdhsa_inst_pref_size 60
		.amdhsa_round_robin_scheduling 0
		.amdhsa_exception_fp_ieee_invalid_op 0
		.amdhsa_exception_fp_denorm_src 0
		.amdhsa_exception_fp_ieee_div_zero 0
		.amdhsa_exception_fp_ieee_overflow 0
		.amdhsa_exception_fp_ieee_underflow 0
		.amdhsa_exception_fp_ieee_inexact 0
		.amdhsa_exception_int_div_zero 0
	.end_amdhsa_kernel
	.section	.text._ZL30rocblas_trmm_outofplace_kernelI19rocblas_complex_numIfELi32ELi2ELb0ELb1ELb1ELb0EPKS1_S2_S1_Ev17rocblas_diagonal_iiT6_lPT7_lllS7_lllPT8_llli,"axG",@progbits,_ZL30rocblas_trmm_outofplace_kernelI19rocblas_complex_numIfELi32ELi2ELb0ELb1ELb1ELb0EPKS1_S2_S1_Ev17rocblas_diagonal_iiT6_lPT7_lllS7_lllPT8_llli,comdat
.Lfunc_end90:
	.size	_ZL30rocblas_trmm_outofplace_kernelI19rocblas_complex_numIfELi32ELi2ELb0ELb1ELb1ELb0EPKS1_S2_S1_Ev17rocblas_diagonal_iiT6_lPT7_lllS7_lllPT8_llli, .Lfunc_end90-_ZL30rocblas_trmm_outofplace_kernelI19rocblas_complex_numIfELi32ELi2ELb0ELb1ELb1ELb0EPKS1_S2_S1_Ev17rocblas_diagonal_iiT6_lPT7_lllS7_lllPT8_llli
                                        ; -- End function
	.set _ZL30rocblas_trmm_outofplace_kernelI19rocblas_complex_numIfELi32ELi2ELb0ELb1ELb1ELb0EPKS1_S2_S1_Ev17rocblas_diagonal_iiT6_lPT7_lllS7_lllPT8_llli.num_vgpr, 95
	.set _ZL30rocblas_trmm_outofplace_kernelI19rocblas_complex_numIfELi32ELi2ELb0ELb1ELb1ELb0EPKS1_S2_S1_Ev17rocblas_diagonal_iiT6_lPT7_lllS7_lllPT8_llli.num_agpr, 0
	.set _ZL30rocblas_trmm_outofplace_kernelI19rocblas_complex_numIfELi32ELi2ELb0ELb1ELb1ELb0EPKS1_S2_S1_Ev17rocblas_diagonal_iiT6_lPT7_lllS7_lllPT8_llli.numbered_sgpr, 66
	.set _ZL30rocblas_trmm_outofplace_kernelI19rocblas_complex_numIfELi32ELi2ELb0ELb1ELb1ELb0EPKS1_S2_S1_Ev17rocblas_diagonal_iiT6_lPT7_lllS7_lllPT8_llli.num_named_barrier, 0
	.set _ZL30rocblas_trmm_outofplace_kernelI19rocblas_complex_numIfELi32ELi2ELb0ELb1ELb1ELb0EPKS1_S2_S1_Ev17rocblas_diagonal_iiT6_lPT7_lllS7_lllPT8_llli.private_seg_size, 0
	.set _ZL30rocblas_trmm_outofplace_kernelI19rocblas_complex_numIfELi32ELi2ELb0ELb1ELb1ELb0EPKS1_S2_S1_Ev17rocblas_diagonal_iiT6_lPT7_lllS7_lllPT8_llli.uses_vcc, 1
	.set _ZL30rocblas_trmm_outofplace_kernelI19rocblas_complex_numIfELi32ELi2ELb0ELb1ELb1ELb0EPKS1_S2_S1_Ev17rocblas_diagonal_iiT6_lPT7_lllS7_lllPT8_llli.uses_flat_scratch, 0
	.set _ZL30rocblas_trmm_outofplace_kernelI19rocblas_complex_numIfELi32ELi2ELb0ELb1ELb1ELb0EPKS1_S2_S1_Ev17rocblas_diagonal_iiT6_lPT7_lllS7_lllPT8_llli.has_dyn_sized_stack, 0
	.set _ZL30rocblas_trmm_outofplace_kernelI19rocblas_complex_numIfELi32ELi2ELb0ELb1ELb1ELb0EPKS1_S2_S1_Ev17rocblas_diagonal_iiT6_lPT7_lllS7_lllPT8_llli.has_recursion, 0
	.set _ZL30rocblas_trmm_outofplace_kernelI19rocblas_complex_numIfELi32ELi2ELb0ELb1ELb1ELb0EPKS1_S2_S1_Ev17rocblas_diagonal_iiT6_lPT7_lllS7_lllPT8_llli.has_indirect_call, 0
	.section	.AMDGPU.csdata,"",@progbits
; Kernel info:
; codeLenInByte = 7600
; TotalNumSgprs: 68
; NumVgprs: 95
; ScratchSize: 0
; MemoryBound: 1
; FloatMode: 240
; IeeeMode: 1
; LDSByteSize: 16384 bytes/workgroup (compile time only)
; SGPRBlocks: 0
; VGPRBlocks: 5
; NumSGPRsForWavesPerEU: 68
; NumVGPRsForWavesPerEU: 95
; NamedBarCnt: 0
; Occupancy: 10
; WaveLimiterHint : 0
; COMPUTE_PGM_RSRC2:SCRATCH_EN: 0
; COMPUTE_PGM_RSRC2:USER_SGPR: 2
; COMPUTE_PGM_RSRC2:TRAP_HANDLER: 0
; COMPUTE_PGM_RSRC2:TGID_X_EN: 1
; COMPUTE_PGM_RSRC2:TGID_Y_EN: 1
; COMPUTE_PGM_RSRC2:TGID_Z_EN: 1
; COMPUTE_PGM_RSRC2:TIDIG_COMP_CNT: 1
	.section	.text._ZL30rocblas_trmm_outofplace_kernelI19rocblas_complex_numIfELi32ELi2ELb0ELb1ELb1ELb0ES1_KS1_S1_Ev17rocblas_diagonal_iiT6_lPT7_lllS6_lllPT8_llli,"axG",@progbits,_ZL30rocblas_trmm_outofplace_kernelI19rocblas_complex_numIfELi32ELi2ELb0ELb1ELb1ELb0ES1_KS1_S1_Ev17rocblas_diagonal_iiT6_lPT7_lllS6_lllPT8_llli,comdat
	.globl	_ZL30rocblas_trmm_outofplace_kernelI19rocblas_complex_numIfELi32ELi2ELb0ELb1ELb1ELb0ES1_KS1_S1_Ev17rocblas_diagonal_iiT6_lPT7_lllS6_lllPT8_llli ; -- Begin function _ZL30rocblas_trmm_outofplace_kernelI19rocblas_complex_numIfELi32ELi2ELb0ELb1ELb1ELb0ES1_KS1_S1_Ev17rocblas_diagonal_iiT6_lPT7_lllS6_lllPT8_llli
	.p2align	8
	.type	_ZL30rocblas_trmm_outofplace_kernelI19rocblas_complex_numIfELi32ELi2ELb0ELb1ELb1ELb0ES1_KS1_S1_Ev17rocblas_diagonal_iiT6_lPT7_lllS6_lllPT8_llli,@function
_ZL30rocblas_trmm_outofplace_kernelI19rocblas_complex_numIfELi32ELi2ELb0ELb1ELb1ELb0ES1_KS1_S1_Ev17rocblas_diagonal_iiT6_lPT7_lllS6_lllPT8_llli: ; @_ZL30rocblas_trmm_outofplace_kernelI19rocblas_complex_numIfELi32ELi2ELb0ELb1ELb1ELb0ES1_KS1_S1_Ev17rocblas_diagonal_iiT6_lPT7_lllS6_lllPT8_llli
; %bb.0:
	s_load_b32 s33, s[0:1], 0x80
	s_bfe_u32 s2, ttmp6, 0x40014
	s_lshr_b32 s3, ttmp7, 16
	s_add_co_i32 s2, s2, 1
	s_bfe_u32 s5, ttmp6, 0x40008
	s_mul_i32 s4, s3, s2
	s_getreg_b32 s2, hwreg(HW_REG_IB_STS2, 6, 4)
	s_add_co_i32 s5, s5, s4
	s_cmp_eq_u32 s2, 0
	s_cselect_b32 s34, s3, s5
	s_wait_kmcnt 0x0
	s_cmp_ge_u32 s34, s33
	s_cbranch_scc1 .LBB91_63
; %bb.1:
	s_load_b64 s[40:41], s[0:1], 0xc
	s_wait_kmcnt 0x0
	s_or_b32 s3, s40, s41
	s_delay_alu instid0(SALU_CYCLE_1) | instskip(NEXT) | instid1(SALU_CYCLE_1)
	s_bitset0_b32 s3, 31
	s_cmp_eq_u32 s3, 0
	s_cbranch_scc1 .LBB91_63
; %bb.2:
	s_clause 0x1
	s_load_b96 s[36:38], s[0:1], 0x0
	s_load_b512 s[8:23], s[0:1], 0x20
	s_bfe_u32 s4, ttmp6, 0x4000c
	s_and_b32 s3, ttmp6, 15
	s_add_co_i32 s4, s4, 1
	s_bfe_u32 s6, ttmp6, 0x40010
	s_add_nc_u64 s[42:43], s[0:1], 0x88
	s_load_b256 s[24:31], s[0:1], 0x60
	s_wait_xcnt 0x0
	s_mul_i32 s0, ttmp9, s4
	s_and_b32 s5, ttmp7, 0xffff
	s_add_co_i32 s6, s6, 1
	s_add_co_i32 s3, s3, s0
	s_bfe_u32 s7, ttmp6, 0x40004
	s_mul_i32 s1, s5, s6
	v_and_b32_e32 v2, 0x3ff, v0
	s_add_co_i32 s7, s7, s1
	v_bfe_u32 v59, v0, 10, 10
	v_mov_b64_e32 v[26:27], 0
	v_mov_b64_e32 v[28:29], 0x3f800000
	v_lshlrev_b32_e32 v0, 3, v2
	s_wait_kmcnt 0x0
	s_add_co_i32 s0, s38, -1
	v_lshlrev_b32_e32 v61, 8, v59
	s_ashr_i32 s4, s0, 31
	s_mov_b32 s44, s38
	s_lshr_b32 s1, s4, 27
	v_or_b32_e32 v63, 0x2000, v0
	s_add_co_i32 s0, s0, s1
	v_add_nc_u32_e32 v65, v61, v0
	s_ashr_i32 s39, s0, 5
	s_cmp_eq_u32 s2, 0
	v_add_nc_u32_e32 v67, v63, v61
	s_cselect_b32 s0, ttmp9, s3
	s_cselect_b32 s56, s5, s7
	v_lshl_add_u32 v20, s0, 5, v2
	s_cmp_le_i32 s56, s39
	s_mov_b32 s0, s37
	s_cselect_b32 s57, -1, 0
	s_cmp_eq_u32 s36, 0x84
	v_dual_ashrrev_i32 v21, 31, v20 :: v_dual_add_nc_u32 v22, 16, v20
	s_cselect_b32 s58, -1, 0
	s_ashr_i32 s1, s37, 31
	s_lshl_b64 s[2:3], s[26:27], 3
	s_delay_alu instid0(VALU_DEP_1)
	v_sub_nc_u64_e32 v[0:1], s[0:1], v[20:21]
	s_lshl_b64 s[4:5], s[18:19], 3
	s_add_nc_u64 s[24:25], s[24:25], s[2:3]
	s_lshl_b32 s6, s56, 5
	s_add_nc_u64 s[4:5], s[16:17], s[4:5]
	v_cmp_gt_i32_e64 s0, s37, v20
	v_cmp_gt_i32_e64 s3, s37, v22
	v_cmp_gt_i64_e64 s1, 1, v[0:1]
	v_cmp_gt_i64_e64 s2, 17, v[0:1]
	v_dual_ashrrev_i32 v23, 31, v22 :: v_dual_add_nc_u32 v70, s6, v59
	v_add_nc_u32_e32 v69, s6, v2
	v_lshl_add_u64 v[24:25], v[20:21], 3, s[4:5]
	v_add_nc_u32_e32 v71, 0x800, v63
	v_add_nc_u32_e32 v72, 0x1000, v63
	v_add_nc_u32_e32 v73, 0x1800, v63
	s_ashr_i32 s45, s38, 31
	s_lshl_b64 s[4:5], s[10:11], 3
	s_mov_b32 s35, 0
	s_lshl_b64 s[46:47], s[12:13], 8
	s_lshl_b64 s[48:49], s[20:21], 8
	s_add_nc_u64 s[26:27], s[44:45], -16
	s_mov_b32 s36, s41
	s_mov_b32 s37, s40
	s_lshl_b64 s[16:17], s[20:21], 3
	s_lshl_b64 s[18:19], s[22:23], 3
	s_add_nc_u64 s[10:11], s[8:9], s[4:5]
	s_lshl_b64 s[14:15], s[14:15], 3
	s_lshl_b64 s[22:23], s[12:13], 3
	s_branch .LBB91_4
.LBB91_3:                               ;   in Loop: Header=BB91_4 Depth=1
	s_add_co_i32 s34, s34, 0x10000
	s_delay_alu instid0(SALU_CYCLE_1)
	s_cmp_ge_u32 s34, s33
	s_cbranch_scc1 .LBB91_63
.LBB91_4:                               ; =>This Loop Header: Depth=1
                                        ;     Child Loop BB91_7 Depth 2
                                        ;       Child Loop BB91_10 Depth 3
	s_and_not1_b32 vcc_lo, exec_lo, s57
	s_cbranch_vccnz .LBB91_3
; %bb.5:                                ;   in Loop: Header=BB91_4 Depth=1
	s_load_b32 s59, s[42:43], 0x4
	v_mad_nc_u64_u32 v[30:31], s18, s34, v[24:25]
	s_mul_u64 s[6:7], s[30:31], s[34:35]
	v_dual_mov_b32 v32, v70 :: v_dual_mov_b32 v34, v69
	s_mul_u64 s[4:5], s[14:15], s[34:35]
	s_lshl_b64 s[6:7], s[6:7], 3
	s_add_nc_u64 s[50:51], s[10:11], s[4:5]
	s_add_nc_u64 s[52:53], s[24:25], s[6:7]
	s_mov_b32 s61, s56
	s_delay_alu instid0(VALU_DEP_2)
	v_mad_u32 v31, s19, s34, v31
	s_wait_kmcnt 0x0
	s_lshl_b32 s60, s59, 5
	s_branch .LBB91_7
.LBB91_6:                               ;   in Loop: Header=BB91_7 Depth=2
	s_wait_xcnt 0x0
	s_or_b32 exec_lo, exec_lo, s4
	v_dual_add_nc_u32 v34, s60, v34 :: v_dual_add_nc_u32 v32, s60, v32
	s_add_co_i32 s61, s59, s61
	s_delay_alu instid0(SALU_CYCLE_1)
	s_cmp_gt_i32 s61, s39
	s_cbranch_scc1 .LBB91_3
.LBB91_7:                               ;   Parent Loop BB91_4 Depth=1
                                        ; =>  This Loop Header: Depth=2
                                        ;       Child Loop BB91_10 Depth 3
	s_lshl_b32 s4, s61, 5
	s_delay_alu instid0(SALU_CYCLE_1) | instskip(SKIP_2) | instid1(SALU_CYCLE_1)
	v_dual_ashrrev_i32 v33, 31, v32 :: v_dual_add_nc_u32 v36, s4, v59
	v_ashrrev_i32_e32 v35, 31, v34
	s_sub_co_i32 s62, s38, s4
	s_cmp_lt_i32 s62, 1
	s_delay_alu instid0(VALU_DEP_2)
	v_ashrrev_i32_e32 v37, 31, v36
	s_cbranch_scc1 .LBB91_54
; %bb.8:                                ;   in Loop: Header=BB91_7 Depth=2
	v_lshlrev_b64_e32 v[38:39], 3, v[32:33]
	v_lshl_add_u64 v[2:3], v[34:35], 3, 0x80
	v_mad_nc_u64_u32 v[40:41], s16, v32, 0x80
	v_mad_nc_u64_u32 v[42:43], s22, v34, s[50:51]
	v_sub_nc_u64_e32 v[48:49], v[32:33], v[34:35]
	v_add_nc_u64_e32 v[50:51], 16, v[36:37]
	v_mad_nc_u64_u32 v[44:45], s12, v2, s[50:51]
	v_add_nc_u64_e32 v[0:1], 0x80, v[38:39]
	v_mov_b64_e32 v[52:53], v[30:31]
	v_dual_mov_b32 v16, 0 :: v_dual_mov_b32 v18, 0
	v_add_nc_u64_e32 v[54:55], 16, v[48:49]
	v_cmp_le_i64_e64 s4, s[44:45], v[50:51]
	v_mad_u32 v4, s17, v32, v41
	v_mad_nc_u64_u32 v[46:47], s20, v0, 0x80
	v_mad_u32 v5, s23, v34, v43
	v_add_nc_u64_e32 v[56:57], -16, v[48:49]
	v_mad_u32 v2, s13, v2, v45
	v_dual_mov_b32 v60, 0 :: v_dual_mov_b32 v58, 0
	v_dual_mov_b32 v64, 0 :: v_dual_mov_b32 v62, 0
	;; [unrolled: 1-line block ×3, first 2 shown]
	v_mad_u32 v41, s16, v33, v4
	v_mad_u32 v0, s21, v0, v47
	;; [unrolled: 1-line block ×3, first 2 shown]
	s_mov_b64 s[54:55], 0
	v_mad_u32 v45, s12, v3, v2
	v_cmp_le_i32_e32 vcc_lo, s38, v36
	s_delay_alu instid0(VALU_DEP_4)
	v_mad_u32 v47, s20, v1, v0
	s_branch .LBB91_10
.LBB91_9:                               ;   in Loop: Header=BB91_10 Depth=3
	s_or_b32 exec_lo, exec_lo, s5
	s_wait_dscnt 0x0
	s_barrier_signal -1
	s_barrier_wait -1
	ds_load_b128 v[74:77], v61
	ds_load_2addr_b64 v[78:81], v63 offset1:16
	ds_load_b128 v[82:85], v61 offset:4096
	ds_load_b128 v[8:11], v61 offset:16
	;; [unrolled: 1-line block ×4, first 2 shown]
	ds_load_2addr_b64 v[86:89], v63 offset0:32 offset1:48
	ds_load_b128 v[12:15], v61 offset:4112
	v_add_nc_u64_e32 v[52:53], s[48:49], v[52:53]
	v_add_nc_u64_e32 v[44:45], s[46:47], v[44:45]
	;; [unrolled: 1-line block ×3, first 2 shown]
	s_add_nc_u64 s[54:55], s[54:55], 32
	s_delay_alu instid0(SALU_CYCLE_1)
	s_cmp_ge_i32 s54, s62
	s_wait_dscnt 0x6
	v_dual_mul_f32 v17, v75, v79 :: v_dual_mul_f32 v19, v74, v79
	v_dual_mul_f32 v90, v75, v81 :: v_dual_mul_f32 v91, v74, v81
	s_wait_dscnt 0x5
	v_dual_mul_f32 v92, v83, v79 :: v_dual_mul_f32 v79, v82, v79
	v_dual_mul_f32 v93, v83, v81 :: v_dual_mul_f32 v94, v82, v81
	v_dual_fma_f32 v17, v74, v78, -v17 :: v_dual_fmac_f32 v19, v75, v78
	v_dual_fma_f32 v74, v74, v80, -v90 :: v_dual_fmac_f32 v91, v75, v80
	s_delay_alu instid0(VALU_DEP_4) | instskip(NEXT) | instid1(VALU_DEP_3)
	v_dual_fma_f32 v75, v82, v78, -v92 :: v_dual_fmac_f32 v79, v83, v78
	v_dual_fma_f32 v78, v82, v80, -v93 :: v_dual_add_f32 v19, v68, v19
	s_delay_alu instid0(VALU_DEP_3) | instskip(NEXT) | instid1(VALU_DEP_3)
	v_dual_add_f32 v17, v66, v17 :: v_dual_add_f32 v64, v64, v91
	v_dual_add_f32 v62, v62, v74 :: v_dual_add_f32 v60, v60, v79
	s_delay_alu instid0(VALU_DEP_4)
	v_dual_add_f32 v58, v58, v75 :: v_dual_fmac_f32 v94, v83, v80
	s_wait_dscnt 0x1
	v_dual_mul_f32 v66, v77, v87 :: v_dual_add_f32 v18, v18, v78
	ds_load_2addr_b64 v[78:81], v63 offset0:64 offset1:80
	v_dual_mul_f32 v68, v76, v87 :: v_dual_mul_f32 v74, v77, v89
	v_add_f32_e32 v75, v16, v94
	v_dual_fma_f32 v66, v76, v86, -v66 :: v_dual_mul_f32 v16, v76, v89
	s_delay_alu instid0(VALU_DEP_3) | instskip(NEXT) | instid1(VALU_DEP_2)
	v_fmac_f32_e32 v68, v77, v86
	v_dual_add_f32 v66, v17, v66 :: v_dual_fma_f32 v17, v76, v88, -v74
	s_delay_alu instid0(VALU_DEP_2) | instskip(NEXT) | instid1(VALU_DEP_4)
	v_dual_mul_f32 v74, v85, v87 :: v_dual_add_f32 v68, v19, v68
	v_dual_fmac_f32 v16, v77, v88 :: v_dual_mul_f32 v19, v84, v87
	s_delay_alu instid0(VALU_DEP_2) | instskip(NEXT) | instid1(VALU_DEP_2)
	v_dual_add_f32 v62, v62, v17 :: v_dual_fma_f32 v17, v84, v86, -v74
	v_dual_mul_f32 v74, v85, v89 :: v_dual_add_f32 v64, v64, v16
	s_delay_alu instid0(VALU_DEP_3) | instskip(NEXT) | instid1(VALU_DEP_2)
	v_dual_fmac_f32 v19, v85, v86 :: v_dual_mul_f32 v76, v84, v89
	v_dual_add_f32 v58, v58, v17 :: v_dual_fma_f32 v16, v84, v88, -v74
	s_wait_dscnt 0x0
	v_dual_mul_f32 v17, v9, v79 :: v_dual_mul_f32 v74, v8, v79
	s_delay_alu instid0(VALU_DEP_3) | instskip(NEXT) | instid1(VALU_DEP_2)
	v_dual_add_f32 v60, v60, v19 :: v_dual_fmac_f32 v76, v85, v88
	v_dual_add_f32 v77, v18, v16 :: v_dual_fma_f32 v82, v8, v78, -v17
	s_delay_alu instid0(VALU_DEP_3) | instskip(SKIP_4) | instid1(VALU_DEP_2)
	v_dual_mul_f32 v83, v9, v81 :: v_dual_fmac_f32 v74, v9, v78
	ds_load_2addr_b64 v[16:19], v63 offset0:96 offset1:112
	v_dual_add_f32 v84, v75, v76 :: v_dual_add_f32 v66, v66, v82
	v_dual_mul_f32 v75, v8, v81 :: v_dual_fma_f32 v8, v8, v80, -v83
	v_dual_add_f32 v68, v68, v74 :: v_dual_mul_f32 v74, v13, v79
	v_dual_mul_f32 v76, v12, v79 :: v_dual_fmac_f32 v75, v9, v80
	s_delay_alu instid0(VALU_DEP_3) | instskip(NEXT) | instid1(VALU_DEP_2)
	v_dual_add_f32 v8, v62, v8 :: v_dual_mul_f32 v9, v13, v81
	v_dual_fma_f32 v62, v12, v78, -v74 :: v_dual_fmac_f32 v76, v13, v78
	v_mul_f32_e32 v78, v12, v81
	s_delay_alu instid0(VALU_DEP_4) | instskip(NEXT) | instid1(VALU_DEP_3)
	v_add_f32_e32 v64, v64, v75
	v_dual_fma_f32 v9, v12, v80, -v9 :: v_dual_add_f32 v12, v58, v62
	s_delay_alu instid0(VALU_DEP_4)
	v_add_f32_e32 v58, v60, v76
	s_wait_dscnt 0x0
	v_dual_fmac_f32 v78, v13, v80 :: v_dual_mul_f32 v60, v10, v17
	v_mul_f32_e32 v13, v11, v17
	v_dual_add_f32 v9, v77, v9 :: v_dual_mul_f32 v62, v11, v19
	ds_load_2addr_b64 v[74:77], v63 offset0:128 offset1:144
	v_dual_add_f32 v82, v84, v78 :: v_dual_fma_f32 v13, v10, v16, -v13
	v_dual_mul_f32 v78, v10, v19 :: v_dual_fmac_f32 v60, v11, v16
	v_fma_f32 v10, v10, v18, -v62
	s_delay_alu instid0(VALU_DEP_2) | instskip(NEXT) | instid1(VALU_DEP_3)
	v_dual_add_f32 v62, v66, v13 :: v_dual_fmac_f32 v78, v11, v18
	v_dual_mul_f32 v13, v15, v17 :: v_dual_add_f32 v11, v68, v60
	s_delay_alu instid0(VALU_DEP_3) | instskip(NEXT) | instid1(VALU_DEP_2)
	v_dual_add_f32 v60, v8, v10 :: v_dual_mul_f32 v8, v14, v17
	v_dual_add_f32 v17, v64, v78 :: v_dual_fma_f32 v10, v14, v16, -v13
	v_mul_f32_e32 v13, v15, v19
	ds_load_b128 v[78:81], v61 offset:4128
	v_dual_fmac_f32 v8, v15, v16 :: v_dual_add_f32 v16, v12, v10
	v_dual_mul_f32 v10, v14, v19 :: v_dual_fma_f32 v12, v14, v18, -v13
	s_wait_dscnt 0x1
	s_delay_alu instid0(VALU_DEP_2) | instskip(NEXT) | instid1(VALU_DEP_2)
	v_dual_mul_f32 v13, v5, v75 :: v_dual_add_f32 v19, v58, v8
	v_dual_mul_f32 v8, v4, v75 :: v_dual_fmac_f32 v10, v15, v18
	s_delay_alu instid0(VALU_DEP_2) | instskip(SKIP_3) | instid1(VALU_DEP_2)
	v_dual_add_f32 v18, v9, v12 :: v_dual_fma_f32 v9, v4, v74, -v13
	ds_load_2addr_b64 v[12:15], v63 offset0:160 offset1:176
	v_dual_fmac_f32 v8, v5, v74 :: v_dual_mul_f32 v58, v5, v77
	v_dual_add_f32 v64, v82, v10 :: v_dual_mul_f32 v66, v4, v77
	v_dual_add_f32 v62, v62, v9 :: v_dual_add_f32 v68, v11, v8
	ds_load_b128 v[8:11], v61 offset:4144
	s_wait_dscnt 0x2
	v_dual_fma_f32 v4, v4, v76, -v58 :: v_dual_mul_f32 v58, v79, v75
	v_dual_fmac_f32 v66, v5, v76 :: v_dual_mul_f32 v5, v78, v75
	s_delay_alu instid0(VALU_DEP_2) | instskip(NEXT) | instid1(VALU_DEP_2)
	v_dual_add_f32 v4, v60, v4 :: v_dual_mul_f32 v60, v79, v77
	v_dual_fma_f32 v58, v78, v74, -v58 :: v_dual_fmac_f32 v5, v79, v74
	s_delay_alu instid0(VALU_DEP_3) | instskip(NEXT) | instid1(VALU_DEP_2)
	v_dual_add_f32 v17, v17, v66 :: v_dual_mul_f32 v66, v78, v77
	v_dual_fma_f32 v60, v78, v76, -v60 :: v_dual_add_f32 v16, v16, v58
	s_wait_dscnt 0x1
	v_mul_f32_e32 v58, v7, v13
	s_delay_alu instid0(VALU_DEP_3) | instskip(NEXT) | instid1(VALU_DEP_3)
	v_fmac_f32_e32 v66, v79, v76
	v_dual_add_f32 v60, v18, v60 :: v_dual_add_f32 v5, v19, v5
	s_delay_alu instid0(VALU_DEP_3) | instskip(SKIP_3) | instid1(VALU_DEP_2)
	v_dual_fma_f32 v19, v6, v12, -v58 :: v_dual_mul_f32 v18, v6, v13
	ds_load_2addr_b64 v[74:77], v63 offset0:192 offset1:208
	v_dual_mul_f32 v58, v7, v15 :: v_dual_add_f32 v64, v64, v66
	v_dual_add_f32 v62, v62, v19 :: v_dual_fmac_f32 v18, v7, v12
	v_dual_mul_f32 v19, v6, v15 :: v_dual_fma_f32 v6, v6, v14, -v58
	v_dual_mul_f32 v58, v81, v13 :: v_dual_mul_f32 v13, v80, v13
	s_delay_alu instid0(VALU_DEP_3) | instskip(NEXT) | instid1(VALU_DEP_3)
	v_add_f32_e32 v66, v68, v18
	v_fmac_f32_e32 v19, v7, v14
	s_delay_alu instid0(VALU_DEP_4) | instskip(NEXT) | instid1(VALU_DEP_4)
	v_dual_add_f32 v4, v4, v6 :: v_dual_mul_f32 v7, v81, v15
	v_dual_fma_f32 v6, v80, v12, -v58 :: v_dual_fmac_f32 v13, v81, v12
	s_delay_alu instid0(VALU_DEP_3) | instskip(NEXT) | instid1(VALU_DEP_3)
	v_add_f32_e32 v12, v17, v19
	v_dual_mul_f32 v15, v80, v15 :: v_dual_fma_f32 v7, v80, v14, -v7
	s_delay_alu instid0(VALU_DEP_3)
	v_add_f32_e32 v6, v16, v6
	ds_load_2addr_b64 v[16:19], v63 offset0:224 offset1:240
	v_add_f32_e32 v5, v5, v13
	s_wait_dscnt 0x1
	v_mul_f32_e32 v13, v1, v75
	v_dual_fmac_f32 v15, v81, v14 :: v_dual_mul_f32 v14, v0, v75
	v_dual_add_f32 v7, v60, v7 :: v_dual_mul_f32 v58, v1, v77
	s_delay_alu instid0(VALU_DEP_3) | instskip(NEXT) | instid1(VALU_DEP_3)
	v_dual_fma_f32 v13, v0, v74, -v13 :: v_dual_mul_f32 v60, v0, v77
	v_dual_fmac_f32 v14, v1, v74 :: v_dual_add_f32 v64, v64, v15
	s_delay_alu instid0(VALU_DEP_2) | instskip(NEXT) | instid1(VALU_DEP_2)
	v_dual_fma_f32 v0, v0, v76, -v58 :: v_dual_add_f32 v62, v62, v13
	v_dual_fmac_f32 v60, v1, v76 :: v_dual_add_f32 v58, v66, v14
	v_dual_mul_f32 v1, v9, v75 :: v_dual_mul_f32 v13, v8, v75
	s_delay_alu instid0(VALU_DEP_3) | instskip(NEXT) | instid1(VALU_DEP_3)
	v_dual_add_f32 v0, v4, v0 :: v_dual_mul_f32 v4, v9, v77
	v_add_f32_e32 v60, v12, v60
	s_delay_alu instid0(VALU_DEP_3) | instskip(NEXT) | instid1(VALU_DEP_3)
	v_dual_fma_f32 v1, v8, v74, -v1 :: v_dual_mul_f32 v66, v8, v77
	v_dual_fmac_f32 v13, v9, v74 :: v_dual_fma_f32 v4, v8, v76, -v4
	s_wait_dscnt 0x0
	v_mul_f32_e32 v8, v3, v17
	s_delay_alu instid0(VALU_DEP_3) | instskip(NEXT) | instid1(VALU_DEP_3)
	v_dual_add_f32 v1, v6, v1 :: v_dual_fmac_f32 v66, v9, v76
	v_dual_add_f32 v68, v5, v13 :: v_dual_add_f32 v9, v7, v4
	s_delay_alu instid0(VALU_DEP_3) | instskip(NEXT) | instid1(VALU_DEP_3)
	v_dual_fma_f32 v4, v2, v16, -v8 :: v_dual_mul_f32 v5, v2, v17
	v_dual_mul_f32 v6, v3, v19 :: v_dual_add_f32 v64, v64, v66
	ds_load_b128 v[12:15], v61 offset:64
	ds_load_2addr_b64 v[74:77], v71 offset1:16
	v_dual_mul_f32 v7, v2, v19 :: v_dual_fmac_f32 v5, v3, v16
	v_dual_add_f32 v62, v62, v4 :: v_dual_mul_f32 v4, v11, v17
	s_delay_alu instid0(VALU_DEP_2) | instskip(NEXT) | instid1(VALU_DEP_3)
	v_dual_fma_f32 v2, v2, v18, -v6 :: v_dual_fmac_f32 v7, v3, v18
	v_add_f32_e32 v58, v58, v5
	v_mul_f32_e32 v3, v10, v17
	ds_load_b128 v[78:81], v61 offset:4160
	v_dual_add_f32 v17, v0, v2 :: v_dual_fma_f32 v0, v10, v16, -v4
	v_dual_mul_f32 v2, v11, v19 :: v_dual_fmac_f32 v3, v11, v16
	v_add_f32_e32 v60, v60, v7
	ds_load_b128 v[4:7], v61 offset:80
	v_dual_add_f32 v16, v1, v0 :: v_dual_fma_f32 v0, v10, v18, -v2
	v_mul_f32_e32 v1, v10, v19
	v_add_f32_e32 v19, v68, v3
	s_wait_dscnt 0x2
	v_dual_mul_f32 v2, v13, v75 :: v_dual_mul_f32 v3, v12, v75
	s_delay_alu instid0(VALU_DEP_3) | instskip(NEXT) | instid1(VALU_DEP_2)
	v_dual_fmac_f32 v1, v11, v18 :: v_dual_add_f32 v18, v9, v0
	v_fma_f32 v0, v12, v74, -v2
	ds_load_2addr_b64 v[8:11], v71 offset0:32 offset1:48
	v_dual_fmac_f32 v3, v13, v74 :: v_dual_mul_f32 v2, v13, v77
	s_wait_dscnt 0x2
	v_dual_mul_f32 v66, v12, v77 :: v_dual_mul_f32 v68, v79, v75
	v_dual_add_f32 v64, v64, v1 :: v_dual_add_f32 v62, v62, v0
	s_delay_alu instid0(VALU_DEP_3) | instskip(NEXT) | instid1(VALU_DEP_3)
	v_dual_fma_f32 v12, v12, v76, -v2 :: v_dual_add_f32 v58, v58, v3
	v_dual_fmac_f32 v66, v13, v76 :: v_dual_mul_f32 v13, v78, v75
	s_delay_alu instid0(VALU_DEP_2) | instskip(NEXT) | instid1(VALU_DEP_2)
	v_dual_fma_f32 v68, v78, v74, -v68 :: v_dual_add_f32 v12, v17, v12
	v_dual_mul_f32 v17, v79, v77 :: v_dual_add_f32 v60, v60, v66
	s_delay_alu instid0(VALU_DEP_3) | instskip(NEXT) | instid1(VALU_DEP_3)
	v_dual_mul_f32 v66, v78, v77 :: v_dual_fmac_f32 v13, v79, v74
	v_add_f32_e32 v68, v16, v68
	s_delay_alu instid0(VALU_DEP_3)
	v_fma_f32 v17, v78, v76, -v17
	ds_load_b128 v[0:3], v61 offset:4176
	s_wait_dscnt 0x1
	v_mul_f32_e32 v16, v15, v9
	v_add_f32_e32 v13, v19, v13
	v_dual_fmac_f32 v66, v79, v76 :: v_dual_add_f32 v74, v18, v17
	s_delay_alu instid0(VALU_DEP_3) | instskip(SKIP_4) | instid1(VALU_DEP_3)
	v_dual_mul_f32 v75, v14, v9 :: v_dual_fma_f32 v76, v14, v8, -v16
	ds_load_2addr_b64 v[16:19], v71 offset0:64 offset1:80
	v_dual_mul_f32 v77, v15, v11 :: v_dual_add_f32 v64, v64, v66
	v_dual_fmac_f32 v75, v15, v8 :: v_dual_mul_f32 v66, v14, v11
	v_dual_add_f32 v62, v62, v76 :: v_dual_mul_f32 v76, v81, v9
	v_dual_fma_f32 v14, v14, v10, -v77 :: v_dual_mul_f32 v9, v80, v9
	s_delay_alu instid0(VALU_DEP_3) | instskip(NEXT) | instid1(VALU_DEP_2)
	v_dual_add_f32 v58, v58, v75 :: v_dual_fmac_f32 v66, v15, v10
	v_dual_add_f32 v75, v12, v14 :: v_dual_fmac_f32 v9, v81, v8
	s_delay_alu instid0(VALU_DEP_4) | instskip(NEXT) | instid1(VALU_DEP_3)
	v_dual_fma_f32 v12, v80, v8, -v76 :: v_dual_mul_f32 v8, v81, v11
	v_add_f32_e32 v60, v60, v66
	s_delay_alu instid0(VALU_DEP_3) | instskip(SKIP_1) | instid1(VALU_DEP_3)
	v_dual_mul_f32 v11, v80, v11 :: v_dual_add_f32 v9, v13, v9
	s_wait_dscnt 0x0
	v_dual_add_f32 v66, v68, v12 :: v_dual_mul_f32 v68, v5, v17
	v_fma_f32 v8, v80, v10, -v8
	ds_load_2addr_b64 v[12:15], v71 offset0:96 offset1:112
	v_dual_fmac_f32 v11, v81, v10 :: v_dual_mul_f32 v10, v4, v17
	v_fma_f32 v68, v4, v16, -v68
	v_dual_add_f32 v8, v74, v8 :: v_dual_mul_f32 v74, v5, v19
	s_delay_alu instid0(VALU_DEP_3) | instskip(NEXT) | instid1(VALU_DEP_2)
	v_dual_fmac_f32 v10, v5, v16 :: v_dual_mul_f32 v76, v4, v19
	v_dual_add_f32 v62, v62, v68 :: v_dual_fma_f32 v4, v4, v18, -v74
	s_delay_alu instid0(VALU_DEP_2) | instskip(NEXT) | instid1(VALU_DEP_3)
	v_dual_add_f32 v64, v64, v11 :: v_dual_add_f32 v58, v58, v10
	v_fmac_f32_e32 v76, v5, v18
	v_dual_mul_f32 v5, v1, v17 :: v_dual_mul_f32 v10, v0, v17
	s_delay_alu instid0(VALU_DEP_4) | instskip(NEXT) | instid1(VALU_DEP_3)
	v_dual_add_f32 v4, v75, v4 :: v_dual_mul_f32 v11, v1, v19
	v_add_f32_e32 v60, v60, v76
	s_delay_alu instid0(VALU_DEP_3) | instskip(NEXT) | instid1(VALU_DEP_3)
	v_dual_fma_f32 v5, v0, v16, -v5 :: v_dual_fmac_f32 v10, v1, v16
	v_dual_mul_f32 v68, v0, v19 :: v_dual_fma_f32 v0, v0, v18, -v11
	s_wait_dscnt 0x0
	v_mul_f32_e32 v11, v7, v13
	s_delay_alu instid0(VALU_DEP_3) | instskip(NEXT) | instid1(VALU_DEP_3)
	v_dual_add_f32 v5, v66, v5 :: v_dual_add_f32 v66, v9, v10
	v_dual_fmac_f32 v68, v1, v18 :: v_dual_add_f32 v0, v8, v0
	s_delay_alu instid0(VALU_DEP_3)
	v_dual_fma_f32 v1, v6, v12, -v11 :: v_dual_mul_f32 v74, v6, v13
	ds_load_b128 v[8:11], v61 offset:96
	ds_load_2addr_b64 v[16:19], v71 offset0:128 offset1:144
	v_dual_mul_f32 v75, v7, v15 :: v_dual_add_f32 v64, v64, v68
	v_dual_mul_f32 v68, v6, v15 :: v_dual_fmac_f32 v74, v7, v12
	v_add_f32_e32 v1, v62, v1
	s_delay_alu instid0(VALU_DEP_3) | instskip(NEXT) | instid1(VALU_DEP_3)
	v_dual_fma_f32 v6, v6, v14, -v75 :: v_dual_mul_f32 v62, v3, v13
	v_fmac_f32_e32 v68, v7, v14
	s_delay_alu instid0(VALU_DEP_4) | instskip(NEXT) | instid1(VALU_DEP_3)
	v_add_f32_e32 v58, v58, v74
	v_dual_mul_f32 v13, v2, v13 :: v_dual_add_f32 v78, v4, v6
	s_delay_alu instid0(VALU_DEP_4) | instskip(NEXT) | instid1(VALU_DEP_4)
	v_dual_fma_f32 v4, v2, v12, -v62 :: v_dual_mul_f32 v6, v3, v15
	v_add_f32_e32 v60, v60, v68
	s_delay_alu instid0(VALU_DEP_3)
	v_fmac_f32_e32 v13, v3, v12
	ds_load_b128 v[74:77], v61 offset:4192
	v_dual_add_f32 v62, v5, v4 :: v_dual_fma_f32 v12, v2, v14, -v6
	s_wait_dscnt 0x1
	v_dual_mul_f32 v2, v2, v15 :: v_dual_mul_f32 v15, v9, v17
	v_mul_f32_e32 v68, v8, v17
	s_delay_alu instid0(VALU_DEP_3) | instskip(NEXT) | instid1(VALU_DEP_3)
	v_dual_add_f32 v66, v66, v13 :: v_dual_add_f32 v79, v0, v12
	v_dual_fmac_f32 v2, v3, v14 :: v_dual_fma_f32 v0, v8, v16, -v15
	s_delay_alu instid0(VALU_DEP_3)
	v_fmac_f32_e32 v68, v9, v16
	ds_load_2addr_b64 v[12:15], v71 offset0:160 offset1:176
	v_mul_f32_e32 v3, v9, v19
	ds_load_b128 v[4:7], v61 offset:112
	v_dual_mul_f32 v81, v8, v19 :: v_dual_add_f32 v58, v58, v68
	v_dual_add_f32 v64, v64, v2 :: v_dual_add_f32 v80, v1, v0
	s_delay_alu instid0(VALU_DEP_2) | instskip(SKIP_2) | instid1(VALU_DEP_2)
	v_dual_fma_f32 v8, v8, v18, -v3 :: v_dual_fmac_f32 v81, v9, v18
	s_wait_dscnt 0x2
	v_dual_mul_f32 v9, v74, v17 :: v_dual_mul_f32 v68, v75, v17
	v_dual_mul_f32 v17, v75, v19 :: v_dual_add_f32 v8, v78, v8
	s_delay_alu instid0(VALU_DEP_2) | instskip(NEXT) | instid1(VALU_DEP_3)
	v_dual_mul_f32 v78, v74, v19 :: v_dual_fmac_f32 v9, v75, v16
	v_dual_fma_f32 v68, v74, v16, -v68 :: v_dual_add_f32 v60, v60, v81
	s_delay_alu instid0(VALU_DEP_2) | instskip(SKIP_4) | instid1(VALU_DEP_2)
	v_dual_fma_f32 v16, v74, v18, -v17 :: v_dual_fmac_f32 v78, v75, v18
	ds_load_b128 v[0:3], v61 offset:4208
	s_wait_dscnt 0x2
	v_dual_mul_f32 v17, v11, v13 :: v_dual_add_f32 v62, v62, v68
	v_dual_add_f32 v9, v66, v9 :: v_dual_add_f32 v66, v79, v16
	v_dual_mul_f32 v68, v10, v13 :: v_dual_fma_f32 v74, v10, v12, -v17
	ds_load_2addr_b64 v[16:19], v71 offset0:192 offset1:208
	v_dual_mul_f32 v75, v11, v15 :: v_dual_add_f32 v64, v64, v78
	v_dual_fmac_f32 v68, v11, v12 :: v_dual_add_f32 v74, v80, v74
	s_delay_alu instid0(VALU_DEP_2) | instskip(SKIP_1) | instid1(VALU_DEP_2)
	v_dual_mul_f32 v78, v10, v15 :: v_dual_fma_f32 v10, v10, v14, -v75
	v_dual_mul_f32 v75, v77, v13 :: v_dual_mul_f32 v13, v76, v13
	v_dual_add_f32 v58, v58, v68 :: v_dual_fmac_f32 v78, v11, v14
	s_delay_alu instid0(VALU_DEP_3) | instskip(NEXT) | instid1(VALU_DEP_3)
	v_add_f32_e32 v8, v8, v10
	v_dual_fma_f32 v10, v76, v12, -v75 :: v_dual_mul_f32 v11, v77, v15
	s_delay_alu instid0(VALU_DEP_4) | instskip(NEXT) | instid1(VALU_DEP_4)
	v_dual_fmac_f32 v13, v77, v12 :: v_dual_mul_f32 v68, v76, v15
	v_add_f32_e32 v60, v60, v78
	s_delay_alu instid0(VALU_DEP_3) | instskip(NEXT) | instid1(VALU_DEP_3)
	v_add_f32_e32 v10, v62, v10
	v_dual_fma_f32 v11, v76, v14, -v11 :: v_dual_add_f32 v9, v9, v13
	s_wait_dscnt 0x0
	v_mul_f32_e32 v62, v5, v17
	v_dual_fmac_f32 v68, v77, v14 :: v_dual_mul_f32 v75, v4, v17
	ds_load_2addr_b64 v[12:15], v71 offset0:224 offset1:240
	v_dual_add_f32 v11, v66, v11 :: v_dual_fma_f32 v62, v4, v16, -v62
	v_dual_mul_f32 v66, v5, v19 :: v_dual_fmac_f32 v75, v5, v16
	v_mul_f32_e32 v76, v4, v19
	s_delay_alu instid0(VALU_DEP_3) | instskip(NEXT) | instid1(VALU_DEP_3)
	v_dual_add_f32 v64, v64, v68 :: v_dual_add_f32 v62, v74, v62
	v_fma_f32 v4, v4, v18, -v66
	s_delay_alu instid0(VALU_DEP_3) | instskip(SKIP_1) | instid1(VALU_DEP_3)
	v_dual_mul_f32 v66, v0, v19 :: v_dual_fmac_f32 v76, v5, v18
	v_dual_mul_f32 v5, v1, v17 :: v_dual_mul_f32 v17, v0, v17
	v_dual_add_f32 v4, v8, v4 :: v_dual_mul_f32 v8, v1, v19
	s_delay_alu instid0(VALU_DEP_3) | instskip(NEXT) | instid1(VALU_DEP_3)
	v_add_f32_e32 v60, v60, v76
	v_fma_f32 v5, v0, v16, -v5
	s_delay_alu instid0(VALU_DEP_4) | instskip(SKIP_2) | instid1(VALU_DEP_3)
	v_dual_fmac_f32 v17, v1, v16 :: v_dual_fmac_f32 v66, v1, v18
	s_wait_dscnt 0x0
	v_dual_fma_f32 v0, v0, v18, -v8 :: v_dual_mul_f32 v8, v7, v13
	v_add_f32_e32 v5, v10, v5
	s_delay_alu instid0(VALU_DEP_3) | instskip(NEXT) | instid1(VALU_DEP_3)
	v_dual_add_f32 v68, v9, v17 :: v_dual_add_f32 v58, v58, v75
	v_add_f32_e32 v0, v11, v0
	s_delay_alu instid0(VALU_DEP_4)
	v_dual_fma_f32 v1, v6, v12, -v8 :: v_dual_mul_f32 v74, v6, v13
	ds_load_b128 v[8:11], v61 offset:128
	ds_load_2addr_b64 v[16:19], v72 offset1:16
	v_dual_mul_f32 v75, v7, v15 :: v_dual_add_f32 v64, v64, v66
	v_dual_mul_f32 v66, v6, v15 :: v_dual_fmac_f32 v74, v7, v12
	v_add_f32_e32 v1, v62, v1
	s_delay_alu instid0(VALU_DEP_3) | instskip(NEXT) | instid1(VALU_DEP_3)
	v_dual_fma_f32 v6, v6, v14, -v75 :: v_dual_mul_f32 v62, v3, v13
	v_fmac_f32_e32 v66, v7, v14
	s_delay_alu instid0(VALU_DEP_4) | instskip(NEXT) | instid1(VALU_DEP_3)
	v_add_f32_e32 v58, v58, v74
	v_dual_mul_f32 v13, v2, v13 :: v_dual_add_f32 v78, v4, v6
	s_delay_alu instid0(VALU_DEP_3) | instskip(NEXT) | instid1(VALU_DEP_2)
	v_dual_fma_f32 v4, v2, v12, -v62 :: v_dual_add_f32 v60, v60, v66
	v_dual_mul_f32 v6, v3, v15 :: v_dual_fmac_f32 v13, v3, v12
	ds_load_b128 v[74:77], v61 offset:4224
	v_dual_add_f32 v62, v5, v4 :: v_dual_fma_f32 v12, v2, v14, -v6
	s_wait_dscnt 0x1
	v_dual_mul_f32 v2, v2, v15 :: v_dual_mul_f32 v15, v9, v17
	v_add_f32_e32 v66, v68, v13
	v_mul_f32_e32 v68, v8, v17
	s_delay_alu instid0(VALU_DEP_3) | instskip(NEXT) | instid1(VALU_DEP_4)
	v_dual_add_f32 v79, v0, v12 :: v_dual_fmac_f32 v2, v3, v14
	v_fma_f32 v0, v8, v16, -v15
	ds_load_2addr_b64 v[12:15], v72 offset0:32 offset1:48
	v_mul_f32_e32 v3, v9, v19
	ds_load_b128 v[4:7], v61 offset:144
	v_dual_fmac_f32 v68, v9, v16 :: v_dual_mul_f32 v81, v8, v19
	v_dual_add_f32 v64, v64, v2 :: v_dual_add_f32 v80, v1, v0
	s_delay_alu instid0(VALU_DEP_2) | instskip(SKIP_1) | instid1(VALU_DEP_3)
	v_dual_fma_f32 v8, v8, v18, -v3 :: v_dual_add_f32 v58, v58, v68
	s_wait_dscnt 0x2
	v_dual_mul_f32 v68, v75, v17 :: v_dual_fmac_f32 v81, v9, v18
	v_mul_f32_e32 v9, v74, v17
	s_delay_alu instid0(VALU_DEP_3) | instskip(NEXT) | instid1(VALU_DEP_3)
	v_dual_add_f32 v8, v78, v8 :: v_dual_mul_f32 v17, v75, v19
	v_dual_fma_f32 v68, v74, v16, -v68 :: v_dual_add_f32 v60, v60, v81
	s_delay_alu instid0(VALU_DEP_3) | instskip(NEXT) | instid1(VALU_DEP_3)
	v_dual_fmac_f32 v9, v75, v16 :: v_dual_mul_f32 v78, v74, v19
	v_fma_f32 v16, v74, v18, -v17
	s_wait_dscnt 0x1
	s_delay_alu instid0(VALU_DEP_3) | instskip(NEXT) | instid1(VALU_DEP_3)
	v_dual_add_f32 v62, v62, v68 :: v_dual_mul_f32 v17, v11, v13
	v_dual_add_f32 v9, v66, v9 :: v_dual_fmac_f32 v78, v75, v18
	s_delay_alu instid0(VALU_DEP_3) | instskip(NEXT) | instid1(VALU_DEP_3)
	v_dual_add_f32 v66, v79, v16 :: v_dual_mul_f32 v68, v10, v13
	v_fma_f32 v74, v10, v12, -v17
	ds_load_2addr_b64 v[16:19], v72 offset0:64 offset1:80
	v_dual_mul_f32 v75, v11, v15 :: v_dual_add_f32 v64, v64, v78
	v_dual_fmac_f32 v68, v11, v12 :: v_dual_add_f32 v74, v80, v74
	s_delay_alu instid0(VALU_DEP_2)
	v_dual_mul_f32 v78, v10, v15 :: v_dual_fma_f32 v10, v10, v14, -v75
	v_dual_mul_f32 v75, v77, v13 :: v_dual_mul_f32 v13, v76, v13
	ds_load_b128 v[0:3], v61 offset:4240
	v_dual_add_f32 v58, v58, v68 :: v_dual_fmac_f32 v78, v11, v14
	v_dual_add_f32 v8, v8, v10 :: v_dual_fmac_f32 v13, v77, v12
	v_dual_fma_f32 v10, v76, v12, -v75 :: v_dual_mul_f32 v11, v77, v15
	v_mul_f32_e32 v68, v76, v15
	s_delay_alu instid0(VALU_DEP_3) | instskip(NEXT) | instid1(VALU_DEP_3)
	v_dual_add_f32 v60, v60, v78 :: v_dual_add_f32 v9, v9, v13
	v_add_f32_e32 v10, v62, v10
	s_wait_dscnt 0x1
	v_dual_fma_f32 v11, v76, v14, -v11 :: v_dual_mul_f32 v62, v5, v17
	v_dual_fmac_f32 v68, v77, v14 :: v_dual_mul_f32 v75, v4, v17
	ds_load_2addr_b64 v[12:15], v72 offset0:96 offset1:112
	v_dual_add_f32 v11, v66, v11 :: v_dual_fma_f32 v62, v4, v16, -v62
	v_dual_mul_f32 v66, v5, v19 :: v_dual_fmac_f32 v75, v5, v16
	v_mul_f32_e32 v76, v4, v19
	s_delay_alu instid0(VALU_DEP_3) | instskip(NEXT) | instid1(VALU_DEP_3)
	v_dual_add_f32 v64, v64, v68 :: v_dual_add_f32 v62, v74, v62
	v_fma_f32 v4, v4, v18, -v66
	s_wait_dscnt 0x1
	s_delay_alu instid0(VALU_DEP_3) | instskip(SKIP_1) | instid1(VALU_DEP_3)
	v_dual_mul_f32 v66, v0, v19 :: v_dual_fmac_f32 v76, v5, v18
	v_dual_mul_f32 v5, v1, v17 :: v_dual_mul_f32 v17, v0, v17
	v_dual_add_f32 v4, v8, v4 :: v_dual_mul_f32 v8, v1, v19
	s_delay_alu instid0(VALU_DEP_3) | instskip(NEXT) | instid1(VALU_DEP_3)
	v_add_f32_e32 v60, v60, v76
	v_fma_f32 v5, v0, v16, -v5
	s_delay_alu instid0(VALU_DEP_4) | instskip(SKIP_2) | instid1(VALU_DEP_3)
	v_dual_fmac_f32 v17, v1, v16 :: v_dual_fmac_f32 v66, v1, v18
	s_wait_dscnt 0x0
	v_dual_fma_f32 v0, v0, v18, -v8 :: v_dual_mul_f32 v8, v7, v13
	v_add_f32_e32 v5, v10, v5
	s_delay_alu instid0(VALU_DEP_3) | instskip(NEXT) | instid1(VALU_DEP_3)
	v_dual_add_f32 v68, v9, v17 :: v_dual_add_f32 v58, v58, v75
	v_add_f32_e32 v0, v11, v0
	s_delay_alu instid0(VALU_DEP_4)
	v_dual_fma_f32 v1, v6, v12, -v8 :: v_dual_mul_f32 v74, v6, v13
	ds_load_b128 v[8:11], v61 offset:160
	ds_load_2addr_b64 v[16:19], v72 offset0:128 offset1:144
	v_dual_mul_f32 v75, v7, v15 :: v_dual_add_f32 v64, v64, v66
	v_dual_mul_f32 v66, v6, v15 :: v_dual_fmac_f32 v74, v7, v12
	v_add_f32_e32 v1, v62, v1
	s_delay_alu instid0(VALU_DEP_3) | instskip(NEXT) | instid1(VALU_DEP_3)
	v_dual_fma_f32 v6, v6, v14, -v75 :: v_dual_mul_f32 v62, v3, v13
	v_fmac_f32_e32 v66, v7, v14
	s_delay_alu instid0(VALU_DEP_4) | instskip(NEXT) | instid1(VALU_DEP_3)
	v_add_f32_e32 v58, v58, v74
	v_dual_mul_f32 v13, v2, v13 :: v_dual_add_f32 v78, v4, v6
	s_delay_alu instid0(VALU_DEP_3) | instskip(NEXT) | instid1(VALU_DEP_2)
	v_dual_fma_f32 v4, v2, v12, -v62 :: v_dual_add_f32 v60, v60, v66
	v_dual_mul_f32 v6, v3, v15 :: v_dual_fmac_f32 v13, v3, v12
	ds_load_b128 v[74:77], v61 offset:4256
	v_dual_add_f32 v62, v5, v4 :: v_dual_fma_f32 v12, v2, v14, -v6
	s_wait_dscnt 0x1
	v_dual_mul_f32 v2, v2, v15 :: v_dual_mul_f32 v15, v9, v17
	v_add_f32_e32 v66, v68, v13
	v_mul_f32_e32 v68, v8, v17
	s_delay_alu instid0(VALU_DEP_3) | instskip(NEXT) | instid1(VALU_DEP_4)
	v_dual_add_f32 v79, v0, v12 :: v_dual_fmac_f32 v2, v3, v14
	v_fma_f32 v0, v8, v16, -v15
	ds_load_2addr_b64 v[12:15], v72 offset0:160 offset1:176
	v_mul_f32_e32 v3, v9, v19
	ds_load_b128 v[4:7], v61 offset:176
	v_dual_fmac_f32 v68, v9, v16 :: v_dual_mul_f32 v81, v8, v19
	v_dual_add_f32 v64, v64, v2 :: v_dual_add_f32 v80, v1, v0
	s_delay_alu instid0(VALU_DEP_2) | instskip(SKIP_1) | instid1(VALU_DEP_3)
	v_dual_fma_f32 v8, v8, v18, -v3 :: v_dual_add_f32 v58, v58, v68
	s_wait_dscnt 0x2
	v_dual_mul_f32 v68, v75, v17 :: v_dual_fmac_f32 v81, v9, v18
	v_mul_f32_e32 v9, v74, v17
	s_delay_alu instid0(VALU_DEP_3) | instskip(NEXT) | instid1(VALU_DEP_3)
	v_dual_add_f32 v8, v78, v8 :: v_dual_mul_f32 v17, v75, v19
	v_dual_fma_f32 v68, v74, v16, -v68 :: v_dual_add_f32 v60, v60, v81
	s_delay_alu instid0(VALU_DEP_3) | instskip(NEXT) | instid1(VALU_DEP_3)
	v_dual_fmac_f32 v9, v75, v16 :: v_dual_mul_f32 v78, v74, v19
	v_fma_f32 v16, v74, v18, -v17
	s_wait_dscnt 0x1
	s_delay_alu instid0(VALU_DEP_3) | instskip(NEXT) | instid1(VALU_DEP_3)
	v_dual_add_f32 v62, v62, v68 :: v_dual_mul_f32 v17, v11, v13
	v_dual_add_f32 v9, v66, v9 :: v_dual_fmac_f32 v78, v75, v18
	s_delay_alu instid0(VALU_DEP_3) | instskip(NEXT) | instid1(VALU_DEP_3)
	v_dual_add_f32 v66, v79, v16 :: v_dual_mul_f32 v68, v10, v13
	v_fma_f32 v74, v10, v12, -v17
	ds_load_2addr_b64 v[16:19], v72 offset0:192 offset1:208
	v_dual_mul_f32 v75, v11, v15 :: v_dual_add_f32 v64, v64, v78
	v_dual_fmac_f32 v68, v11, v12 :: v_dual_add_f32 v74, v80, v74
	s_delay_alu instid0(VALU_DEP_2)
	v_dual_mul_f32 v78, v10, v15 :: v_dual_fma_f32 v10, v10, v14, -v75
	v_dual_mul_f32 v75, v77, v13 :: v_dual_mul_f32 v13, v76, v13
	ds_load_b128 v[0:3], v61 offset:4272
	v_dual_add_f32 v58, v58, v68 :: v_dual_fmac_f32 v78, v11, v14
	v_dual_add_f32 v8, v8, v10 :: v_dual_fmac_f32 v13, v77, v12
	v_dual_fma_f32 v10, v76, v12, -v75 :: v_dual_mul_f32 v11, v77, v15
	v_mul_f32_e32 v68, v76, v15
	s_delay_alu instid0(VALU_DEP_3) | instskip(NEXT) | instid1(VALU_DEP_3)
	v_dual_add_f32 v60, v60, v78 :: v_dual_add_f32 v9, v9, v13
	v_add_f32_e32 v10, v62, v10
	s_wait_dscnt 0x1
	v_dual_fma_f32 v11, v76, v14, -v11 :: v_dual_mul_f32 v62, v5, v17
	v_dual_fmac_f32 v68, v77, v14 :: v_dual_mul_f32 v75, v4, v17
	ds_load_2addr_b64 v[12:15], v72 offset0:224 offset1:240
	v_dual_add_f32 v11, v66, v11 :: v_dual_fma_f32 v62, v4, v16, -v62
	v_dual_mul_f32 v66, v5, v19 :: v_dual_fmac_f32 v75, v5, v16
	v_mul_f32_e32 v76, v4, v19
	s_delay_alu instid0(VALU_DEP_3) | instskip(NEXT) | instid1(VALU_DEP_3)
	v_dual_add_f32 v64, v64, v68 :: v_dual_add_f32 v62, v74, v62
	v_fma_f32 v4, v4, v18, -v66
	s_wait_dscnt 0x1
	s_delay_alu instid0(VALU_DEP_3) | instskip(SKIP_1) | instid1(VALU_DEP_3)
	v_dual_mul_f32 v66, v0, v19 :: v_dual_fmac_f32 v76, v5, v18
	v_dual_mul_f32 v5, v1, v17 :: v_dual_mul_f32 v17, v0, v17
	v_dual_add_f32 v4, v8, v4 :: v_dual_mul_f32 v8, v1, v19
	s_delay_alu instid0(VALU_DEP_3) | instskip(NEXT) | instid1(VALU_DEP_3)
	v_add_f32_e32 v60, v60, v76
	v_fma_f32 v5, v0, v16, -v5
	s_delay_alu instid0(VALU_DEP_4) | instskip(SKIP_2) | instid1(VALU_DEP_3)
	v_dual_fmac_f32 v17, v1, v16 :: v_dual_fmac_f32 v66, v1, v18
	s_wait_dscnt 0x0
	v_dual_fma_f32 v0, v0, v18, -v8 :: v_dual_mul_f32 v8, v7, v13
	v_add_f32_e32 v5, v10, v5
	s_delay_alu instid0(VALU_DEP_3) | instskip(NEXT) | instid1(VALU_DEP_3)
	v_dual_add_f32 v68, v9, v17 :: v_dual_add_f32 v58, v58, v75
	v_add_f32_e32 v0, v11, v0
	s_delay_alu instid0(VALU_DEP_4)
	v_dual_fma_f32 v1, v6, v12, -v8 :: v_dual_mul_f32 v74, v6, v13
	ds_load_b128 v[8:11], v61 offset:192
	ds_load_2addr_b64 v[16:19], v73 offset1:16
	v_dual_mul_f32 v75, v7, v15 :: v_dual_add_f32 v64, v64, v66
	v_dual_mul_f32 v66, v6, v15 :: v_dual_fmac_f32 v74, v7, v12
	v_add_f32_e32 v1, v62, v1
	s_delay_alu instid0(VALU_DEP_3) | instskip(NEXT) | instid1(VALU_DEP_3)
	v_dual_fma_f32 v6, v6, v14, -v75 :: v_dual_mul_f32 v62, v3, v13
	v_fmac_f32_e32 v66, v7, v14
	s_delay_alu instid0(VALU_DEP_4) | instskip(NEXT) | instid1(VALU_DEP_3)
	v_add_f32_e32 v58, v58, v74
	v_dual_mul_f32 v13, v2, v13 :: v_dual_add_f32 v78, v4, v6
	s_delay_alu instid0(VALU_DEP_3) | instskip(NEXT) | instid1(VALU_DEP_2)
	v_dual_fma_f32 v4, v2, v12, -v62 :: v_dual_add_f32 v60, v60, v66
	v_dual_mul_f32 v6, v3, v15 :: v_dual_fmac_f32 v13, v3, v12
	ds_load_b128 v[74:77], v61 offset:4288
	v_dual_add_f32 v62, v5, v4 :: v_dual_fma_f32 v12, v2, v14, -v6
	s_wait_dscnt 0x1
	v_dual_mul_f32 v2, v2, v15 :: v_dual_mul_f32 v15, v9, v17
	v_add_f32_e32 v66, v68, v13
	v_mul_f32_e32 v68, v8, v17
	s_delay_alu instid0(VALU_DEP_3) | instskip(NEXT) | instid1(VALU_DEP_4)
	v_dual_add_f32 v79, v0, v12 :: v_dual_fmac_f32 v2, v3, v14
	v_fma_f32 v0, v8, v16, -v15
	ds_load_2addr_b64 v[12:15], v73 offset0:32 offset1:48
	v_mul_f32_e32 v3, v9, v19
	ds_load_b128 v[4:7], v61 offset:208
	v_dual_fmac_f32 v68, v9, v16 :: v_dual_mul_f32 v81, v8, v19
	v_dual_add_f32 v64, v64, v2 :: v_dual_add_f32 v80, v1, v0
	s_delay_alu instid0(VALU_DEP_2) | instskip(SKIP_1) | instid1(VALU_DEP_3)
	v_dual_fma_f32 v8, v8, v18, -v3 :: v_dual_add_f32 v58, v58, v68
	s_wait_dscnt 0x2
	v_dual_mul_f32 v68, v75, v17 :: v_dual_fmac_f32 v81, v9, v18
	v_mul_f32_e32 v9, v74, v17
	s_delay_alu instid0(VALU_DEP_3) | instskip(NEXT) | instid1(VALU_DEP_3)
	v_dual_add_f32 v8, v78, v8 :: v_dual_mul_f32 v17, v75, v19
	v_dual_fma_f32 v68, v74, v16, -v68 :: v_dual_add_f32 v60, v60, v81
	s_delay_alu instid0(VALU_DEP_3) | instskip(NEXT) | instid1(VALU_DEP_3)
	v_dual_fmac_f32 v9, v75, v16 :: v_dual_mul_f32 v78, v74, v19
	v_fma_f32 v16, v74, v18, -v17
	s_wait_dscnt 0x1
	s_delay_alu instid0(VALU_DEP_3) | instskip(NEXT) | instid1(VALU_DEP_3)
	v_dual_add_f32 v62, v62, v68 :: v_dual_mul_f32 v17, v11, v13
	v_dual_add_f32 v9, v66, v9 :: v_dual_fmac_f32 v78, v75, v18
	s_delay_alu instid0(VALU_DEP_3) | instskip(NEXT) | instid1(VALU_DEP_3)
	v_dual_add_f32 v66, v79, v16 :: v_dual_mul_f32 v68, v10, v13
	v_fma_f32 v74, v10, v12, -v17
	ds_load_2addr_b64 v[16:19], v73 offset0:64 offset1:80
	v_dual_mul_f32 v75, v11, v15 :: v_dual_add_f32 v64, v64, v78
	v_dual_fmac_f32 v68, v11, v12 :: v_dual_add_f32 v74, v80, v74
	s_delay_alu instid0(VALU_DEP_2)
	v_dual_mul_f32 v78, v10, v15 :: v_dual_fma_f32 v10, v10, v14, -v75
	v_dual_mul_f32 v75, v77, v13 :: v_dual_mul_f32 v13, v76, v13
	ds_load_b128 v[0:3], v61 offset:4304
	v_dual_add_f32 v58, v58, v68 :: v_dual_fmac_f32 v78, v11, v14
	v_dual_add_f32 v8, v8, v10 :: v_dual_fmac_f32 v13, v77, v12
	v_dual_fma_f32 v10, v76, v12, -v75 :: v_dual_mul_f32 v11, v77, v15
	v_mul_f32_e32 v68, v76, v15
	s_delay_alu instid0(VALU_DEP_3) | instskip(NEXT) | instid1(VALU_DEP_3)
	v_dual_add_f32 v60, v60, v78 :: v_dual_add_f32 v9, v9, v13
	v_add_f32_e32 v10, v62, v10
	s_wait_dscnt 0x1
	v_dual_fma_f32 v11, v76, v14, -v11 :: v_dual_mul_f32 v62, v5, v17
	v_dual_fmac_f32 v68, v77, v14 :: v_dual_mul_f32 v75, v4, v17
	ds_load_2addr_b64 v[12:15], v73 offset0:96 offset1:112
	v_dual_add_f32 v11, v66, v11 :: v_dual_fma_f32 v62, v4, v16, -v62
	v_dual_mul_f32 v66, v5, v19 :: v_dual_fmac_f32 v75, v5, v16
	v_mul_f32_e32 v76, v4, v19
	s_delay_alu instid0(VALU_DEP_3) | instskip(NEXT) | instid1(VALU_DEP_3)
	v_dual_add_f32 v64, v64, v68 :: v_dual_add_f32 v62, v74, v62
	v_fma_f32 v4, v4, v18, -v66
	s_wait_dscnt 0x1
	s_delay_alu instid0(VALU_DEP_3) | instskip(SKIP_1) | instid1(VALU_DEP_3)
	v_dual_mul_f32 v66, v0, v19 :: v_dual_fmac_f32 v76, v5, v18
	v_dual_mul_f32 v5, v1, v17 :: v_dual_mul_f32 v17, v0, v17
	v_dual_add_f32 v4, v8, v4 :: v_dual_mul_f32 v8, v1, v19
	s_delay_alu instid0(VALU_DEP_3) | instskip(NEXT) | instid1(VALU_DEP_3)
	v_add_f32_e32 v60, v60, v76
	v_fma_f32 v5, v0, v16, -v5
	s_delay_alu instid0(VALU_DEP_4) | instskip(SKIP_2) | instid1(VALU_DEP_3)
	v_dual_fmac_f32 v17, v1, v16 :: v_dual_fmac_f32 v66, v1, v18
	s_wait_dscnt 0x0
	v_dual_fma_f32 v0, v0, v18, -v8 :: v_dual_mul_f32 v8, v7, v13
	v_add_f32_e32 v5, v10, v5
	s_delay_alu instid0(VALU_DEP_3) | instskip(NEXT) | instid1(VALU_DEP_3)
	v_dual_add_f32 v68, v9, v17 :: v_dual_add_f32 v58, v58, v75
	v_add_f32_e32 v0, v11, v0
	s_delay_alu instid0(VALU_DEP_4)
	v_dual_fma_f32 v1, v6, v12, -v8 :: v_dual_mul_f32 v74, v6, v13
	ds_load_b128 v[8:11], v61 offset:224
	ds_load_2addr_b64 v[16:19], v73 offset0:128 offset1:144
	v_dual_mul_f32 v75, v7, v15 :: v_dual_add_f32 v64, v64, v66
	v_dual_mul_f32 v66, v6, v15 :: v_dual_fmac_f32 v74, v7, v12
	v_add_f32_e32 v62, v62, v1
	s_delay_alu instid0(VALU_DEP_3) | instskip(NEXT) | instid1(VALU_DEP_3)
	v_dual_fma_f32 v6, v6, v14, -v75 :: v_dual_mul_f32 v1, v3, v13
	v_fmac_f32_e32 v66, v7, v14
	s_delay_alu instid0(VALU_DEP_4) | instskip(NEXT) | instid1(VALU_DEP_3)
	v_add_f32_e32 v58, v58, v74
	v_dual_mul_f32 v13, v2, v13 :: v_dual_add_f32 v78, v4, v6
	s_delay_alu instid0(VALU_DEP_3)
	v_dual_fma_f32 v1, v2, v12, -v1 :: v_dual_add_f32 v60, v60, v66
	v_mul_f32_e32 v4, v3, v15
	ds_load_b128 v[74:77], v61 offset:4320
	v_dual_fmac_f32 v13, v3, v12 :: v_dual_add_f32 v66, v5, v1
	v_dual_mul_f32 v12, v2, v15 :: v_dual_fma_f32 v1, v2, v14, -v4
	s_wait_dscnt 0x1
	v_mul_f32_e32 v2, v9, v17
	s_delay_alu instid0(VALU_DEP_3)
	v_add_f32_e32 v68, v68, v13
	ds_load_b128 v[4:7], v61 offset:240
	v_dual_fmac_f32 v12, v3, v14 :: v_dual_mul_f32 v80, v8, v17
	v_fma_f32 v13, v8, v16, -v2
	v_add_f32_e32 v79, v0, v1
	ds_load_2addr_b64 v[0:3], v73 offset0:160 offset1:176
	v_dual_mul_f32 v14, v9, v19 :: v_dual_fmac_f32 v80, v9, v16
	v_mul_f32_e32 v81, v8, v19
	v_dual_add_f32 v64, v64, v12 :: v_dual_add_f32 v62, v62, v13
	s_delay_alu instid0(VALU_DEP_3) | instskip(SKIP_1) | instid1(VALU_DEP_3)
	v_dual_fma_f32 v8, v8, v18, -v14 :: v_dual_add_f32 v58, v58, v80
	s_wait_dscnt 0x2
	v_dual_mul_f32 v82, v75, v17 :: v_dual_fmac_f32 v81, v9, v18
	v_mul_f32_e32 v9, v74, v17
	s_delay_alu instid0(VALU_DEP_3) | instskip(NEXT) | instid1(VALU_DEP_3)
	v_dual_add_f32 v8, v78, v8 :: v_dual_mul_f32 v78, v75, v19
	v_dual_fma_f32 v17, v74, v16, -v82 :: v_dual_add_f32 v60, v60, v81
	s_delay_alu instid0(VALU_DEP_3) | instskip(NEXT) | instid1(VALU_DEP_3)
	v_dual_fmac_f32 v9, v75, v16 :: v_dual_mul_f32 v80, v74, v19
	v_fma_f32 v16, v74, v18, -v78
	s_delay_alu instid0(VALU_DEP_3)
	v_add_f32_e32 v66, v66, v17
	ds_load_b128 v[12:15], v61 offset:4336
	s_wait_dscnt 0x1
	v_mul_f32_e32 v17, v11, v1
	v_dual_add_f32 v9, v68, v9 :: v_dual_add_f32 v74, v79, v16
	v_dual_fmac_f32 v80, v75, v18 :: v_dual_mul_f32 v68, v10, v1
	s_delay_alu instid0(VALU_DEP_3) | instskip(SKIP_3) | instid1(VALU_DEP_2)
	v_fma_f32 v75, v10, v0, -v17
	ds_load_2addr_b64 v[16:19], v73 offset0:192 offset1:208
	v_dual_mul_f32 v78, v11, v3 :: v_dual_add_f32 v64, v64, v80
	v_dual_fmac_f32 v68, v11, v0 :: v_dual_add_f32 v62, v62, v75
	v_dual_mul_f32 v75, v10, v3 :: v_dual_fma_f32 v10, v10, v2, -v78
	s_delay_alu instid0(VALU_DEP_2) | instskip(NEXT) | instid1(VALU_DEP_2)
	v_dual_add_f32 v58, v58, v68 :: v_dual_mul_f32 v68, v77, v1
	v_dual_mul_f32 v1, v76, v1 :: v_dual_fmac_f32 v75, v11, v2
	s_delay_alu instid0(VALU_DEP_3) | instskip(NEXT) | instid1(VALU_DEP_2)
	v_dual_add_f32 v8, v8, v10 :: v_dual_mul_f32 v10, v77, v3
	v_dual_fma_f32 v11, v76, v0, -v68 :: v_dual_fmac_f32 v1, v77, v0
	v_mul_f32_e32 v68, v76, v3
	s_delay_alu instid0(VALU_DEP_4) | instskip(NEXT) | instid1(VALU_DEP_3)
	v_add_f32_e32 v60, v60, v75
	v_dual_fma_f32 v0, v76, v2, -v10 :: v_dual_add_f32 v10, v66, v11
	s_wait_dscnt 0x0
	v_mul_f32_e32 v11, v5, v17
	v_add_f32_e32 v9, v9, v1
	s_delay_alu instid0(VALU_DEP_3) | instskip(SKIP_3) | instid1(VALU_DEP_2)
	v_dual_fmac_f32 v68, v77, v2 :: v_dual_add_f32 v66, v74, v0
	ds_load_2addr_b64 v[0:3], v73 offset0:224 offset1:240
	v_dual_mul_f32 v74, v4, v17 :: v_dual_fma_f32 v11, v4, v16, -v11
	v_dual_add_f32 v64, v64, v68 :: v_dual_mul_f32 v68, v5, v19
	v_dual_mul_f32 v75, v4, v19 :: v_dual_fmac_f32 v74, v5, v16
	s_delay_alu instid0(VALU_DEP_3) | instskip(NEXT) | instid1(VALU_DEP_2)
	v_dual_add_f32 v11, v62, v11 :: v_dual_mul_f32 v62, v13, v17
	v_dual_fma_f32 v4, v4, v18, -v68 :: v_dual_fmac_f32 v75, v5, v18
	s_delay_alu instid0(VALU_DEP_3) | instskip(NEXT) | instid1(VALU_DEP_3)
	v_dual_add_f32 v58, v58, v74 :: v_dual_mul_f32 v5, v12, v17
	v_fma_f32 v17, v12, v16, -v62
	s_delay_alu instid0(VALU_DEP_3) | instskip(NEXT) | instid1(VALU_DEP_3)
	v_dual_add_f32 v4, v8, v4 :: v_dual_mul_f32 v8, v13, v19
	v_dual_add_f32 v60, v60, v75 :: v_dual_fmac_f32 v5, v13, v16
	s_delay_alu instid0(VALU_DEP_3) | instskip(SKIP_1) | instid1(VALU_DEP_3)
	v_dual_add_f32 v10, v10, v17 :: v_dual_mul_f32 v16, v12, v19
	s_wait_dscnt 0x0
	v_dual_fma_f32 v8, v12, v18, -v8 :: v_dual_mul_f32 v12, v7, v1
	v_mul_f32_e32 v17, v6, v1
	v_add_f32_e32 v5, v9, v5
	s_delay_alu instid0(VALU_DEP_3) | instskip(NEXT) | instid1(VALU_DEP_4)
	v_dual_fmac_f32 v16, v13, v18 :: v_dual_add_f32 v8, v66, v8
	v_dual_fma_f32 v9, v6, v0, -v12 :: v_dual_mul_f32 v12, v7, v3
	s_delay_alu instid0(VALU_DEP_4) | instskip(NEXT) | instid1(VALU_DEP_2)
	v_dual_fmac_f32 v17, v7, v0 :: v_dual_mul_f32 v13, v6, v3
	v_dual_add_f32 v16, v64, v16 :: v_dual_add_f32 v66, v11, v9
	s_delay_alu instid0(VALU_DEP_3) | instskip(NEXT) | instid1(VALU_DEP_3)
	v_fma_f32 v6, v6, v2, -v12
	v_dual_add_f32 v68, v58, v17 :: v_dual_fmac_f32 v13, v7, v2
	v_dual_mul_f32 v7, v15, v1 :: v_dual_mul_f32 v1, v14, v1
	v_dual_mul_f32 v9, v15, v3 :: v_dual_mul_f32 v3, v14, v3
	s_delay_alu instid0(VALU_DEP_2) | instskip(NEXT) | instid1(VALU_DEP_3)
	v_dual_add_f32 v62, v4, v6 :: v_dual_fma_f32 v4, v14, v0, -v7
	v_fmac_f32_e32 v1, v15, v0
	s_delay_alu instid0(VALU_DEP_3) | instskip(NEXT) | instid1(VALU_DEP_3)
	v_dual_fma_f32 v0, v14, v2, -v9 :: v_dual_add_f32 v64, v60, v13
	v_dual_fmac_f32 v3, v15, v2 :: v_dual_add_f32 v58, v10, v4
	s_delay_alu instid0(VALU_DEP_2) | instskip(NEXT) | instid1(VALU_DEP_2)
	v_dual_add_f32 v60, v5, v1 :: v_dual_add_f32 v18, v8, v0
	v_add_f32_e32 v16, v16, v3
	s_barrier_signal -1
	s_barrier_wait -1
	s_cbranch_scc1 .LBB91_55
.LBB91_10:                              ;   Parent Loop BB91_4 Depth=1
                                        ;     Parent Loop BB91_7 Depth=2
                                        ; =>    This Inner Loop Header: Depth=3
	v_add_nc_u64_e32 v[2:3], s[54:55], v[34:35]
	v_cmp_eq_u64_e64 s7, s[54:55], v[48:49]
	v_add_nc_u64_e32 v[0:1], v[42:43], v[38:39]
	s_delay_alu instid0(VALU_DEP_3) | instskip(SKIP_3) | instid1(SALU_CYCLE_1)
	v_cmp_lt_i64_e64 s5, v[2:3], v[36:37]
	v_cmp_le_i64_e64 s6, s[44:45], v[2:3]
	s_and_b32 s64, s58, s7
	s_or_b32 s8, vcc_lo, s5
	s_or_b32 s7, s6, s8
	s_delay_alu instid0(SALU_CYCLE_1) | instskip(NEXT) | instid1(SALU_CYCLE_1)
	s_nor_b32 s7, s7, s64
	s_and_saveexec_b32 s8, s7
	s_delay_alu instid0(SALU_CYCLE_1)
	s_xor_b32 s7, exec_lo, s8
	s_cbranch_execz .LBB91_12
; %bb.11:                               ;   in Loop: Header=BB91_10 Depth=3
	global_load_b64 v[4:5], v[0:1], off
	s_wait_loadcnt 0x0
	ds_store_b64 v65, v[4:5]
.LBB91_12:                              ;   in Loop: Header=BB91_10 Depth=3
	s_wait_xcnt 0x0
	s_or_saveexec_b32 s7, s7
	s_xor_b32 s63, s64, -1
	s_xor_b32 exec_lo, exec_lo, s7
	s_cbranch_execz .LBB91_18
; %bb.13:                               ;   in Loop: Header=BB91_10 Depth=3
	s_and_saveexec_b32 s8, s63
	s_delay_alu instid0(SALU_CYCLE_1)
	s_xor_b32 s8, exec_lo, s8
; %bb.14:                               ;   in Loop: Header=BB91_10 Depth=3
	ds_store_b64 v65, v[26:27]
; %bb.15:                               ;   in Loop: Header=BB91_10 Depth=3
	s_and_not1_saveexec_b32 s8, s8
; %bb.16:                               ;   in Loop: Header=BB91_10 Depth=3
	ds_store_b64 v65, v[28:29]
; %bb.17:                               ;   in Loop: Header=BB91_10 Depth=3
	s_or_b32 exec_lo, exec_lo, s8
.LBB91_18:                              ;   in Loop: Header=BB91_10 Depth=3
	s_delay_alu instid0(SALU_CYCLE_1) | instskip(SKIP_2) | instid1(VALU_DEP_2)
	s_or_b32 exec_lo, exec_lo, s7
	v_add_nc_u64_e32 v[4:5], 16, v[2:3]
	v_cmp_eq_u64_e64 s9, s[54:55], v[56:57]
	v_cmp_lt_i64_e64 s8, v[4:5], v[36:37]
	v_cmp_le_i64_e64 s7, s[44:45], v[4:5]
	v_add_nc_u64_e32 v[4:5], v[44:45], v[38:39]
	s_and_b32 s9, s58, s9
	s_or_b32 s8, vcc_lo, s8
	s_delay_alu instid0(SALU_CYCLE_1) | instskip(NEXT) | instid1(SALU_CYCLE_1)
	s_or_b32 s8, s7, s8
	s_nor_b32 s8, s8, s9
	s_delay_alu instid0(SALU_CYCLE_1) | instskip(NEXT) | instid1(SALU_CYCLE_1)
	s_and_saveexec_b32 s65, s8
	s_xor_b32 s8, exec_lo, s65
	s_cbranch_execz .LBB91_20
; %bb.19:                               ;   in Loop: Header=BB91_10 Depth=3
	global_load_b64 v[6:7], v[4:5], off
	s_wait_loadcnt 0x0
	ds_store_b64 v65, v[6:7] offset:128
.LBB91_20:                              ;   in Loop: Header=BB91_10 Depth=3
	s_wait_xcnt 0x0
	s_and_not1_saveexec_b32 s8, s8
	s_cbranch_execz .LBB91_26
; %bb.21:                               ;   in Loop: Header=BB91_10 Depth=3
	s_xor_b32 s9, s9, -1
	s_delay_alu instid0(SALU_CYCLE_1) | instskip(NEXT) | instid1(SALU_CYCLE_1)
	s_and_saveexec_b32 s65, s9
	s_xor_b32 s9, exec_lo, s65
; %bb.22:                               ;   in Loop: Header=BB91_10 Depth=3
	ds_store_b64 v65, v[26:27] offset:128
; %bb.23:                               ;   in Loop: Header=BB91_10 Depth=3
	s_and_not1_saveexec_b32 s9, s9
; %bb.24:                               ;   in Loop: Header=BB91_10 Depth=3
	ds_store_b64 v65, v[28:29] offset:128
; %bb.25:                               ;   in Loop: Header=BB91_10 Depth=3
	s_or_b32 exec_lo, exec_lo, s9
.LBB91_26:                              ;   in Loop: Header=BB91_10 Depth=3
	s_delay_alu instid0(SALU_CYCLE_1) | instskip(SKIP_4) | instid1(SALU_CYCLE_1)
	s_or_b32 exec_lo, exec_lo, s8
	v_cmp_eq_u64_e64 s8, s[54:55], v[54:55]
	v_cmp_lt_i64_e64 s9, v[2:3], v[50:51]
	s_and_b32 s8, s58, s8
	s_or_b32 s9, s4, s9
	s_or_b32 s9, s9, s8
	s_delay_alu instid0(SALU_CYCLE_1) | instskip(NEXT) | instid1(SALU_CYCLE_1)
	s_nor_b32 s6, s6, s9
	s_and_saveexec_b32 s9, s6
	s_delay_alu instid0(SALU_CYCLE_1)
	s_xor_b32 s6, exec_lo, s9
	s_cbranch_execz .LBB91_28
; %bb.27:                               ;   in Loop: Header=BB91_10 Depth=3
	global_load_b64 v[0:1], v[0:1], off offset:128
	s_wait_loadcnt 0x0
	ds_store_b64 v65, v[0:1] offset:4096
.LBB91_28:                              ;   in Loop: Header=BB91_10 Depth=3
	s_wait_xcnt 0x0
	s_and_not1_saveexec_b32 s6, s6
	s_cbranch_execz .LBB91_34
; %bb.29:                               ;   in Loop: Header=BB91_10 Depth=3
	s_xor_b32 s8, s8, -1
	s_delay_alu instid0(SALU_CYCLE_1) | instskip(NEXT) | instid1(SALU_CYCLE_1)
	s_and_saveexec_b32 s9, s8
	s_xor_b32 s8, exec_lo, s9
; %bb.30:                               ;   in Loop: Header=BB91_10 Depth=3
	ds_store_b64 v65, v[26:27] offset:4096
; %bb.31:                               ;   in Loop: Header=BB91_10 Depth=3
	s_and_not1_saveexec_b32 s8, s8
; %bb.32:                               ;   in Loop: Header=BB91_10 Depth=3
	ds_store_b64 v65, v[28:29] offset:4096
; %bb.33:                               ;   in Loop: Header=BB91_10 Depth=3
	s_or_b32 exec_lo, exec_lo, s8
.LBB91_34:                              ;   in Loop: Header=BB91_10 Depth=3
	s_delay_alu instid0(SALU_CYCLE_1) | instskip(SKIP_1) | instid1(SALU_CYCLE_1)
	s_or_b32 exec_lo, exec_lo, s6
	s_or_b32 s5, s4, s5
	s_or_b32 s5, s7, s5
	s_delay_alu instid0(SALU_CYCLE_1) | instskip(NEXT) | instid1(SALU_CYCLE_1)
	s_nor_b32 s5, s5, s64
	s_and_saveexec_b32 s6, s5
	s_delay_alu instid0(SALU_CYCLE_1)
	s_xor_b32 s5, exec_lo, s6
	s_cbranch_execz .LBB91_36
; %bb.35:                               ;   in Loop: Header=BB91_10 Depth=3
	global_load_b64 v[0:1], v[4:5], off offset:128
	s_wait_loadcnt 0x0
	ds_store_b64 v65, v[0:1] offset:4224
.LBB91_36:                              ;   in Loop: Header=BB91_10 Depth=3
	s_wait_xcnt 0x0
	s_and_not1_saveexec_b32 s5, s5
	s_cbranch_execz .LBB91_42
; %bb.37:                               ;   in Loop: Header=BB91_10 Depth=3
	s_and_saveexec_b32 s6, s63
	s_delay_alu instid0(SALU_CYCLE_1)
	s_xor_b32 s6, exec_lo, s6
; %bb.38:                               ;   in Loop: Header=BB91_10 Depth=3
	ds_store_b64 v65, v[26:27] offset:4224
; %bb.39:                               ;   in Loop: Header=BB91_10 Depth=3
	s_and_not1_saveexec_b32 s6, s6
; %bb.40:                               ;   in Loop: Header=BB91_10 Depth=3
	ds_store_b64 v65, v[28:29] offset:4224
; %bb.41:                               ;   in Loop: Header=BB91_10 Depth=3
	s_or_b32 exec_lo, exec_lo, s6
.LBB91_42:                              ;   in Loop: Header=BB91_10 Depth=3
	s_delay_alu instid0(SALU_CYCLE_1) | instskip(SKIP_3) | instid1(VALU_DEP_3)
	s_or_b32 exec_lo, exec_lo, s5
	v_add_nc_u64_e32 v[0:1], s[54:55], v[32:33]
	v_add_nc_u64_e32 v[2:3], v[52:53], v[40:41]
	v_mov_b64_e32 v[4:5], 0
	v_cmp_le_i64_e64 s5, s[44:45], v[0:1]
	s_nor_b32 s7, s5, s1
	s_delay_alu instid0(SALU_CYCLE_1)
	s_and_saveexec_b32 s6, s7
	s_cbranch_execz .LBB91_44
; %bb.43:                               ;   in Loop: Header=BB91_10 Depth=3
	global_load_b64 v[4:5], v[2:3], off offset:-128
.LBB91_44:                              ;   in Loop: Header=BB91_10 Depth=3
	s_wait_xcnt 0x0
	s_or_b32 exec_lo, exec_lo, s6
	s_nor_b32 s5, s5, s2
	s_wait_loadcnt 0x0
	ds_store_b64 v67, v[4:5]
	s_and_saveexec_b32 s6, s5
	s_delay_alu instid0(SALU_CYCLE_1)
	s_xor_b32 s5, exec_lo, s6
	s_cbranch_execz .LBB91_46
; %bb.45:                               ;   in Loop: Header=BB91_10 Depth=3
	global_load_b64 v[2:3], v[2:3], off
	s_wait_loadcnt 0x0
	ds_store_b64 v67, v[2:3] offset:128
.LBB91_46:                              ;   in Loop: Header=BB91_10 Depth=3
	s_wait_xcnt 0x0
	s_and_not1_saveexec_b32 s5, s5
; %bb.47:                               ;   in Loop: Header=BB91_10 Depth=3
	ds_store_b64 v67, v[26:27] offset:128
; %bb.48:                               ;   in Loop: Header=BB91_10 Depth=3
	s_or_b32 exec_lo, exec_lo, s5
	v_cmp_le_i64_e64 s5, s[26:27], v[0:1]
	v_add_nc_u64_e32 v[0:1], v[52:53], v[46:47]
	v_mov_b64_e32 v[2:3], 0
	s_nor_b32 s7, s5, s1
	s_delay_alu instid0(SALU_CYCLE_1)
	s_and_saveexec_b32 s6, s7
	s_cbranch_execz .LBB91_50
; %bb.49:                               ;   in Loop: Header=BB91_10 Depth=3
	global_load_b64 v[2:3], v[0:1], off offset:-128
.LBB91_50:                              ;   in Loop: Header=BB91_10 Depth=3
	s_wait_xcnt 0x0
	s_or_b32 exec_lo, exec_lo, s6
	s_nor_b32 s5, s5, s2
	s_wait_loadcnt 0x0
	ds_store_b64 v67, v[2:3] offset:4096
	s_and_saveexec_b32 s6, s5
	s_delay_alu instid0(SALU_CYCLE_1)
	s_xor_b32 s5, exec_lo, s6
	s_cbranch_execz .LBB91_52
; %bb.51:                               ;   in Loop: Header=BB91_10 Depth=3
	global_load_b64 v[0:1], v[0:1], off
	s_wait_loadcnt 0x0
	ds_store_b64 v67, v[0:1] offset:4224
.LBB91_52:                              ;   in Loop: Header=BB91_10 Depth=3
	s_wait_xcnt 0x0
	s_and_not1_saveexec_b32 s5, s5
	s_cbranch_execz .LBB91_9
; %bb.53:                               ;   in Loop: Header=BB91_10 Depth=3
	ds_store_b64 v67, v[26:27] offset:4224
	s_branch .LBB91_9
.LBB91_54:                              ;   in Loop: Header=BB91_7 Depth=2
	v_dual_mov_b32 v66, 0 :: v_dual_mov_b32 v68, 0
	v_dual_mov_b32 v62, 0 :: v_dual_mov_b32 v64, 0
	;; [unrolled: 1-line block ×4, first 2 shown]
.LBB91_55:                              ;   in Loop: Header=BB91_7 Depth=2
	v_mul_u64_e32 v[0:1], s[28:29], v[36:37]
	v_cmp_gt_i32_e32 vcc_lo, s38, v36
	s_and_b32 s5, s0, vcc_lo
	s_delay_alu instid0(VALU_DEP_2)
	v_lshl_add_u64 v[0:1], v[0:1], 3, s[52:53]
	s_and_saveexec_b32 s4, s5
	s_cbranch_execz .LBB91_57
; %bb.56:                               ;   in Loop: Header=BB91_7 Depth=2
	s_delay_alu instid0(VALU_DEP_1) | instskip(SKIP_4) | instid1(VALU_DEP_1)
	v_lshl_add_u64 v[2:3], v[20:21], 3, v[0:1]
	v_mov_b64_e32 v[6:7], s[36:37]
	v_mov_b64_e32 v[8:9], s[40:41]
	global_load_b64 v[4:5], v[2:3], off
	v_pk_mul_f32 v[6:7], v[68:69], v[6:7] op_sel_hi:[0,1]
	v_pk_fma_f32 v[10:11], v[66:67], v[8:9], v[6:7] op_sel_hi:[0,1,1]
	v_pk_fma_f32 v[6:7], v[66:67], v[8:9], v[6:7] neg_lo:[0,0,1] neg_hi:[0,0,1]
	s_delay_alu instid0(VALU_DEP_2) | instskip(SKIP_1) | instid1(VALU_DEP_1)
	v_mov_b32_e32 v7, v11
	s_wait_loadcnt 0x0
	v_pk_add_f32 v[4:5], v[4:5], v[6:7]
	global_store_b64 v[2:3], v[4:5], off
.LBB91_57:                              ;   in Loop: Header=BB91_7 Depth=2
	s_wait_xcnt 0x0
	s_or_b32 exec_lo, exec_lo, s4
	s_and_b32 s5, s3, vcc_lo
	s_delay_alu instid0(SALU_CYCLE_1)
	s_and_saveexec_b32 s4, s5
	s_cbranch_execz .LBB91_59
; %bb.58:                               ;   in Loop: Header=BB91_7 Depth=2
	v_lshl_add_u64 v[0:1], v[22:23], 3, v[0:1]
	v_mov_b64_e32 v[4:5], s[36:37]
	v_mov_b64_e32 v[6:7], s[40:41]
	global_load_b64 v[2:3], v[0:1], off
	v_pk_mul_f32 v[4:5], v[64:65], v[4:5] op_sel_hi:[0,1]
	s_delay_alu instid0(VALU_DEP_1) | instskip(SKIP_1) | instid1(VALU_DEP_2)
	v_pk_fma_f32 v[8:9], v[62:63], v[6:7], v[4:5] op_sel_hi:[0,1,1]
	v_pk_fma_f32 v[4:5], v[62:63], v[6:7], v[4:5] neg_lo:[0,0,1] neg_hi:[0,0,1]
	v_mov_b32_e32 v5, v9
	s_wait_loadcnt 0x0
	s_delay_alu instid0(VALU_DEP_1)
	v_pk_add_f32 v[2:3], v[2:3], v[4:5]
	global_store_b64 v[0:1], v[2:3], off
.LBB91_59:                              ;   in Loop: Header=BB91_7 Depth=2
	s_wait_xcnt 0x0
	s_or_b32 exec_lo, exec_lo, s4
	v_add_nc_u32_e32 v0, 16, v36
	s_delay_alu instid0(VALU_DEP_1) | instskip(SKIP_1) | instid1(VALU_DEP_2)
	v_ashrrev_i32_e32 v1, 31, v0
	v_cmp_gt_i32_e32 vcc_lo, s38, v0
	v_mul_u64_e32 v[2:3], s[28:29], v[0:1]
	s_and_b32 s5, s0, vcc_lo
	s_delay_alu instid0(VALU_DEP_1)
	v_lshl_add_u64 v[0:1], v[2:3], 3, s[52:53]
	s_and_saveexec_b32 s4, s5
	s_cbranch_execz .LBB91_61
; %bb.60:                               ;   in Loop: Header=BB91_7 Depth=2
	s_delay_alu instid0(VALU_DEP_1) | instskip(SKIP_4) | instid1(VALU_DEP_1)
	v_lshl_add_u64 v[2:3], v[20:21], 3, v[0:1]
	v_mov_b64_e32 v[6:7], s[36:37]
	v_mov_b64_e32 v[8:9], s[40:41]
	global_load_b64 v[4:5], v[2:3], off
	v_pk_mul_f32 v[6:7], v[60:61], v[6:7] op_sel_hi:[0,1]
	v_pk_fma_f32 v[10:11], v[58:59], v[8:9], v[6:7] op_sel_hi:[0,1,1]
	v_pk_fma_f32 v[6:7], v[58:59], v[8:9], v[6:7] neg_lo:[0,0,1] neg_hi:[0,0,1]
	s_delay_alu instid0(VALU_DEP_2) | instskip(SKIP_1) | instid1(VALU_DEP_1)
	v_mov_b32_e32 v7, v11
	s_wait_loadcnt 0x0
	v_pk_add_f32 v[4:5], v[4:5], v[6:7]
	global_store_b64 v[2:3], v[4:5], off
.LBB91_61:                              ;   in Loop: Header=BB91_7 Depth=2
	s_wait_xcnt 0x0
	s_or_b32 exec_lo, exec_lo, s4
	s_and_b32 s5, s3, vcc_lo
	s_delay_alu instid0(SALU_CYCLE_1)
	s_and_saveexec_b32 s4, s5
	s_cbranch_execz .LBB91_6
; %bb.62:                               ;   in Loop: Header=BB91_7 Depth=2
	v_lshl_add_u64 v[0:1], v[22:23], 3, v[0:1]
	v_mov_b64_e32 v[4:5], s[36:37]
	v_mov_b64_e32 v[6:7], s[40:41]
	global_load_b64 v[2:3], v[0:1], off
	v_pk_mul_f32 v[4:5], v[16:17], v[4:5] op_sel_hi:[0,1]
	s_delay_alu instid0(VALU_DEP_1) | instskip(SKIP_1) | instid1(VALU_DEP_2)
	v_pk_fma_f32 v[8:9], v[18:19], v[6:7], v[4:5] op_sel_hi:[0,1,1]
	v_pk_fma_f32 v[4:5], v[18:19], v[6:7], v[4:5] neg_lo:[0,0,1] neg_hi:[0,0,1]
	v_mov_b32_e32 v5, v9
	s_wait_loadcnt 0x0
	s_delay_alu instid0(VALU_DEP_1)
	v_pk_add_f32 v[2:3], v[2:3], v[4:5]
	global_store_b64 v[0:1], v[2:3], off
	s_branch .LBB91_6
.LBB91_63:
	s_sendmsg sendmsg(MSG_DEALLOC_VGPRS)
	s_endpgm
	.section	.rodata,"a",@progbits
	.p2align	6, 0x0
	.amdhsa_kernel _ZL30rocblas_trmm_outofplace_kernelI19rocblas_complex_numIfELi32ELi2ELb0ELb1ELb1ELb0ES1_KS1_S1_Ev17rocblas_diagonal_iiT6_lPT7_lllS6_lllPT8_llli
		.amdhsa_group_segment_fixed_size 16384
		.amdhsa_private_segment_fixed_size 0
		.amdhsa_kernarg_size 392
		.amdhsa_user_sgpr_count 2
		.amdhsa_user_sgpr_dispatch_ptr 0
		.amdhsa_user_sgpr_queue_ptr 0
		.amdhsa_user_sgpr_kernarg_segment_ptr 1
		.amdhsa_user_sgpr_dispatch_id 0
		.amdhsa_user_sgpr_kernarg_preload_length 0
		.amdhsa_user_sgpr_kernarg_preload_offset 0
		.amdhsa_user_sgpr_private_segment_size 0
		.amdhsa_wavefront_size32 1
		.amdhsa_uses_dynamic_stack 0
		.amdhsa_enable_private_segment 0
		.amdhsa_system_sgpr_workgroup_id_x 1
		.amdhsa_system_sgpr_workgroup_id_y 1
		.amdhsa_system_sgpr_workgroup_id_z 1
		.amdhsa_system_sgpr_workgroup_info 0
		.amdhsa_system_vgpr_workitem_id 1
		.amdhsa_next_free_vgpr 95
		.amdhsa_next_free_sgpr 66
		.amdhsa_named_barrier_count 0
		.amdhsa_reserve_vcc 1
		.amdhsa_float_round_mode_32 0
		.amdhsa_float_round_mode_16_64 0
		.amdhsa_float_denorm_mode_32 3
		.amdhsa_float_denorm_mode_16_64 3
		.amdhsa_fp16_overflow 0
		.amdhsa_memory_ordered 1
		.amdhsa_forward_progress 1
		.amdhsa_inst_pref_size 60
		.amdhsa_round_robin_scheduling 0
		.amdhsa_exception_fp_ieee_invalid_op 0
		.amdhsa_exception_fp_denorm_src 0
		.amdhsa_exception_fp_ieee_div_zero 0
		.amdhsa_exception_fp_ieee_overflow 0
		.amdhsa_exception_fp_ieee_underflow 0
		.amdhsa_exception_fp_ieee_inexact 0
		.amdhsa_exception_int_div_zero 0
	.end_amdhsa_kernel
	.section	.text._ZL30rocblas_trmm_outofplace_kernelI19rocblas_complex_numIfELi32ELi2ELb0ELb1ELb1ELb0ES1_KS1_S1_Ev17rocblas_diagonal_iiT6_lPT7_lllS6_lllPT8_llli,"axG",@progbits,_ZL30rocblas_trmm_outofplace_kernelI19rocblas_complex_numIfELi32ELi2ELb0ELb1ELb1ELb0ES1_KS1_S1_Ev17rocblas_diagonal_iiT6_lPT7_lllS6_lllPT8_llli,comdat
.Lfunc_end91:
	.size	_ZL30rocblas_trmm_outofplace_kernelI19rocblas_complex_numIfELi32ELi2ELb0ELb1ELb1ELb0ES1_KS1_S1_Ev17rocblas_diagonal_iiT6_lPT7_lllS6_lllPT8_llli, .Lfunc_end91-_ZL30rocblas_trmm_outofplace_kernelI19rocblas_complex_numIfELi32ELi2ELb0ELb1ELb1ELb0ES1_KS1_S1_Ev17rocblas_diagonal_iiT6_lPT7_lllS6_lllPT8_llli
                                        ; -- End function
	.set _ZL30rocblas_trmm_outofplace_kernelI19rocblas_complex_numIfELi32ELi2ELb0ELb1ELb1ELb0ES1_KS1_S1_Ev17rocblas_diagonal_iiT6_lPT7_lllS6_lllPT8_llli.num_vgpr, 95
	.set _ZL30rocblas_trmm_outofplace_kernelI19rocblas_complex_numIfELi32ELi2ELb0ELb1ELb1ELb0ES1_KS1_S1_Ev17rocblas_diagonal_iiT6_lPT7_lllS6_lllPT8_llli.num_agpr, 0
	.set _ZL30rocblas_trmm_outofplace_kernelI19rocblas_complex_numIfELi32ELi2ELb0ELb1ELb1ELb0ES1_KS1_S1_Ev17rocblas_diagonal_iiT6_lPT7_lllS6_lllPT8_llli.numbered_sgpr, 66
	.set _ZL30rocblas_trmm_outofplace_kernelI19rocblas_complex_numIfELi32ELi2ELb0ELb1ELb1ELb0ES1_KS1_S1_Ev17rocblas_diagonal_iiT6_lPT7_lllS6_lllPT8_llli.num_named_barrier, 0
	.set _ZL30rocblas_trmm_outofplace_kernelI19rocblas_complex_numIfELi32ELi2ELb0ELb1ELb1ELb0ES1_KS1_S1_Ev17rocblas_diagonal_iiT6_lPT7_lllS6_lllPT8_llli.private_seg_size, 0
	.set _ZL30rocblas_trmm_outofplace_kernelI19rocblas_complex_numIfELi32ELi2ELb0ELb1ELb1ELb0ES1_KS1_S1_Ev17rocblas_diagonal_iiT6_lPT7_lllS6_lllPT8_llli.uses_vcc, 1
	.set _ZL30rocblas_trmm_outofplace_kernelI19rocblas_complex_numIfELi32ELi2ELb0ELb1ELb1ELb0ES1_KS1_S1_Ev17rocblas_diagonal_iiT6_lPT7_lllS6_lllPT8_llli.uses_flat_scratch, 0
	.set _ZL30rocblas_trmm_outofplace_kernelI19rocblas_complex_numIfELi32ELi2ELb0ELb1ELb1ELb0ES1_KS1_S1_Ev17rocblas_diagonal_iiT6_lPT7_lllS6_lllPT8_llli.has_dyn_sized_stack, 0
	.set _ZL30rocblas_trmm_outofplace_kernelI19rocblas_complex_numIfELi32ELi2ELb0ELb1ELb1ELb0ES1_KS1_S1_Ev17rocblas_diagonal_iiT6_lPT7_lllS6_lllPT8_llli.has_recursion, 0
	.set _ZL30rocblas_trmm_outofplace_kernelI19rocblas_complex_numIfELi32ELi2ELb0ELb1ELb1ELb0ES1_KS1_S1_Ev17rocblas_diagonal_iiT6_lPT7_lllS6_lllPT8_llli.has_indirect_call, 0
	.section	.AMDGPU.csdata,"",@progbits
; Kernel info:
; codeLenInByte = 7576
; TotalNumSgprs: 68
; NumVgprs: 95
; ScratchSize: 0
; MemoryBound: 1
; FloatMode: 240
; IeeeMode: 1
; LDSByteSize: 16384 bytes/workgroup (compile time only)
; SGPRBlocks: 0
; VGPRBlocks: 5
; NumSGPRsForWavesPerEU: 68
; NumVGPRsForWavesPerEU: 95
; NamedBarCnt: 0
; Occupancy: 10
; WaveLimiterHint : 0
; COMPUTE_PGM_RSRC2:SCRATCH_EN: 0
; COMPUTE_PGM_RSRC2:USER_SGPR: 2
; COMPUTE_PGM_RSRC2:TRAP_HANDLER: 0
; COMPUTE_PGM_RSRC2:TGID_X_EN: 1
; COMPUTE_PGM_RSRC2:TGID_Y_EN: 1
; COMPUTE_PGM_RSRC2:TGID_Z_EN: 1
; COMPUTE_PGM_RSRC2:TIDIG_COMP_CNT: 1
	.section	.text._ZL30rocblas_trmm_outofplace_kernelI19rocblas_complex_numIfELi32ELi2ELb0ELb0ELb1ELb1EPKS1_S2_S1_Ev17rocblas_diagonal_iiT6_lPT7_lllS7_lllPT8_llli,"axG",@progbits,_ZL30rocblas_trmm_outofplace_kernelI19rocblas_complex_numIfELi32ELi2ELb0ELb0ELb1ELb1EPKS1_S2_S1_Ev17rocblas_diagonal_iiT6_lPT7_lllS7_lllPT8_llli,comdat
	.globl	_ZL30rocblas_trmm_outofplace_kernelI19rocblas_complex_numIfELi32ELi2ELb0ELb0ELb1ELb1EPKS1_S2_S1_Ev17rocblas_diagonal_iiT6_lPT7_lllS7_lllPT8_llli ; -- Begin function _ZL30rocblas_trmm_outofplace_kernelI19rocblas_complex_numIfELi32ELi2ELb0ELb0ELb1ELb1EPKS1_S2_S1_Ev17rocblas_diagonal_iiT6_lPT7_lllS7_lllPT8_llli
	.p2align	8
	.type	_ZL30rocblas_trmm_outofplace_kernelI19rocblas_complex_numIfELi32ELi2ELb0ELb0ELb1ELb1EPKS1_S2_S1_Ev17rocblas_diagonal_iiT6_lPT7_lllS7_lllPT8_llli,@function
_ZL30rocblas_trmm_outofplace_kernelI19rocblas_complex_numIfELi32ELi2ELb0ELb0ELb1ELb1EPKS1_S2_S1_Ev17rocblas_diagonal_iiT6_lPT7_lllS7_lllPT8_llli: ; @_ZL30rocblas_trmm_outofplace_kernelI19rocblas_complex_numIfELi32ELi2ELb0ELb0ELb1ELb1EPKS1_S2_S1_Ev17rocblas_diagonal_iiT6_lPT7_lllS7_lllPT8_llli
; %bb.0:
	s_load_b32 s33, s[0:1], 0x80
	s_bfe_u32 s2, ttmp6, 0x40014
	s_lshr_b32 s3, ttmp7, 16
	s_add_co_i32 s2, s2, 1
	s_bfe_u32 s5, ttmp6, 0x40008
	s_mul_i32 s4, s3, s2
	s_getreg_b32 s2, hwreg(HW_REG_IB_STS2, 6, 4)
	s_add_co_i32 s5, s5, s4
	s_cmp_eq_u32 s2, 0
	s_mov_b32 s35, 0
	s_cselect_b32 s34, s3, s5
	s_wait_kmcnt 0x0
	s_cmp_ge_u32 s34, s33
	s_cbranch_scc1 .LBB92_63
; %bb.1:
	s_clause 0x3
	s_load_b96 s[36:38], s[0:1], 0x0
	s_load_b512 s[12:27], s[0:1], 0x10
	s_load_b128 s[28:31], s[0:1], 0x70
	s_load_b256 s[4:11], s[0:1], 0x50
	s_bfe_u32 s39, ttmp6, 0x4000c
	s_and_b32 s3, ttmp6, 15
	s_add_co_i32 s39, s39, 1
	s_bfe_u32 s41, ttmp6, 0x40010
	s_mul_i32 s39, ttmp9, s39
	s_and_b32 s40, ttmp7, 0xffff
	s_add_co_i32 s3, s3, s39
	s_add_co_i32 s41, s41, 1
	s_bfe_u32 s42, ttmp6, 0x40004
	s_mul_i32 s41, s40, s41
	v_and_b32_e32 v16, 0x3ff, v0
	v_bfe_u32 v18, v0, 10, 10
	v_mov_b32_e32 v17, 0
	s_add_co_i32 s42, s42, s41
	v_mov_b64_e32 v[36:37], 0
	v_mov_b64_e32 v[38:39], 0x3f800000
	s_wait_kmcnt 0x0
	s_add_co_i32 s43, s38, -1
	v_lshlrev_b32_e32 v71, 8, v18
	s_ashr_i32 s39, s43, 31
	s_lshl_b64 s[10:11], s[10:11], 3
	s_lshr_b32 s39, s39, 27
	v_dual_mov_b32 v19, v17 :: v_dual_lshlrev_b32 v0, 3, v18
	s_add_co_i32 s43, s43, s39
	v_mul_u64_e32 v[2:3], s[20:21], v[16:17]
	s_ashr_i32 s39, s43, 5
	s_cmp_eq_u32 s2, 0
	v_mul_u64_e32 v[4:5], s[4:5], v[18:19]
	s_cselect_b32 s2, ttmp9, s3
	v_lshlrev_b32_e32 v8, 3, v16
	v_lshl_add_u32 v20, s2, 5, v16
	v_mov_b32_e32 v1, v17
	s_cselect_b32 s44, s40, s42
	s_mov_b32 s2, s37
	s_cmp_le_i32 s44, s39
	v_ashrrev_i32_e32 v21, 31, v20
	v_add_nc_u64_e32 v[0:1], 0x80, v[0:1]
	v_or_b32_e32 v75, 0x2000, v8
	s_cselect_b32 s45, -1, 0
	s_cmp_eq_u32 s36, 0x84
	v_add_nc_u32_e32 v26, 16, v20
	s_cselect_b32 s46, -1, 0
	s_ashr_i32 s3, s37, 31
	v_mul_u64_e32 v[22:23], s[4:5], v[0:1]
	v_add_nc_u32_e32 v77, v75, v71
	v_dual_add_nc_u32 v73, v71, v8 :: v_dual_ashrrev_i32 v27, 31, v26
	v_add_nc_u32_e32 v8, 0x80, v8
	v_sub_nc_u64_e32 v[6:7], s[2:3], v[20:21]
	s_lshl_b64 s[2:3], s[18:19], 3
	s_add_nc_u64 s[10:11], s[8:9], s[10:11]
	s_add_nc_u64 s[8:9], s[16:17], s[2:3]
	s_lshl_b64 s[18:19], s[4:5], 8
	v_mad_nc_u64_u32 v[24:25], s20, v8, s[8:9]
	s_lshl_b64 s[4:5], s[26:27], 3
	s_add_nc_u64 s[42:43], s[0:1], 0x88
	v_cmp_gt_i64_e64 s0, 1, v[6:7]
	v_cmp_gt_i64_e64 s1, 17, v[6:7]
	v_sub_nc_u64_e32 v[28:29], 0, v[16:17]
	s_add_nc_u64 s[4:5], s[24:25], s[4:5]
	v_cmp_gt_i32_e64 s2, s37, v20
	v_cmp_gt_i32_e64 s3, s37, v26
	v_lshl_add_u32 v79, s44, 5, v18
	v_lshl_add_u64 v[30:31], v[2:3], 3, s[8:9]
	v_mad_u32 v25, s21, v8, v25
	v_lshl_add_u64 v[32:33], v[4:5], 3, 0x80
	v_lshl_add_u64 v[34:35], v[20:21], 3, s[4:5]
	v_add_nc_u32_e32 v81, 0x800, v75
	v_add_nc_u32_e32 v82, 0x1000, v75
	;; [unrolled: 1-line block ×3, first 2 shown]
	s_ashr_i32 s41, s38, 31
	s_mov_b32 s40, s38
	s_lshl_b64 s[16:17], s[20:21], 8
	s_add_nc_u64 s[20:21], s[40:41], -16
	s_lshl_b64 s[22:23], s[22:23], 3
	s_lshl_b64 s[24:25], s[6:7], 3
	s_branch .LBB92_4
.LBB92_2:                               ;   in Loop: Header=BB92_4 Depth=1
	s_add_co_i32 s34, s34, 0x10000
	s_delay_alu instid0(SALU_CYCLE_1)
	s_cmp_ge_u32 s34, s33
	s_cselect_b32 s4, -1, 0
.LBB92_3:                               ;   in Loop: Header=BB92_4 Depth=1
	s_delay_alu instid0(SALU_CYCLE_1)
	s_and_b32 vcc_lo, exec_lo, s4
	s_cbranch_vccnz .LBB92_63
.LBB92_4:                               ; =>This Loop Header: Depth=1
                                        ;     Child Loop BB92_8 Depth 2
                                        ;       Child Loop BB92_11 Depth 3
	s_mul_u64 s[4:5], s[14:15], s[34:35]
	s_delay_alu instid0(SALU_CYCLE_1) | instskip(NEXT) | instid1(SALU_CYCLE_1)
	s_lshl_b64 s[4:5], s[4:5], 3
	s_add_nc_u64 s[4:5], s[12:13], s[4:5]
	global_load_b64 v[40:41], v17, s[4:5]
	s_wait_xcnt 0x0
	s_mov_b32 s4, -1
	s_wait_loadcnt 0x0
	v_or_b32_e32 v0, v40, v41
	s_delay_alu instid0(VALU_DEP_1) | instskip(NEXT) | instid1(VALU_DEP_1)
	v_and_b32_e32 v0, 0x7fffffff, v0
	v_cmp_eq_u32_e32 vcc_lo, 0, v0
	s_cbranch_vccnz .LBB92_3
; %bb.5:                                ;   in Loop: Header=BB92_4 Depth=1
	s_and_not1_b32 vcc_lo, exec_lo, s45
	s_cbranch_vccnz .LBB92_2
; %bb.6:                                ;   in Loop: Header=BB92_4 Depth=1
	s_load_b32 s47, s[42:43], 0x4
	v_mad_nc_u64_u32 v[42:43], s24, s34, v[34:35]
	v_mad_nc_u64_u32 v[44:45], s22, s34, v[24:25]
	;; [unrolled: 1-line block ×3, first 2 shown]
	s_mul_i32 s6, s23, s34
	s_mul_u64 s[4:5], s[30:31], s[34:35]
	v_dual_mov_b32 v48, v41 :: v_dual_mov_b32 v49, v40
	v_mov_b32_e32 v50, v79
	s_lshl_b64 s[4:5], s[4:5], 3
	s_mov_b32 s49, s44
	s_add_nc_u64 s[26:27], s[10:11], s[4:5]
	v_mad_u32 v43, s25, s34, v43
	s_delay_alu instid0(VALU_DEP_4)
	v_dual_add_nc_u32 v45, s6, v45 :: v_dual_add_nc_u32 v47, s6, v47
	s_wait_kmcnt 0x0
	s_lshl_b32 s48, s47, 5
	s_branch .LBB92_8
.LBB92_7:                               ;   in Loop: Header=BB92_8 Depth=2
	s_wait_xcnt 0x0
	s_or_b32 exec_lo, exec_lo, s4
	v_add_nc_u32_e32 v50, s48, v50
	s_add_co_i32 s49, s47, s49
	s_delay_alu instid0(SALU_CYCLE_1)
	s_cmp_gt_i32 s49, s39
	s_cbranch_scc1 .LBB92_2
.LBB92_8:                               ;   Parent Loop BB92_4 Depth=1
                                        ; =>  This Loop Header: Depth=2
                                        ;       Child Loop BB92_11 Depth 3
	s_lshl_b32 s50, s49, 5
	s_delay_alu instid0(SALU_CYCLE_1) | instskip(SKIP_2) | instid1(VALU_DEP_3)
	v_dual_mov_b32 v78, 0 :: v_dual_add_nc_u32 v52, s50, v18
	v_dual_mov_b32 v80, 0 :: v_dual_mov_b32 v74, 0
	v_dual_mov_b32 v76, 0 :: v_dual_mov_b32 v70, 0
	v_dual_mov_b32 v72, 0 :: v_dual_ashrrev_i32 v53, 31, v52
	v_dual_mov_b32 v14, 0 :: v_dual_mov_b32 v12, 0
	s_cmp_lt_i32 s49, 0
	s_cbranch_scc1 .LBB92_55
; %bb.9:                                ;   in Loop: Header=BB92_8 Depth=2
	v_dual_mov_b32 v12, 0 :: v_dual_ashrrev_i32 v51, 31, v50
	v_add_nc_u64_e32 v[54:55], 16, v[52:53]
	v_mov_b64_e32 v[58:59], v[42:43]
	v_mov_b64_e32 v[60:61], v[46:47]
	s_delay_alu instid0(VALU_DEP_4)
	v_add_nc_u64_e32 v[56:57], v[28:29], v[50:51]
	v_mov_b64_e32 v[62:63], v[44:45]
	v_lshlrev_b64_e32 v[64:65], 3, v[50:51]
	v_dual_mov_b32 v14, 0 :: v_dual_mov_b32 v72, 0
	v_cmp_le_i64_e64 s4, s[40:41], v[54:55]
	v_dual_mov_b32 v70, 0 :: v_dual_mov_b32 v76, 0
	v_add_nc_u64_e32 v[66:67], 16, v[56:57]
	v_add_nc_u64_e32 v[68:69], -16, v[56:57]
	v_dual_mov_b32 v74, 0 :: v_dual_mov_b32 v80, 0
	v_mov_b32_e32 v78, 0
	s_mov_b64 s[36:37], 0
	v_cmp_le_i32_e32 vcc_lo, s38, v52
	s_branch .LBB92_11
.LBB92_10:                              ;   in Loop: Header=BB92_11 Depth=3
	s_or_b32 exec_lo, exec_lo, s5
	s_wait_dscnt 0x0
	s_barrier_signal -1
	s_barrier_wait -1
	ds_load_b128 v[84:87], v71
	ds_load_b128 v[8:11], v71 offset:16
	ds_load_b128 v[4:7], v71 offset:32
	;; [unrolled: 1-line block ×3, first 2 shown]
	ds_load_2addr_b64 v[88:91], v75 offset1:16
	ds_load_b128 v[92:95], v71 offset:4096
	v_add_nc_u64_e32 v[62:63], s[16:17], v[62:63]
	v_add_nc_u64_e32 v[60:61], s[16:17], v[60:61]
	;; [unrolled: 1-line block ×3, first 2 shown]
	s_add_nc_u64 s[36:37], s[36:37], 32
	s_delay_alu instid0(SALU_CYCLE_1) | instskip(NEXT) | instid1(SALU_CYCLE_1)
	s_sub_co_i32 s5, s36, 32
	s_cmp_ge_i32 s5, s50
	s_wait_dscnt 0x1
	v_dual_mul_f32 v13, v85, v89 :: v_dual_mul_f32 v15, v84, v89
	s_delay_alu instid0(VALU_DEP_1) | instskip(NEXT) | instid1(VALU_DEP_1)
	v_dual_fma_f32 v13, v84, v88, -v13 :: v_dual_fmac_f32 v15, v85, v88
	v_dual_add_f32 v51, v78, v13 :: v_dual_add_f32 v78, v80, v15
	v_dual_mul_f32 v13, v85, v91 :: v_dual_mul_f32 v15, v84, v91
	s_delay_alu instid0(VALU_DEP_1) | instskip(NEXT) | instid1(VALU_DEP_1)
	v_dual_fma_f32 v13, v84, v90, -v13 :: v_dual_fmac_f32 v15, v85, v90
	v_dual_add_f32 v74, v74, v13 :: v_dual_add_f32 v76, v76, v15
	s_wait_dscnt 0x0
	v_dual_mul_f32 v13, v93, v89 :: v_dual_mul_f32 v15, v92, v89
	s_delay_alu instid0(VALU_DEP_1) | instskip(NEXT) | instid1(VALU_DEP_1)
	v_dual_fma_f32 v13, v92, v88, -v13 :: v_dual_fmac_f32 v15, v93, v88
	v_dual_add_f32 v70, v70, v13 :: v_dual_add_f32 v72, v72, v15
	v_dual_mul_f32 v13, v93, v91 :: v_dual_mul_f32 v15, v92, v91
	s_delay_alu instid0(VALU_DEP_1) | instskip(NEXT) | instid1(VALU_DEP_1)
	v_dual_fma_f32 v13, v92, v90, -v13 :: v_dual_fmac_f32 v15, v93, v90
	v_dual_add_f32 v80, v14, v13 :: v_dual_add_f32 v84, v12, v15
	ds_load_2addr_b64 v[12:15], v75 offset0:32 offset1:48
	s_wait_dscnt 0x0
	v_dual_mul_f32 v85, v87, v13 :: v_dual_mul_f32 v88, v86, v13
	s_delay_alu instid0(VALU_DEP_1) | instskip(NEXT) | instid1(VALU_DEP_1)
	v_dual_fma_f32 v85, v86, v12, -v85 :: v_dual_fmac_f32 v88, v87, v12
	v_dual_add_f32 v51, v51, v85 :: v_dual_add_f32 v78, v78, v88
	v_mul_f32_e32 v85, v87, v15
	s_delay_alu instid0(VALU_DEP_1) | instskip(NEXT) | instid1(VALU_DEP_1)
	v_dual_fma_f32 v85, v86, v14, -v85 :: v_dual_mul_f32 v86, v86, v15
	v_dual_fmac_f32 v86, v87, v14 :: v_dual_add_f32 v74, v74, v85
	v_dual_mul_f32 v85, v95, v13 :: v_dual_mul_f32 v13, v94, v13
	s_delay_alu instid0(VALU_DEP_1) | instskip(NEXT) | instid1(VALU_DEP_2)
	v_dual_add_f32 v76, v76, v86 :: v_dual_fmac_f32 v13, v95, v12
	v_dual_fma_f32 v85, v94, v12, -v85 :: v_dual_mul_f32 v12, v95, v15
	s_delay_alu instid0(VALU_DEP_2) | instskip(NEXT) | instid1(VALU_DEP_2)
	v_dual_add_f32 v72, v72, v13 :: v_dual_mul_f32 v13, v94, v15
	v_fma_f32 v12, v94, v14, -v12
	s_delay_alu instid0(VALU_DEP_2) | instskip(NEXT) | instid1(VALU_DEP_1)
	v_dual_add_f32 v70, v70, v85 :: v_dual_fmac_f32 v13, v95, v14
	v_add_f32_e32 v88, v84, v13
	ds_load_2addr_b64 v[84:87], v75 offset0:64 offset1:80
	s_wait_dscnt 0x0
	v_dual_add_f32 v80, v80, v12 :: v_dual_mul_f32 v12, v9, v85
	s_delay_alu instid0(VALU_DEP_1) | instskip(NEXT) | instid1(VALU_DEP_1)
	v_dual_mul_f32 v13, v8, v85 :: v_dual_fma_f32 v12, v8, v84, -v12
	v_fmac_f32_e32 v13, v9, v84
	s_delay_alu instid0(VALU_DEP_1) | instskip(SKIP_1) | instid1(VALU_DEP_1)
	v_dual_add_f32 v51, v51, v12 :: v_dual_add_f32 v78, v78, v13
	v_mul_f32_e32 v12, v9, v87
	v_dual_fma_f32 v12, v8, v86, -v12 :: v_dual_mul_f32 v8, v8, v87
	s_delay_alu instid0(VALU_DEP_1) | instskip(SKIP_3) | instid1(VALU_DEP_1)
	v_dual_fmac_f32 v8, v9, v86 :: v_dual_add_f32 v9, v74, v12
	ds_load_b128 v[12:15], v71 offset:4112
	s_wait_dscnt 0x0
	v_mul_f32_e32 v74, v13, v85
	v_fma_f32 v74, v12, v84, -v74
	v_add_f32_e32 v8, v76, v8
	s_delay_alu instid0(VALU_DEP_2) | instskip(NEXT) | instid1(VALU_DEP_1)
	v_dual_mul_f32 v76, v12, v85 :: v_dual_add_f32 v70, v70, v74
	v_dual_mul_f32 v74, v13, v87 :: v_dual_fmac_f32 v76, v13, v84
	s_delay_alu instid0(VALU_DEP_1) | instskip(NEXT) | instid1(VALU_DEP_1)
	v_dual_fma_f32 v74, v12, v86, -v74 :: v_dual_mul_f32 v12, v12, v87
	v_dual_add_f32 v72, v72, v76 :: v_dual_fmac_f32 v12, v13, v86
	ds_load_2addr_b64 v[84:87], v75 offset0:96 offset1:112
	v_add_f32_e32 v13, v80, v74
	s_wait_dscnt 0x0
	v_dual_add_f32 v12, v88, v12 :: v_dual_mul_f32 v76, v10, v85
	s_delay_alu instid0(VALU_DEP_1) | instskip(NEXT) | instid1(VALU_DEP_1)
	v_dual_mul_f32 v74, v11, v85 :: v_dual_fmac_f32 v76, v11, v84
	v_fma_f32 v74, v10, v84, -v74
	s_delay_alu instid0(VALU_DEP_1) | instskip(SKIP_1) | instid1(VALU_DEP_1)
	v_dual_add_f32 v51, v51, v74 :: v_dual_add_f32 v74, v78, v76
	v_mul_f32_e32 v76, v11, v87
	v_dual_fma_f32 v76, v10, v86, -v76 :: v_dual_mul_f32 v10, v10, v87
	s_delay_alu instid0(VALU_DEP_1) | instskip(NEXT) | instid1(VALU_DEP_1)
	v_dual_fmac_f32 v10, v11, v86 :: v_dual_add_f32 v76, v9, v76
	v_dual_mul_f32 v9, v14, v85 :: v_dual_add_f32 v78, v8, v10
	s_delay_alu instid0(VALU_DEP_1) | instskip(NEXT) | instid1(VALU_DEP_1)
	v_dual_mul_f32 v8, v15, v85 :: v_dual_fmac_f32 v9, v15, v84
	v_dual_fma_f32 v8, v14, v84, -v8 :: v_dual_add_f32 v72, v72, v9
	v_mul_f32_e32 v9, v14, v87
	s_delay_alu instid0(VALU_DEP_2) | instskip(NEXT) | instid1(VALU_DEP_1)
	v_dual_add_f32 v70, v70, v8 :: v_dual_mul_f32 v8, v15, v87
	v_dual_fmac_f32 v9, v15, v86 :: v_dual_fma_f32 v8, v14, v86, -v8
	s_delay_alu instid0(VALU_DEP_1) | instskip(SKIP_3) | instid1(VALU_DEP_1)
	v_dual_add_f32 v84, v12, v9 :: v_dual_add_f32 v80, v13, v8
	ds_load_2addr_b64 v[8:11], v75 offset0:128 offset1:144
	s_wait_dscnt 0x0
	v_dual_mul_f32 v12, v5, v9 :: v_dual_mul_f32 v13, v4, v9
	v_dual_fma_f32 v12, v4, v8, -v12 :: v_dual_fmac_f32 v13, v5, v8
	s_delay_alu instid0(VALU_DEP_1) | instskip(SKIP_1) | instid1(VALU_DEP_1)
	v_dual_add_f32 v51, v51, v12 :: v_dual_add_f32 v74, v74, v13
	v_mul_f32_e32 v12, v5, v11
	v_dual_fma_f32 v12, v4, v10, -v12 :: v_dual_mul_f32 v4, v4, v11
	s_delay_alu instid0(VALU_DEP_1) | instskip(NEXT) | instid1(VALU_DEP_1)
	v_fmac_f32_e32 v4, v5, v10
	v_add_f32_e32 v4, v78, v4
	s_delay_alu instid0(VALU_DEP_3) | instskip(SKIP_3) | instid1(VALU_DEP_1)
	v_add_f32_e32 v5, v76, v12
	ds_load_b128 v[12:15], v71 offset:4128
	s_wait_dscnt 0x0
	v_dual_mul_f32 v76, v13, v9 :: v_dual_mul_f32 v9, v12, v9
	v_dual_fma_f32 v76, v12, v8, -v76 :: v_dual_fmac_f32 v9, v13, v8
	s_delay_alu instid0(VALU_DEP_1) | instskip(NEXT) | instid1(VALU_DEP_2)
	v_dual_mul_f32 v8, v13, v11 :: v_dual_add_f32 v70, v70, v76
	v_add_f32_e32 v72, v72, v9
	s_delay_alu instid0(VALU_DEP_2) | instskip(NEXT) | instid1(VALU_DEP_1)
	v_dual_mul_f32 v9, v12, v11 :: v_dual_fma_f32 v8, v12, v10, -v8
	v_dual_fmac_f32 v9, v13, v10 :: v_dual_add_f32 v12, v80, v8
	s_delay_alu instid0(VALU_DEP_1) | instskip(SKIP_3) | instid1(VALU_DEP_1)
	v_add_f32_e32 v13, v84, v9
	ds_load_2addr_b64 v[8:11], v75 offset0:160 offset1:176
	s_wait_dscnt 0x0
	v_mul_f32_e32 v76, v7, v9
	v_dual_fma_f32 v76, v6, v8, -v76 :: v_dual_mul_f32 v78, v6, v9
	s_delay_alu instid0(VALU_DEP_1) | instskip(NEXT) | instid1(VALU_DEP_2)
	v_add_f32_e32 v51, v51, v76
	v_dual_fmac_f32 v78, v7, v8 :: v_dual_mul_f32 v76, v7, v11
	s_delay_alu instid0(VALU_DEP_1) | instskip(NEXT) | instid1(VALU_DEP_1)
	v_dual_fma_f32 v76, v6, v10, -v76 :: v_dual_mul_f32 v6, v6, v11
	v_dual_add_f32 v74, v74, v78 :: v_dual_add_f32 v76, v5, v76
	s_delay_alu instid0(VALU_DEP_2) | instskip(NEXT) | instid1(VALU_DEP_1)
	v_dual_fmac_f32 v6, v7, v10 :: v_dual_mul_f32 v5, v14, v9
	v_dual_add_f32 v78, v4, v6 :: v_dual_mul_f32 v4, v15, v9
	s_delay_alu instid0(VALU_DEP_1) | instskip(NEXT) | instid1(VALU_DEP_1)
	v_fma_f32 v4, v14, v8, -v4
	v_dual_add_f32 v70, v70, v4 :: v_dual_mul_f32 v4, v15, v11
	s_delay_alu instid0(VALU_DEP_1) | instskip(NEXT) | instid1(VALU_DEP_1)
	v_dual_fmac_f32 v5, v15, v8 :: v_dual_fma_f32 v4, v14, v10, -v4
	v_dual_add_f32 v72, v72, v5 :: v_dual_mul_f32 v5, v14, v11
	s_delay_alu instid0(VALU_DEP_1) | instskip(NEXT) | instid1(VALU_DEP_1)
	v_dual_add_f32 v12, v12, v4 :: v_dual_fmac_f32 v5, v15, v10
	v_add_f32_e32 v13, v13, v5
	ds_load_2addr_b64 v[4:7], v75 offset0:192 offset1:208
	s_wait_dscnt 0x0
	v_dual_mul_f32 v9, v0, v5 :: v_dual_mul_f32 v8, v1, v5
	s_delay_alu instid0(VALU_DEP_1) | instskip(NEXT) | instid1(VALU_DEP_1)
	v_dual_fmac_f32 v9, v1, v4 :: v_dual_fma_f32 v8, v0, v4, -v8
	v_dual_add_f32 v15, v74, v9 :: v_dual_add_f32 v14, v51, v8
	v_mul_f32_e32 v8, v1, v7
	s_delay_alu instid0(VALU_DEP_1) | instskip(NEXT) | instid1(VALU_DEP_1)
	v_dual_fma_f32 v8, v0, v6, -v8 :: v_dual_mul_f32 v0, v0, v7
	v_fmac_f32_e32 v0, v1, v6
	s_delay_alu instid0(VALU_DEP_1) | instskip(NEXT) | instid1(VALU_DEP_3)
	v_add_f32_e32 v0, v78, v0
	v_add_f32_e32 v1, v76, v8
	ds_load_b128 v[8:11], v71 offset:4144
	s_wait_dscnt 0x0
	v_dual_mul_f32 v51, v9, v5 :: v_dual_mul_f32 v5, v8, v5
	s_delay_alu instid0(VALU_DEP_1) | instskip(SKIP_1) | instid1(VALU_DEP_2)
	v_dual_fma_f32 v51, v8, v4, -v51 :: v_dual_fmac_f32 v5, v9, v4
	v_mul_f32_e32 v4, v9, v7
	v_dual_add_f32 v51, v70, v51 :: v_dual_add_f32 v70, v72, v5
	s_delay_alu instid0(VALU_DEP_2) | instskip(NEXT) | instid1(VALU_DEP_1)
	v_dual_mul_f32 v5, v8, v7 :: v_dual_fma_f32 v4, v8, v6, -v4
	v_dual_fmac_f32 v5, v9, v6 :: v_dual_add_f32 v8, v12, v4
	s_delay_alu instid0(VALU_DEP_1) | instskip(SKIP_3) | instid1(VALU_DEP_1)
	v_add_f32_e32 v9, v13, v5
	ds_load_2addr_b64 v[4:7], v75 offset0:224 offset1:240
	s_wait_dscnt 0x0
	v_dual_mul_f32 v12, v3, v5 :: v_dual_mul_f32 v13, v2, v5
	v_dual_fma_f32 v12, v2, v4, -v12 :: v_dual_fmac_f32 v13, v3, v4
	s_delay_alu instid0(VALU_DEP_1) | instskip(SKIP_1) | instid1(VALU_DEP_1)
	v_dual_add_f32 v12, v14, v12 :: v_dual_add_f32 v13, v15, v13
	v_mul_f32_e32 v14, v3, v7
	v_dual_fma_f32 v14, v2, v6, -v14 :: v_dual_mul_f32 v2, v2, v7
	s_delay_alu instid0(VALU_DEP_1) | instskip(NEXT) | instid1(VALU_DEP_1)
	v_fmac_f32_e32 v2, v3, v6
	v_dual_add_f32 v15, v0, v2 :: v_dual_mul_f32 v0, v11, v5
	s_delay_alu instid0(VALU_DEP_3) | instskip(NEXT) | instid1(VALU_DEP_1)
	v_dual_add_f32 v14, v1, v14 :: v_dual_mul_f32 v1, v10, v5
	v_dual_fma_f32 v0, v10, v4, -v0 :: v_dual_fmac_f32 v1, v11, v4
	s_delay_alu instid0(VALU_DEP_1) | instskip(NEXT) | instid1(VALU_DEP_2)
	v_add_f32_e32 v51, v51, v0
	v_dual_mul_f32 v0, v11, v7 :: v_dual_add_f32 v70, v70, v1
	s_delay_alu instid0(VALU_DEP_1) | instskip(NEXT) | instid1(VALU_DEP_1)
	v_dual_mul_f32 v1, v10, v7 :: v_dual_fma_f32 v0, v10, v6, -v0
	v_dual_fmac_f32 v1, v11, v6 :: v_dual_add_f32 v72, v8, v0
	s_delay_alu instid0(VALU_DEP_1) | instskip(SKIP_4) | instid1(VALU_DEP_1)
	v_add_f32_e32 v74, v9, v1
	ds_load_b128 v[0:3], v71 offset:64
	ds_load_2addr_b64 v[4:7], v81 offset1:16
	s_wait_dscnt 0x0
	v_dual_mul_f32 v8, v1, v5 :: v_dual_mul_f32 v9, v0, v5
	v_dual_fma_f32 v8, v0, v4, -v8 :: v_dual_fmac_f32 v9, v1, v4
	s_delay_alu instid0(VALU_DEP_1) | instskip(SKIP_1) | instid1(VALU_DEP_1)
	v_dual_add_f32 v12, v12, v8 :: v_dual_add_f32 v13, v13, v9
	v_mul_f32_e32 v8, v1, v7
	v_dual_fma_f32 v8, v0, v6, -v8 :: v_dual_mul_f32 v0, v0, v7
	s_delay_alu instid0(VALU_DEP_1) | instskip(NEXT) | instid1(VALU_DEP_1)
	v_fmac_f32_e32 v0, v1, v6
	v_add_f32_e32 v0, v15, v0
	s_delay_alu instid0(VALU_DEP_3) | instskip(SKIP_3) | instid1(VALU_DEP_1)
	v_add_f32_e32 v1, v14, v8
	ds_load_b128 v[8:11], v71 offset:4160
	s_wait_dscnt 0x0
	v_dual_mul_f32 v14, v9, v5 :: v_dual_mul_f32 v5, v8, v5
	v_dual_fma_f32 v14, v8, v4, -v14 :: v_dual_fmac_f32 v5, v9, v4
	s_delay_alu instid0(VALU_DEP_1) | instskip(NEXT) | instid1(VALU_DEP_2)
	v_dual_mul_f32 v4, v9, v7 :: v_dual_add_f32 v14, v51, v14
	v_dual_add_f32 v15, v70, v5 :: v_dual_mul_f32 v5, v8, v7
	s_delay_alu instid0(VALU_DEP_1) | instskip(NEXT) | instid1(VALU_DEP_1)
	v_dual_fma_f32 v4, v8, v6, -v4 :: v_dual_fmac_f32 v5, v9, v6
	v_dual_add_f32 v8, v72, v4 :: v_dual_add_f32 v9, v74, v5
	ds_load_2addr_b64 v[4:7], v81 offset0:32 offset1:48
	s_wait_dscnt 0x0
	v_dual_mul_f32 v51, v3, v5 :: v_dual_mul_f32 v70, v2, v5
	s_delay_alu instid0(VALU_DEP_1) | instskip(NEXT) | instid1(VALU_DEP_1)
	v_dual_fma_f32 v51, v2, v4, -v51 :: v_dual_fmac_f32 v70, v3, v4
	v_dual_add_f32 v12, v12, v51 :: v_dual_add_f32 v13, v13, v70
	v_mul_f32_e32 v51, v3, v7
	s_delay_alu instid0(VALU_DEP_1) | instskip(NEXT) | instid1(VALU_DEP_1)
	v_dual_fma_f32 v51, v2, v6, -v51 :: v_dual_mul_f32 v2, v2, v7
	v_dual_fmac_f32 v2, v3, v6 :: v_dual_add_f32 v51, v1, v51
	s_delay_alu instid0(VALU_DEP_1) | instskip(NEXT) | instid1(VALU_DEP_1)
	v_dual_mul_f32 v1, v10, v5 :: v_dual_add_f32 v70, v0, v2
	v_dual_mul_f32 v0, v11, v5 :: v_dual_fmac_f32 v1, v11, v4
	s_delay_alu instid0(VALU_DEP_1) | instskip(SKIP_1) | instid1(VALU_DEP_2)
	v_dual_fma_f32 v0, v10, v4, -v0 :: v_dual_add_f32 v15, v15, v1
	v_mul_f32_e32 v1, v10, v7
	v_dual_add_f32 v14, v14, v0 :: v_dual_mul_f32 v0, v11, v7
	s_delay_alu instid0(VALU_DEP_1) | instskip(NEXT) | instid1(VALU_DEP_1)
	v_dual_fmac_f32 v1, v11, v6 :: v_dual_fma_f32 v0, v10, v6, -v0
	v_dual_add_f32 v74, v9, v1 :: v_dual_add_f32 v72, v8, v0
	ds_load_b128 v[0:3], v71 offset:80
	ds_load_2addr_b64 v[4:7], v81 offset0:64 offset1:80
	s_wait_dscnt 0x0
	v_dual_mul_f32 v8, v1, v5 :: v_dual_mul_f32 v9, v0, v5
	s_delay_alu instid0(VALU_DEP_1) | instskip(NEXT) | instid1(VALU_DEP_1)
	v_dual_fma_f32 v8, v0, v4, -v8 :: v_dual_fmac_f32 v9, v1, v4
	v_dual_add_f32 v12, v12, v8 :: v_dual_add_f32 v13, v13, v9
	v_mul_f32_e32 v8, v1, v7
	s_delay_alu instid0(VALU_DEP_1) | instskip(NEXT) | instid1(VALU_DEP_1)
	v_dual_fma_f32 v8, v0, v6, -v8 :: v_dual_mul_f32 v0, v0, v7
	v_fmac_f32_e32 v0, v1, v6
	s_delay_alu instid0(VALU_DEP_1) | instskip(NEXT) | instid1(VALU_DEP_3)
	v_add_f32_e32 v0, v70, v0
	v_add_f32_e32 v1, v51, v8
	ds_load_b128 v[8:11], v71 offset:4176
	s_wait_dscnt 0x0
	v_dual_mul_f32 v51, v9, v5 :: v_dual_mul_f32 v5, v8, v5
	s_delay_alu instid0(VALU_DEP_1) | instskip(SKIP_1) | instid1(VALU_DEP_2)
	v_dual_fma_f32 v51, v8, v4, -v51 :: v_dual_fmac_f32 v5, v9, v4
	v_mul_f32_e32 v4, v9, v7
	v_dual_add_f32 v14, v14, v51 :: v_dual_add_f32 v15, v15, v5
	s_delay_alu instid0(VALU_DEP_2) | instskip(NEXT) | instid1(VALU_DEP_1)
	v_dual_mul_f32 v5, v8, v7 :: v_dual_fma_f32 v4, v8, v6, -v4
	v_dual_fmac_f32 v5, v9, v6 :: v_dual_add_f32 v8, v72, v4
	s_delay_alu instid0(VALU_DEP_1) | instskip(SKIP_3) | instid1(VALU_DEP_1)
	v_add_f32_e32 v9, v74, v5
	ds_load_2addr_b64 v[4:7], v81 offset0:96 offset1:112
	s_wait_dscnt 0x0
	v_dual_mul_f32 v51, v3, v5 :: v_dual_mul_f32 v70, v2, v5
	v_dual_fma_f32 v51, v2, v4, -v51 :: v_dual_fmac_f32 v70, v3, v4
	s_delay_alu instid0(VALU_DEP_1) | instskip(SKIP_1) | instid1(VALU_DEP_1)
	v_dual_add_f32 v12, v12, v51 :: v_dual_add_f32 v13, v13, v70
	v_mul_f32_e32 v51, v3, v7
	v_dual_fma_f32 v51, v2, v6, -v51 :: v_dual_mul_f32 v2, v2, v7
	s_delay_alu instid0(VALU_DEP_1) | instskip(NEXT) | instid1(VALU_DEP_1)
	v_dual_fmac_f32 v2, v3, v6 :: v_dual_add_f32 v51, v1, v51
	v_dual_mul_f32 v1, v10, v5 :: v_dual_add_f32 v70, v0, v2
	s_delay_alu instid0(VALU_DEP_1) | instskip(NEXT) | instid1(VALU_DEP_1)
	v_dual_mul_f32 v0, v11, v5 :: v_dual_fmac_f32 v1, v11, v4
	v_dual_fma_f32 v0, v10, v4, -v0 :: v_dual_add_f32 v15, v15, v1
	v_mul_f32_e32 v1, v10, v7
	s_delay_alu instid0(VALU_DEP_2) | instskip(NEXT) | instid1(VALU_DEP_1)
	v_dual_add_f32 v14, v14, v0 :: v_dual_mul_f32 v0, v11, v7
	v_dual_fmac_f32 v1, v11, v6 :: v_dual_fma_f32 v0, v10, v6, -v0
	s_delay_alu instid0(VALU_DEP_1) | instskip(SKIP_4) | instid1(VALU_DEP_1)
	v_dual_add_f32 v74, v9, v1 :: v_dual_add_f32 v72, v8, v0
	ds_load_b128 v[0:3], v71 offset:96
	ds_load_2addr_b64 v[4:7], v81 offset0:128 offset1:144
	s_wait_dscnt 0x0
	v_dual_mul_f32 v8, v1, v5 :: v_dual_mul_f32 v9, v0, v5
	v_dual_fma_f32 v8, v0, v4, -v8 :: v_dual_fmac_f32 v9, v1, v4
	s_delay_alu instid0(VALU_DEP_1) | instskip(SKIP_1) | instid1(VALU_DEP_1)
	v_dual_add_f32 v12, v12, v8 :: v_dual_add_f32 v13, v13, v9
	v_mul_f32_e32 v8, v1, v7
	v_dual_fma_f32 v8, v0, v6, -v8 :: v_dual_mul_f32 v0, v0, v7
	s_delay_alu instid0(VALU_DEP_1) | instskip(NEXT) | instid1(VALU_DEP_1)
	v_fmac_f32_e32 v0, v1, v6
	v_add_f32_e32 v0, v70, v0
	s_delay_alu instid0(VALU_DEP_3) | instskip(SKIP_3) | instid1(VALU_DEP_1)
	v_add_f32_e32 v1, v51, v8
	ds_load_b128 v[8:11], v71 offset:4192
	s_wait_dscnt 0x0
	v_dual_mul_f32 v51, v9, v5 :: v_dual_mul_f32 v5, v8, v5
	v_dual_fma_f32 v51, v8, v4, -v51 :: v_dual_fmac_f32 v5, v9, v4
	v_mul_f32_e32 v4, v9, v7
	s_delay_alu instid0(VALU_DEP_2) | instskip(NEXT) | instid1(VALU_DEP_2)
	v_dual_add_f32 v14, v14, v51 :: v_dual_add_f32 v15, v15, v5
	v_dual_mul_f32 v5, v8, v7 :: v_dual_fma_f32 v4, v8, v6, -v4
	s_delay_alu instid0(VALU_DEP_1) | instskip(NEXT) | instid1(VALU_DEP_1)
	v_dual_fmac_f32 v5, v9, v6 :: v_dual_add_f32 v8, v72, v4
	v_add_f32_e32 v9, v74, v5
	ds_load_2addr_b64 v[4:7], v81 offset0:160 offset1:176
	s_wait_dscnt 0x0
	v_dual_mul_f32 v51, v3, v5 :: v_dual_mul_f32 v70, v2, v5
	s_delay_alu instid0(VALU_DEP_1) | instskip(NEXT) | instid1(VALU_DEP_1)
	v_dual_fma_f32 v51, v2, v4, -v51 :: v_dual_fmac_f32 v70, v3, v4
	v_dual_add_f32 v12, v12, v51 :: v_dual_add_f32 v13, v13, v70
	v_mul_f32_e32 v51, v3, v7
	s_delay_alu instid0(VALU_DEP_1) | instskip(NEXT) | instid1(VALU_DEP_1)
	v_dual_fma_f32 v51, v2, v6, -v51 :: v_dual_mul_f32 v2, v2, v7
	v_dual_fmac_f32 v2, v3, v6 :: v_dual_add_f32 v51, v1, v51
	s_delay_alu instid0(VALU_DEP_1) | instskip(NEXT) | instid1(VALU_DEP_1)
	v_dual_mul_f32 v1, v10, v5 :: v_dual_add_f32 v70, v0, v2
	v_dual_mul_f32 v0, v11, v5 :: v_dual_fmac_f32 v1, v11, v4
	s_delay_alu instid0(VALU_DEP_1) | instskip(SKIP_1) | instid1(VALU_DEP_2)
	v_dual_fma_f32 v0, v10, v4, -v0 :: v_dual_add_f32 v15, v15, v1
	v_mul_f32_e32 v1, v10, v7
	v_dual_add_f32 v14, v14, v0 :: v_dual_mul_f32 v0, v11, v7
	s_delay_alu instid0(VALU_DEP_1) | instskip(NEXT) | instid1(VALU_DEP_1)
	v_dual_fmac_f32 v1, v11, v6 :: v_dual_fma_f32 v0, v10, v6, -v0
	v_dual_add_f32 v74, v9, v1 :: v_dual_add_f32 v72, v8, v0
	ds_load_b128 v[0:3], v71 offset:112
	ds_load_2addr_b64 v[4:7], v81 offset0:192 offset1:208
	s_wait_dscnt 0x0
	v_dual_mul_f32 v8, v1, v5 :: v_dual_mul_f32 v9, v0, v5
	s_delay_alu instid0(VALU_DEP_1) | instskip(NEXT) | instid1(VALU_DEP_1)
	v_dual_fma_f32 v8, v0, v4, -v8 :: v_dual_fmac_f32 v9, v1, v4
	v_dual_add_f32 v12, v12, v8 :: v_dual_add_f32 v13, v13, v9
	v_mul_f32_e32 v8, v1, v7
	s_delay_alu instid0(VALU_DEP_1) | instskip(NEXT) | instid1(VALU_DEP_1)
	v_dual_fma_f32 v8, v0, v6, -v8 :: v_dual_mul_f32 v0, v0, v7
	v_fmac_f32_e32 v0, v1, v6
	s_delay_alu instid0(VALU_DEP_1) | instskip(NEXT) | instid1(VALU_DEP_3)
	v_add_f32_e32 v0, v70, v0
	v_add_f32_e32 v1, v51, v8
	ds_load_b128 v[8:11], v71 offset:4208
	s_wait_dscnt 0x0
	v_dual_mul_f32 v51, v9, v5 :: v_dual_mul_f32 v5, v8, v5
	s_delay_alu instid0(VALU_DEP_1) | instskip(SKIP_1) | instid1(VALU_DEP_2)
	v_dual_fma_f32 v51, v8, v4, -v51 :: v_dual_fmac_f32 v5, v9, v4
	v_mul_f32_e32 v4, v9, v7
	v_dual_add_f32 v14, v14, v51 :: v_dual_add_f32 v15, v15, v5
	s_delay_alu instid0(VALU_DEP_2) | instskip(NEXT) | instid1(VALU_DEP_1)
	v_dual_mul_f32 v5, v8, v7 :: v_dual_fma_f32 v4, v8, v6, -v4
	v_dual_fmac_f32 v5, v9, v6 :: v_dual_add_f32 v8, v72, v4
	s_delay_alu instid0(VALU_DEP_1) | instskip(SKIP_3) | instid1(VALU_DEP_1)
	v_add_f32_e32 v9, v74, v5
	ds_load_2addr_b64 v[4:7], v81 offset0:224 offset1:240
	s_wait_dscnt 0x0
	v_dual_mul_f32 v51, v3, v5 :: v_dual_mul_f32 v70, v2, v5
	v_dual_fma_f32 v51, v2, v4, -v51 :: v_dual_fmac_f32 v70, v3, v4
	s_delay_alu instid0(VALU_DEP_1) | instskip(SKIP_1) | instid1(VALU_DEP_1)
	v_dual_add_f32 v12, v12, v51 :: v_dual_add_f32 v13, v13, v70
	v_mul_f32_e32 v51, v3, v7
	v_dual_fma_f32 v51, v2, v6, -v51 :: v_dual_mul_f32 v2, v2, v7
	s_delay_alu instid0(VALU_DEP_1) | instskip(NEXT) | instid1(VALU_DEP_1)
	v_dual_fmac_f32 v2, v3, v6 :: v_dual_add_f32 v51, v1, v51
	v_dual_mul_f32 v1, v10, v5 :: v_dual_add_f32 v70, v0, v2
	s_delay_alu instid0(VALU_DEP_1) | instskip(NEXT) | instid1(VALU_DEP_1)
	v_dual_mul_f32 v0, v11, v5 :: v_dual_fmac_f32 v1, v11, v4
	v_dual_fma_f32 v0, v10, v4, -v0 :: v_dual_add_f32 v15, v15, v1
	v_mul_f32_e32 v1, v10, v7
	s_delay_alu instid0(VALU_DEP_2) | instskip(NEXT) | instid1(VALU_DEP_1)
	v_dual_add_f32 v14, v14, v0 :: v_dual_mul_f32 v0, v11, v7
	v_dual_fmac_f32 v1, v11, v6 :: v_dual_fma_f32 v0, v10, v6, -v0
	s_delay_alu instid0(VALU_DEP_1) | instskip(SKIP_4) | instid1(VALU_DEP_1)
	v_dual_add_f32 v74, v9, v1 :: v_dual_add_f32 v72, v8, v0
	ds_load_b128 v[0:3], v71 offset:128
	ds_load_2addr_b64 v[4:7], v82 offset1:16
	s_wait_dscnt 0x0
	v_dual_mul_f32 v8, v1, v5 :: v_dual_mul_f32 v9, v0, v5
	v_dual_fma_f32 v8, v0, v4, -v8 :: v_dual_fmac_f32 v9, v1, v4
	s_delay_alu instid0(VALU_DEP_1) | instskip(SKIP_1) | instid1(VALU_DEP_1)
	v_dual_add_f32 v12, v12, v8 :: v_dual_add_f32 v13, v13, v9
	v_mul_f32_e32 v8, v1, v7
	v_dual_fma_f32 v8, v0, v6, -v8 :: v_dual_mul_f32 v0, v0, v7
	s_delay_alu instid0(VALU_DEP_1) | instskip(NEXT) | instid1(VALU_DEP_1)
	v_fmac_f32_e32 v0, v1, v6
	v_add_f32_e32 v0, v70, v0
	s_delay_alu instid0(VALU_DEP_3) | instskip(SKIP_3) | instid1(VALU_DEP_1)
	v_add_f32_e32 v1, v51, v8
	ds_load_b128 v[8:11], v71 offset:4224
	s_wait_dscnt 0x0
	v_dual_mul_f32 v51, v9, v5 :: v_dual_mul_f32 v5, v8, v5
	v_dual_fma_f32 v51, v8, v4, -v51 :: v_dual_fmac_f32 v5, v9, v4
	v_mul_f32_e32 v4, v9, v7
	s_delay_alu instid0(VALU_DEP_2) | instskip(NEXT) | instid1(VALU_DEP_2)
	v_dual_add_f32 v14, v14, v51 :: v_dual_add_f32 v15, v15, v5
	v_dual_mul_f32 v5, v8, v7 :: v_dual_fma_f32 v4, v8, v6, -v4
	s_delay_alu instid0(VALU_DEP_1) | instskip(NEXT) | instid1(VALU_DEP_1)
	v_dual_fmac_f32 v5, v9, v6 :: v_dual_add_f32 v8, v72, v4
	v_add_f32_e32 v9, v74, v5
	ds_load_2addr_b64 v[4:7], v82 offset0:32 offset1:48
	s_wait_dscnt 0x0
	v_dual_mul_f32 v51, v3, v5 :: v_dual_mul_f32 v70, v2, v5
	s_delay_alu instid0(VALU_DEP_1) | instskip(NEXT) | instid1(VALU_DEP_1)
	v_dual_fma_f32 v51, v2, v4, -v51 :: v_dual_fmac_f32 v70, v3, v4
	v_dual_add_f32 v12, v12, v51 :: v_dual_add_f32 v13, v13, v70
	v_mul_f32_e32 v51, v3, v7
	s_delay_alu instid0(VALU_DEP_1) | instskip(NEXT) | instid1(VALU_DEP_1)
	v_dual_fma_f32 v51, v2, v6, -v51 :: v_dual_mul_f32 v2, v2, v7
	v_dual_fmac_f32 v2, v3, v6 :: v_dual_add_f32 v51, v1, v51
	s_delay_alu instid0(VALU_DEP_1) | instskip(NEXT) | instid1(VALU_DEP_1)
	v_dual_mul_f32 v1, v10, v5 :: v_dual_add_f32 v70, v0, v2
	v_dual_mul_f32 v0, v11, v5 :: v_dual_fmac_f32 v1, v11, v4
	s_delay_alu instid0(VALU_DEP_1) | instskip(SKIP_1) | instid1(VALU_DEP_2)
	v_dual_fma_f32 v0, v10, v4, -v0 :: v_dual_add_f32 v15, v15, v1
	v_mul_f32_e32 v1, v10, v7
	v_dual_add_f32 v14, v14, v0 :: v_dual_mul_f32 v0, v11, v7
	s_delay_alu instid0(VALU_DEP_1) | instskip(NEXT) | instid1(VALU_DEP_1)
	v_dual_fmac_f32 v1, v11, v6 :: v_dual_fma_f32 v0, v10, v6, -v0
	v_dual_add_f32 v74, v9, v1 :: v_dual_add_f32 v72, v8, v0
	ds_load_b128 v[0:3], v71 offset:144
	ds_load_2addr_b64 v[4:7], v82 offset0:64 offset1:80
	s_wait_dscnt 0x0
	v_dual_mul_f32 v8, v1, v5 :: v_dual_mul_f32 v9, v0, v5
	s_delay_alu instid0(VALU_DEP_1) | instskip(NEXT) | instid1(VALU_DEP_1)
	v_dual_fma_f32 v8, v0, v4, -v8 :: v_dual_fmac_f32 v9, v1, v4
	v_dual_add_f32 v12, v12, v8 :: v_dual_add_f32 v13, v13, v9
	v_mul_f32_e32 v8, v1, v7
	s_delay_alu instid0(VALU_DEP_1) | instskip(NEXT) | instid1(VALU_DEP_1)
	v_dual_fma_f32 v8, v0, v6, -v8 :: v_dual_mul_f32 v0, v0, v7
	v_fmac_f32_e32 v0, v1, v6
	s_delay_alu instid0(VALU_DEP_1) | instskip(NEXT) | instid1(VALU_DEP_3)
	v_add_f32_e32 v0, v70, v0
	v_add_f32_e32 v1, v51, v8
	ds_load_b128 v[8:11], v71 offset:4240
	s_wait_dscnt 0x0
	v_dual_mul_f32 v51, v9, v5 :: v_dual_mul_f32 v5, v8, v5
	s_delay_alu instid0(VALU_DEP_1) | instskip(SKIP_1) | instid1(VALU_DEP_2)
	v_dual_fma_f32 v51, v8, v4, -v51 :: v_dual_fmac_f32 v5, v9, v4
	v_mul_f32_e32 v4, v9, v7
	v_dual_add_f32 v14, v14, v51 :: v_dual_add_f32 v15, v15, v5
	s_delay_alu instid0(VALU_DEP_2) | instskip(NEXT) | instid1(VALU_DEP_1)
	v_dual_mul_f32 v5, v8, v7 :: v_dual_fma_f32 v4, v8, v6, -v4
	v_dual_fmac_f32 v5, v9, v6 :: v_dual_add_f32 v8, v72, v4
	s_delay_alu instid0(VALU_DEP_1) | instskip(SKIP_3) | instid1(VALU_DEP_1)
	v_add_f32_e32 v9, v74, v5
	ds_load_2addr_b64 v[4:7], v82 offset0:96 offset1:112
	s_wait_dscnt 0x0
	v_dual_mul_f32 v51, v3, v5 :: v_dual_mul_f32 v70, v2, v5
	v_dual_fma_f32 v51, v2, v4, -v51 :: v_dual_fmac_f32 v70, v3, v4
	s_delay_alu instid0(VALU_DEP_1) | instskip(SKIP_1) | instid1(VALU_DEP_1)
	v_dual_add_f32 v12, v12, v51 :: v_dual_add_f32 v13, v13, v70
	v_mul_f32_e32 v51, v3, v7
	v_dual_fma_f32 v51, v2, v6, -v51 :: v_dual_mul_f32 v2, v2, v7
	s_delay_alu instid0(VALU_DEP_1) | instskip(NEXT) | instid1(VALU_DEP_1)
	v_dual_fmac_f32 v2, v3, v6 :: v_dual_add_f32 v51, v1, v51
	v_dual_mul_f32 v1, v10, v5 :: v_dual_add_f32 v70, v0, v2
	s_delay_alu instid0(VALU_DEP_1) | instskip(NEXT) | instid1(VALU_DEP_1)
	v_dual_mul_f32 v0, v11, v5 :: v_dual_fmac_f32 v1, v11, v4
	v_dual_fma_f32 v0, v10, v4, -v0 :: v_dual_add_f32 v15, v15, v1
	v_mul_f32_e32 v1, v10, v7
	s_delay_alu instid0(VALU_DEP_2) | instskip(NEXT) | instid1(VALU_DEP_1)
	v_dual_add_f32 v14, v14, v0 :: v_dual_mul_f32 v0, v11, v7
	v_dual_fmac_f32 v1, v11, v6 :: v_dual_fma_f32 v0, v10, v6, -v0
	s_delay_alu instid0(VALU_DEP_1) | instskip(SKIP_4) | instid1(VALU_DEP_1)
	v_dual_add_f32 v74, v9, v1 :: v_dual_add_f32 v72, v8, v0
	ds_load_b128 v[0:3], v71 offset:160
	ds_load_2addr_b64 v[4:7], v82 offset0:128 offset1:144
	s_wait_dscnt 0x0
	v_dual_mul_f32 v8, v1, v5 :: v_dual_mul_f32 v9, v0, v5
	v_dual_fma_f32 v8, v0, v4, -v8 :: v_dual_fmac_f32 v9, v1, v4
	s_delay_alu instid0(VALU_DEP_1) | instskip(SKIP_1) | instid1(VALU_DEP_1)
	v_dual_add_f32 v12, v12, v8 :: v_dual_add_f32 v13, v13, v9
	v_mul_f32_e32 v8, v1, v7
	v_dual_fma_f32 v8, v0, v6, -v8 :: v_dual_mul_f32 v0, v0, v7
	s_delay_alu instid0(VALU_DEP_1) | instskip(NEXT) | instid1(VALU_DEP_1)
	v_fmac_f32_e32 v0, v1, v6
	v_add_f32_e32 v0, v70, v0
	s_delay_alu instid0(VALU_DEP_3) | instskip(SKIP_3) | instid1(VALU_DEP_1)
	v_add_f32_e32 v1, v51, v8
	ds_load_b128 v[8:11], v71 offset:4256
	s_wait_dscnt 0x0
	v_dual_mul_f32 v51, v9, v5 :: v_dual_mul_f32 v5, v8, v5
	v_dual_fma_f32 v51, v8, v4, -v51 :: v_dual_fmac_f32 v5, v9, v4
	v_mul_f32_e32 v4, v9, v7
	s_delay_alu instid0(VALU_DEP_2) | instskip(NEXT) | instid1(VALU_DEP_2)
	v_dual_add_f32 v14, v14, v51 :: v_dual_add_f32 v15, v15, v5
	v_dual_mul_f32 v5, v8, v7 :: v_dual_fma_f32 v4, v8, v6, -v4
	s_delay_alu instid0(VALU_DEP_1) | instskip(NEXT) | instid1(VALU_DEP_1)
	v_dual_fmac_f32 v5, v9, v6 :: v_dual_add_f32 v8, v72, v4
	v_add_f32_e32 v9, v74, v5
	ds_load_2addr_b64 v[4:7], v82 offset0:160 offset1:176
	s_wait_dscnt 0x0
	v_dual_mul_f32 v51, v3, v5 :: v_dual_mul_f32 v70, v2, v5
	s_delay_alu instid0(VALU_DEP_1) | instskip(NEXT) | instid1(VALU_DEP_1)
	v_dual_fma_f32 v51, v2, v4, -v51 :: v_dual_fmac_f32 v70, v3, v4
	v_dual_add_f32 v12, v12, v51 :: v_dual_add_f32 v13, v13, v70
	v_mul_f32_e32 v51, v3, v7
	s_delay_alu instid0(VALU_DEP_1) | instskip(NEXT) | instid1(VALU_DEP_1)
	v_dual_fma_f32 v51, v2, v6, -v51 :: v_dual_mul_f32 v2, v2, v7
	v_dual_fmac_f32 v2, v3, v6 :: v_dual_add_f32 v51, v1, v51
	s_delay_alu instid0(VALU_DEP_1) | instskip(NEXT) | instid1(VALU_DEP_1)
	v_dual_mul_f32 v1, v10, v5 :: v_dual_add_f32 v70, v0, v2
	v_dual_mul_f32 v0, v11, v5 :: v_dual_fmac_f32 v1, v11, v4
	s_delay_alu instid0(VALU_DEP_1) | instskip(SKIP_1) | instid1(VALU_DEP_2)
	v_dual_fma_f32 v0, v10, v4, -v0 :: v_dual_add_f32 v15, v15, v1
	v_mul_f32_e32 v1, v10, v7
	v_dual_add_f32 v14, v14, v0 :: v_dual_mul_f32 v0, v11, v7
	s_delay_alu instid0(VALU_DEP_1) | instskip(NEXT) | instid1(VALU_DEP_1)
	v_dual_fmac_f32 v1, v11, v6 :: v_dual_fma_f32 v0, v10, v6, -v0
	v_dual_add_f32 v74, v9, v1 :: v_dual_add_f32 v72, v8, v0
	ds_load_b128 v[0:3], v71 offset:176
	ds_load_2addr_b64 v[4:7], v82 offset0:192 offset1:208
	s_wait_dscnt 0x0
	v_dual_mul_f32 v8, v1, v5 :: v_dual_mul_f32 v9, v0, v5
	s_delay_alu instid0(VALU_DEP_1) | instskip(NEXT) | instid1(VALU_DEP_1)
	v_dual_fma_f32 v8, v0, v4, -v8 :: v_dual_fmac_f32 v9, v1, v4
	v_dual_add_f32 v12, v12, v8 :: v_dual_add_f32 v13, v13, v9
	v_mul_f32_e32 v8, v1, v7
	s_delay_alu instid0(VALU_DEP_1) | instskip(NEXT) | instid1(VALU_DEP_1)
	v_dual_fma_f32 v8, v0, v6, -v8 :: v_dual_mul_f32 v0, v0, v7
	v_fmac_f32_e32 v0, v1, v6
	s_delay_alu instid0(VALU_DEP_1) | instskip(NEXT) | instid1(VALU_DEP_3)
	v_add_f32_e32 v0, v70, v0
	v_add_f32_e32 v1, v51, v8
	ds_load_b128 v[8:11], v71 offset:4272
	s_wait_dscnt 0x0
	v_dual_mul_f32 v51, v9, v5 :: v_dual_mul_f32 v5, v8, v5
	s_delay_alu instid0(VALU_DEP_1) | instskip(SKIP_1) | instid1(VALU_DEP_2)
	v_dual_fma_f32 v51, v8, v4, -v51 :: v_dual_fmac_f32 v5, v9, v4
	v_mul_f32_e32 v4, v9, v7
	v_dual_add_f32 v14, v14, v51 :: v_dual_add_f32 v15, v15, v5
	s_delay_alu instid0(VALU_DEP_2) | instskip(NEXT) | instid1(VALU_DEP_1)
	v_dual_mul_f32 v5, v8, v7 :: v_dual_fma_f32 v4, v8, v6, -v4
	v_dual_fmac_f32 v5, v9, v6 :: v_dual_add_f32 v8, v72, v4
	s_delay_alu instid0(VALU_DEP_1) | instskip(SKIP_3) | instid1(VALU_DEP_1)
	v_add_f32_e32 v9, v74, v5
	ds_load_2addr_b64 v[4:7], v82 offset0:224 offset1:240
	s_wait_dscnt 0x0
	v_dual_mul_f32 v51, v3, v5 :: v_dual_mul_f32 v70, v2, v5
	v_dual_fma_f32 v51, v2, v4, -v51 :: v_dual_fmac_f32 v70, v3, v4
	s_delay_alu instid0(VALU_DEP_1) | instskip(SKIP_1) | instid1(VALU_DEP_1)
	v_dual_add_f32 v12, v12, v51 :: v_dual_add_f32 v13, v13, v70
	v_mul_f32_e32 v51, v3, v7
	v_dual_fma_f32 v51, v2, v6, -v51 :: v_dual_mul_f32 v2, v2, v7
	s_delay_alu instid0(VALU_DEP_1) | instskip(NEXT) | instid1(VALU_DEP_1)
	v_dual_fmac_f32 v2, v3, v6 :: v_dual_add_f32 v51, v1, v51
	v_dual_mul_f32 v1, v10, v5 :: v_dual_add_f32 v70, v0, v2
	s_delay_alu instid0(VALU_DEP_1) | instskip(NEXT) | instid1(VALU_DEP_1)
	v_dual_mul_f32 v0, v11, v5 :: v_dual_fmac_f32 v1, v11, v4
	v_dual_fma_f32 v0, v10, v4, -v0 :: v_dual_add_f32 v15, v15, v1
	v_mul_f32_e32 v1, v10, v7
	s_delay_alu instid0(VALU_DEP_2) | instskip(NEXT) | instid1(VALU_DEP_1)
	v_dual_add_f32 v14, v14, v0 :: v_dual_mul_f32 v0, v11, v7
	v_dual_fmac_f32 v1, v11, v6 :: v_dual_fma_f32 v0, v10, v6, -v0
	s_delay_alu instid0(VALU_DEP_1) | instskip(SKIP_4) | instid1(VALU_DEP_1)
	v_dual_add_f32 v74, v9, v1 :: v_dual_add_f32 v72, v8, v0
	ds_load_b128 v[0:3], v71 offset:192
	ds_load_2addr_b64 v[4:7], v83 offset1:16
	s_wait_dscnt 0x0
	v_dual_mul_f32 v8, v1, v5 :: v_dual_mul_f32 v9, v0, v5
	v_dual_fma_f32 v8, v0, v4, -v8 :: v_dual_fmac_f32 v9, v1, v4
	s_delay_alu instid0(VALU_DEP_1) | instskip(SKIP_1) | instid1(VALU_DEP_1)
	v_dual_add_f32 v12, v12, v8 :: v_dual_add_f32 v13, v13, v9
	v_mul_f32_e32 v8, v1, v7
	v_dual_fma_f32 v8, v0, v6, -v8 :: v_dual_mul_f32 v0, v0, v7
	s_delay_alu instid0(VALU_DEP_1) | instskip(NEXT) | instid1(VALU_DEP_1)
	v_fmac_f32_e32 v0, v1, v6
	v_add_f32_e32 v0, v70, v0
	s_delay_alu instid0(VALU_DEP_3) | instskip(SKIP_3) | instid1(VALU_DEP_1)
	v_add_f32_e32 v1, v51, v8
	ds_load_b128 v[8:11], v71 offset:4288
	s_wait_dscnt 0x0
	v_dual_mul_f32 v51, v9, v5 :: v_dual_mul_f32 v5, v8, v5
	v_dual_fma_f32 v51, v8, v4, -v51 :: v_dual_fmac_f32 v5, v9, v4
	v_mul_f32_e32 v4, v9, v7
	s_delay_alu instid0(VALU_DEP_2) | instskip(NEXT) | instid1(VALU_DEP_2)
	v_dual_add_f32 v14, v14, v51 :: v_dual_add_f32 v15, v15, v5
	v_dual_mul_f32 v5, v8, v7 :: v_dual_fma_f32 v4, v8, v6, -v4
	s_delay_alu instid0(VALU_DEP_1) | instskip(NEXT) | instid1(VALU_DEP_1)
	v_dual_fmac_f32 v5, v9, v6 :: v_dual_add_f32 v8, v72, v4
	v_add_f32_e32 v9, v74, v5
	ds_load_2addr_b64 v[4:7], v83 offset0:32 offset1:48
	s_wait_dscnt 0x0
	v_dual_mul_f32 v51, v3, v5 :: v_dual_mul_f32 v70, v2, v5
	s_delay_alu instid0(VALU_DEP_1) | instskip(NEXT) | instid1(VALU_DEP_1)
	v_dual_fma_f32 v51, v2, v4, -v51 :: v_dual_fmac_f32 v70, v3, v4
	v_dual_add_f32 v12, v12, v51 :: v_dual_add_f32 v13, v13, v70
	v_mul_f32_e32 v51, v3, v7
	s_delay_alu instid0(VALU_DEP_1) | instskip(NEXT) | instid1(VALU_DEP_1)
	v_dual_fma_f32 v51, v2, v6, -v51 :: v_dual_mul_f32 v2, v2, v7
	v_dual_fmac_f32 v2, v3, v6 :: v_dual_add_f32 v51, v1, v51
	s_delay_alu instid0(VALU_DEP_1) | instskip(NEXT) | instid1(VALU_DEP_1)
	v_dual_mul_f32 v1, v10, v5 :: v_dual_add_f32 v70, v0, v2
	v_dual_mul_f32 v0, v11, v5 :: v_dual_fmac_f32 v1, v11, v4
	s_delay_alu instid0(VALU_DEP_1) | instskip(SKIP_1) | instid1(VALU_DEP_2)
	v_dual_fma_f32 v0, v10, v4, -v0 :: v_dual_add_f32 v15, v15, v1
	v_mul_f32_e32 v1, v10, v7
	v_dual_add_f32 v14, v14, v0 :: v_dual_mul_f32 v0, v11, v7
	s_delay_alu instid0(VALU_DEP_1) | instskip(NEXT) | instid1(VALU_DEP_1)
	v_dual_fmac_f32 v1, v11, v6 :: v_dual_fma_f32 v0, v10, v6, -v0
	v_dual_add_f32 v74, v9, v1 :: v_dual_add_f32 v72, v8, v0
	ds_load_b128 v[0:3], v71 offset:208
	ds_load_2addr_b64 v[4:7], v83 offset0:64 offset1:80
	s_wait_dscnt 0x0
	v_dual_mul_f32 v8, v1, v5 :: v_dual_mul_f32 v9, v0, v5
	s_delay_alu instid0(VALU_DEP_1) | instskip(NEXT) | instid1(VALU_DEP_1)
	v_dual_fma_f32 v8, v0, v4, -v8 :: v_dual_fmac_f32 v9, v1, v4
	v_dual_add_f32 v12, v12, v8 :: v_dual_add_f32 v13, v13, v9
	v_mul_f32_e32 v8, v1, v7
	s_delay_alu instid0(VALU_DEP_1) | instskip(NEXT) | instid1(VALU_DEP_1)
	v_dual_fma_f32 v8, v0, v6, -v8 :: v_dual_mul_f32 v0, v0, v7
	v_fmac_f32_e32 v0, v1, v6
	s_delay_alu instid0(VALU_DEP_1) | instskip(NEXT) | instid1(VALU_DEP_3)
	v_add_f32_e32 v0, v70, v0
	v_add_f32_e32 v1, v51, v8
	ds_load_b128 v[8:11], v71 offset:4304
	s_wait_dscnt 0x0
	v_dual_mul_f32 v51, v9, v5 :: v_dual_mul_f32 v5, v8, v5
	s_delay_alu instid0(VALU_DEP_1) | instskip(SKIP_1) | instid1(VALU_DEP_2)
	v_dual_fma_f32 v51, v8, v4, -v51 :: v_dual_fmac_f32 v5, v9, v4
	v_mul_f32_e32 v4, v9, v7
	v_dual_add_f32 v14, v14, v51 :: v_dual_add_f32 v15, v15, v5
	s_delay_alu instid0(VALU_DEP_2) | instskip(NEXT) | instid1(VALU_DEP_1)
	v_dual_mul_f32 v5, v8, v7 :: v_dual_fma_f32 v4, v8, v6, -v4
	v_dual_fmac_f32 v5, v9, v6 :: v_dual_add_f32 v8, v72, v4
	s_delay_alu instid0(VALU_DEP_1) | instskip(SKIP_3) | instid1(VALU_DEP_1)
	v_add_f32_e32 v9, v74, v5
	ds_load_2addr_b64 v[4:7], v83 offset0:96 offset1:112
	s_wait_dscnt 0x0
	v_dual_mul_f32 v51, v3, v5 :: v_dual_mul_f32 v70, v2, v5
	v_dual_fma_f32 v51, v2, v4, -v51 :: v_dual_fmac_f32 v70, v3, v4
	s_delay_alu instid0(VALU_DEP_1) | instskip(SKIP_1) | instid1(VALU_DEP_1)
	v_dual_add_f32 v12, v12, v51 :: v_dual_add_f32 v13, v13, v70
	v_mul_f32_e32 v51, v3, v7
	v_dual_fma_f32 v51, v2, v6, -v51 :: v_dual_mul_f32 v2, v2, v7
	s_delay_alu instid0(VALU_DEP_1) | instskip(NEXT) | instid1(VALU_DEP_1)
	v_dual_fmac_f32 v2, v3, v6 :: v_dual_add_f32 v51, v1, v51
	v_dual_mul_f32 v1, v10, v5 :: v_dual_add_f32 v70, v0, v2
	s_delay_alu instid0(VALU_DEP_1) | instskip(NEXT) | instid1(VALU_DEP_1)
	v_dual_mul_f32 v0, v11, v5 :: v_dual_fmac_f32 v1, v11, v4
	v_dual_fma_f32 v0, v10, v4, -v0 :: v_dual_add_f32 v15, v15, v1
	v_mul_f32_e32 v1, v10, v7
	s_delay_alu instid0(VALU_DEP_2) | instskip(NEXT) | instid1(VALU_DEP_1)
	v_dual_add_f32 v14, v14, v0 :: v_dual_mul_f32 v0, v11, v7
	v_dual_fmac_f32 v1, v11, v6 :: v_dual_fma_f32 v0, v10, v6, -v0
	s_delay_alu instid0(VALU_DEP_1) | instskip(SKIP_4) | instid1(VALU_DEP_1)
	v_dual_add_f32 v74, v9, v1 :: v_dual_add_f32 v72, v8, v0
	ds_load_b128 v[0:3], v71 offset:224
	ds_load_2addr_b64 v[4:7], v83 offset0:128 offset1:144
	s_wait_dscnt 0x0
	v_dual_mul_f32 v8, v1, v5 :: v_dual_mul_f32 v9, v0, v5
	v_dual_fma_f32 v8, v0, v4, -v8 :: v_dual_fmac_f32 v9, v1, v4
	s_delay_alu instid0(VALU_DEP_1) | instskip(SKIP_1) | instid1(VALU_DEP_1)
	v_dual_add_f32 v12, v12, v8 :: v_dual_add_f32 v13, v13, v9
	v_mul_f32_e32 v8, v1, v7
	v_dual_fma_f32 v8, v0, v6, -v8 :: v_dual_mul_f32 v0, v0, v7
	s_delay_alu instid0(VALU_DEP_1) | instskip(NEXT) | instid1(VALU_DEP_1)
	v_fmac_f32_e32 v0, v1, v6
	v_add_f32_e32 v0, v70, v0
	s_delay_alu instid0(VALU_DEP_3) | instskip(SKIP_3) | instid1(VALU_DEP_1)
	v_add_f32_e32 v1, v51, v8
	ds_load_b128 v[8:11], v71 offset:4320
	s_wait_dscnt 0x0
	v_dual_mul_f32 v51, v9, v5 :: v_dual_mul_f32 v5, v8, v5
	v_dual_fma_f32 v51, v8, v4, -v51 :: v_dual_fmac_f32 v5, v9, v4
	v_mul_f32_e32 v4, v9, v7
	s_delay_alu instid0(VALU_DEP_2) | instskip(NEXT) | instid1(VALU_DEP_2)
	v_dual_add_f32 v14, v14, v51 :: v_dual_add_f32 v15, v15, v5
	v_dual_mul_f32 v5, v8, v7 :: v_dual_fma_f32 v4, v8, v6, -v4
	s_delay_alu instid0(VALU_DEP_1) | instskip(NEXT) | instid1(VALU_DEP_1)
	v_dual_fmac_f32 v5, v9, v6 :: v_dual_add_f32 v8, v72, v4
	v_add_f32_e32 v9, v74, v5
	ds_load_2addr_b64 v[4:7], v83 offset0:160 offset1:176
	s_wait_dscnt 0x0
	v_dual_mul_f32 v51, v3, v5 :: v_dual_mul_f32 v70, v2, v5
	s_delay_alu instid0(VALU_DEP_1) | instskip(NEXT) | instid1(VALU_DEP_1)
	v_dual_fma_f32 v51, v2, v4, -v51 :: v_dual_fmac_f32 v70, v3, v4
	v_dual_add_f32 v12, v12, v51 :: v_dual_add_f32 v13, v13, v70
	v_mul_f32_e32 v51, v3, v7
	s_delay_alu instid0(VALU_DEP_1) | instskip(NEXT) | instid1(VALU_DEP_1)
	v_dual_fma_f32 v51, v2, v6, -v51 :: v_dual_mul_f32 v2, v2, v7
	v_dual_fmac_f32 v2, v3, v6 :: v_dual_add_f32 v51, v1, v51
	s_delay_alu instid0(VALU_DEP_1) | instskip(NEXT) | instid1(VALU_DEP_1)
	v_dual_mul_f32 v1, v10, v5 :: v_dual_add_f32 v70, v0, v2
	v_dual_mul_f32 v0, v11, v5 :: v_dual_fmac_f32 v1, v11, v4
	s_delay_alu instid0(VALU_DEP_1) | instskip(SKIP_1) | instid1(VALU_DEP_2)
	v_dual_fma_f32 v0, v10, v4, -v0 :: v_dual_add_f32 v15, v15, v1
	v_mul_f32_e32 v1, v10, v7
	v_dual_add_f32 v14, v14, v0 :: v_dual_mul_f32 v0, v11, v7
	s_delay_alu instid0(VALU_DEP_1) | instskip(NEXT) | instid1(VALU_DEP_1)
	v_dual_fmac_f32 v1, v11, v6 :: v_dual_fma_f32 v0, v10, v6, -v0
	v_dual_add_f32 v74, v9, v1 :: v_dual_add_f32 v72, v8, v0
	ds_load_b128 v[0:3], v71 offset:240
	ds_load_2addr_b64 v[8:11], v83 offset0:192 offset1:208
	s_wait_dscnt 0x0
	v_dual_mul_f32 v4, v1, v9 :: v_dual_mul_f32 v5, v0, v9
	s_delay_alu instid0(VALU_DEP_1) | instskip(NEXT) | instid1(VALU_DEP_1)
	v_dual_fma_f32 v4, v0, v8, -v4 :: v_dual_fmac_f32 v5, v1, v8
	v_dual_add_f32 v12, v12, v4 :: v_dual_add_f32 v13, v13, v5
	v_mul_f32_e32 v4, v1, v11
	s_delay_alu instid0(VALU_DEP_1) | instskip(NEXT) | instid1(VALU_DEP_1)
	v_dual_fma_f32 v4, v0, v10, -v4 :: v_dual_mul_f32 v0, v0, v11
	v_fmac_f32_e32 v0, v1, v10
	s_delay_alu instid0(VALU_DEP_1) | instskip(NEXT) | instid1(VALU_DEP_3)
	v_add_f32_e32 v0, v70, v0
	v_add_f32_e32 v1, v51, v4
	ds_load_b128 v[4:7], v71 offset:4336
	s_wait_dscnt 0x0
	v_dual_mul_f32 v51, v5, v9 :: v_dual_mul_f32 v9, v4, v9
	s_delay_alu instid0(VALU_DEP_1) | instskip(SKIP_1) | instid1(VALU_DEP_2)
	v_dual_fma_f32 v51, v4, v8, -v51 :: v_dual_fmac_f32 v9, v5, v8
	v_mul_f32_e32 v8, v5, v11
	v_dual_add_f32 v14, v14, v51 :: v_dual_add_f32 v15, v15, v9
	s_delay_alu instid0(VALU_DEP_2) | instskip(NEXT) | instid1(VALU_DEP_1)
	v_dual_fma_f32 v8, v4, v10, -v8 :: v_dual_mul_f32 v4, v4, v11
	v_fmac_f32_e32 v4, v5, v10
	s_delay_alu instid0(VALU_DEP_1) | instskip(NEXT) | instid1(VALU_DEP_3)
	v_add_f32_e32 v4, v74, v4
	v_add_f32_e32 v5, v72, v8
	ds_load_2addr_b64 v[8:11], v83 offset0:224 offset1:240
	s_wait_dscnt 0x0
	s_barrier_signal -1
	s_barrier_wait -1
	v_dual_mul_f32 v51, v3, v9 :: v_dual_mul_f32 v70, v2, v9
	s_delay_alu instid0(VALU_DEP_1) | instskip(NEXT) | instid1(VALU_DEP_1)
	v_dual_fma_f32 v51, v2, v8, -v51 :: v_dual_fmac_f32 v70, v3, v8
	v_dual_add_f32 v78, v12, v51 :: v_dual_add_f32 v80, v13, v70
	v_mul_f32_e32 v12, v3, v11
	s_delay_alu instid0(VALU_DEP_1) | instskip(NEXT) | instid1(VALU_DEP_1)
	v_dual_fma_f32 v12, v2, v10, -v12 :: v_dual_mul_f32 v2, v2, v11
	v_dual_fmac_f32 v2, v3, v10 :: v_dual_add_f32 v74, v1, v12
	s_delay_alu instid0(VALU_DEP_1) | instskip(NEXT) | instid1(VALU_DEP_1)
	v_dual_mul_f32 v1, v6, v9 :: v_dual_add_f32 v76, v0, v2
	v_dual_mul_f32 v0, v7, v9 :: v_dual_fmac_f32 v1, v7, v8
	s_delay_alu instid0(VALU_DEP_1) | instskip(SKIP_1) | instid1(VALU_DEP_2)
	v_dual_fma_f32 v0, v6, v8, -v0 :: v_dual_add_f32 v72, v15, v1
	v_mul_f32_e32 v1, v6, v11
	v_dual_add_f32 v70, v14, v0 :: v_dual_mul_f32 v0, v7, v11
	s_delay_alu instid0(VALU_DEP_1) | instskip(NEXT) | instid1(VALU_DEP_1)
	v_dual_fmac_f32 v1, v7, v10 :: v_dual_fma_f32 v0, v6, v10, -v0
	v_dual_add_f32 v12, v4, v1 :: v_dual_add_f32 v14, v5, v0
	s_cbranch_scc1 .LBB92_55
.LBB92_11:                              ;   Parent Loop BB92_4 Depth=1
                                        ;     Parent Loop BB92_8 Depth=2
                                        ; =>    This Inner Loop Header: Depth=3
	v_add_nc_u64_e32 v[2:3], s[36:37], v[16:17]
	v_cmp_eq_u64_e64 s7, s[36:37], v[56:57]
	v_add_nc_u64_e32 v[0:1], v[60:61], v[64:65]
	s_delay_alu instid0(VALU_DEP_3) | instskip(SKIP_3) | instid1(SALU_CYCLE_1)
	v_cmp_gt_i64_e64 s5, v[2:3], v[52:53]
	v_cmp_le_i64_e64 s6, s[40:41], v[2:3]
	s_and_b32 s52, s46, s7
	s_or_b32 s7, vcc_lo, s5
	s_or_b32 s7, s7, s52
	s_delay_alu instid0(SALU_CYCLE_1) | instskip(NEXT) | instid1(SALU_CYCLE_1)
	s_nor_b32 s7, s6, s7
	s_and_saveexec_b32 s8, s7
	s_delay_alu instid0(SALU_CYCLE_1)
	s_xor_b32 s7, exec_lo, s8
	s_cbranch_execz .LBB92_13
; %bb.12:                               ;   in Loop: Header=BB92_11 Depth=3
	global_load_b64 v[4:5], v[0:1], off
	s_wait_loadcnt 0x0
	v_xor_b32_e32 v5, 0x80000000, v5
	ds_store_b64 v73, v[4:5]
.LBB92_13:                              ;   in Loop: Header=BB92_11 Depth=3
	s_wait_xcnt 0x0
	s_or_saveexec_b32 s7, s7
	s_xor_b32 s51, s52, -1
	s_xor_b32 exec_lo, exec_lo, s7
	s_cbranch_execz .LBB92_19
; %bb.14:                               ;   in Loop: Header=BB92_11 Depth=3
	s_and_saveexec_b32 s8, s51
	s_delay_alu instid0(SALU_CYCLE_1)
	s_xor_b32 s8, exec_lo, s8
; %bb.15:                               ;   in Loop: Header=BB92_11 Depth=3
	ds_store_b64 v73, v[36:37]
; %bb.16:                               ;   in Loop: Header=BB92_11 Depth=3
	s_and_not1_saveexec_b32 s8, s8
; %bb.17:                               ;   in Loop: Header=BB92_11 Depth=3
	ds_store_b64 v73, v[38:39]
; %bb.18:                               ;   in Loop: Header=BB92_11 Depth=3
	s_or_b32 exec_lo, exec_lo, s8
.LBB92_19:                              ;   in Loop: Header=BB92_11 Depth=3
	s_delay_alu instid0(SALU_CYCLE_1) | instskip(SKIP_2) | instid1(VALU_DEP_2)
	s_or_b32 exec_lo, exec_lo, s7
	v_add_nc_u64_e32 v[4:5], 16, v[2:3]
	v_cmp_eq_u64_e64 s8, s[36:37], v[68:69]
	v_cmp_gt_i64_e64 s9, v[4:5], v[52:53]
	v_cmp_le_i64_e64 s7, s[40:41], v[4:5]
	v_add_nc_u64_e32 v[4:5], v[62:63], v[64:65]
	s_and_b32 s8, s46, s8
	s_or_b32 s9, vcc_lo, s9
	s_delay_alu instid0(SALU_CYCLE_1) | instskip(NEXT) | instid1(SALU_CYCLE_1)
	s_or_b32 s9, s9, s8
	s_nor_b32 s9, s7, s9
	s_delay_alu instid0(SALU_CYCLE_1) | instskip(NEXT) | instid1(SALU_CYCLE_1)
	s_and_saveexec_b32 s53, s9
	s_xor_b32 s9, exec_lo, s53
	s_cbranch_execz .LBB92_21
; %bb.20:                               ;   in Loop: Header=BB92_11 Depth=3
	global_load_b64 v[6:7], v[4:5], off
	s_wait_loadcnt 0x0
	v_xor_b32_e32 v7, 0x80000000, v7
	ds_store_b64 v73, v[6:7] offset:128
.LBB92_21:                              ;   in Loop: Header=BB92_11 Depth=3
	s_wait_xcnt 0x0
	s_and_not1_saveexec_b32 s9, s9
	s_cbranch_execz .LBB92_27
; %bb.22:                               ;   in Loop: Header=BB92_11 Depth=3
	s_xor_b32 s8, s8, -1
	s_delay_alu instid0(SALU_CYCLE_1) | instskip(NEXT) | instid1(SALU_CYCLE_1)
	s_and_saveexec_b32 s53, s8
	s_xor_b32 s8, exec_lo, s53
; %bb.23:                               ;   in Loop: Header=BB92_11 Depth=3
	ds_store_b64 v73, v[36:37] offset:128
; %bb.24:                               ;   in Loop: Header=BB92_11 Depth=3
	s_and_not1_saveexec_b32 s8, s8
; %bb.25:                               ;   in Loop: Header=BB92_11 Depth=3
	ds_store_b64 v73, v[38:39] offset:128
; %bb.26:                               ;   in Loop: Header=BB92_11 Depth=3
	s_or_b32 exec_lo, exec_lo, s8
.LBB92_27:                              ;   in Loop: Header=BB92_11 Depth=3
	s_delay_alu instid0(SALU_CYCLE_1) | instskip(SKIP_4) | instid1(SALU_CYCLE_1)
	s_or_b32 exec_lo, exec_lo, s9
	v_cmp_eq_u64_e64 s8, s[36:37], v[66:67]
	v_cmp_gt_i64_e64 s9, v[2:3], v[54:55]
	s_and_b32 s8, s46, s8
	s_or_b32 s9, s4, s9
	s_or_b32 s9, s9, s8
	s_delay_alu instid0(SALU_CYCLE_1) | instskip(NEXT) | instid1(SALU_CYCLE_1)
	s_nor_b32 s6, s6, s9
	s_and_saveexec_b32 s9, s6
	s_delay_alu instid0(SALU_CYCLE_1)
	s_xor_b32 s6, exec_lo, s9
	s_cbranch_execz .LBB92_29
; %bb.28:                               ;   in Loop: Header=BB92_11 Depth=3
	global_load_b64 v[0:1], v[0:1], off offset:128
	s_wait_loadcnt 0x0
	s_wait_xcnt 0x0
	v_xor_b32_e32 v1, 0x80000000, v1
	ds_store_b64 v73, v[0:1] offset:4096
.LBB92_29:                              ;   in Loop: Header=BB92_11 Depth=3
	s_and_not1_saveexec_b32 s6, s6
	s_cbranch_execz .LBB92_35
; %bb.30:                               ;   in Loop: Header=BB92_11 Depth=3
	s_xor_b32 s8, s8, -1
	s_delay_alu instid0(SALU_CYCLE_1) | instskip(NEXT) | instid1(SALU_CYCLE_1)
	s_and_saveexec_b32 s9, s8
	s_xor_b32 s8, exec_lo, s9
; %bb.31:                               ;   in Loop: Header=BB92_11 Depth=3
	ds_store_b64 v73, v[36:37] offset:4096
; %bb.32:                               ;   in Loop: Header=BB92_11 Depth=3
	s_and_not1_saveexec_b32 s8, s8
; %bb.33:                               ;   in Loop: Header=BB92_11 Depth=3
	ds_store_b64 v73, v[38:39] offset:4096
; %bb.34:                               ;   in Loop: Header=BB92_11 Depth=3
	s_or_b32 exec_lo, exec_lo, s8
.LBB92_35:                              ;   in Loop: Header=BB92_11 Depth=3
	s_delay_alu instid0(SALU_CYCLE_1) | instskip(SKIP_1) | instid1(SALU_CYCLE_1)
	s_or_b32 exec_lo, exec_lo, s6
	s_or_b32 s5, s4, s5
	s_or_b32 s5, s5, s52
	s_delay_alu instid0(SALU_CYCLE_1) | instskip(NEXT) | instid1(SALU_CYCLE_1)
	s_nor_b32 s5, s7, s5
	s_and_saveexec_b32 s6, s5
	s_delay_alu instid0(SALU_CYCLE_1)
	s_xor_b32 s5, exec_lo, s6
	s_cbranch_execz .LBB92_37
; %bb.36:                               ;   in Loop: Header=BB92_11 Depth=3
	global_load_b64 v[0:1], v[4:5], off offset:128
	s_wait_loadcnt 0x0
	v_xor_b32_e32 v1, 0x80000000, v1
	ds_store_b64 v73, v[0:1] offset:4224
.LBB92_37:                              ;   in Loop: Header=BB92_11 Depth=3
	s_wait_xcnt 0x0
	s_and_not1_saveexec_b32 s5, s5
	s_cbranch_execz .LBB92_43
; %bb.38:                               ;   in Loop: Header=BB92_11 Depth=3
	s_and_saveexec_b32 s6, s51
	s_delay_alu instid0(SALU_CYCLE_1)
	s_xor_b32 s6, exec_lo, s6
; %bb.39:                               ;   in Loop: Header=BB92_11 Depth=3
	ds_store_b64 v73, v[36:37] offset:4224
; %bb.40:                               ;   in Loop: Header=BB92_11 Depth=3
	s_and_not1_saveexec_b32 s6, s6
; %bb.41:                               ;   in Loop: Header=BB92_11 Depth=3
	ds_store_b64 v73, v[38:39] offset:4224
; %bb.42:                               ;   in Loop: Header=BB92_11 Depth=3
	s_or_b32 exec_lo, exec_lo, s6
.LBB92_43:                              ;   in Loop: Header=BB92_11 Depth=3
	s_delay_alu instid0(SALU_CYCLE_1) | instskip(SKIP_3) | instid1(VALU_DEP_3)
	s_or_b32 exec_lo, exec_lo, s5
	v_add_nc_u64_e32 v[0:1], s[36:37], v[18:19]
	v_add_nc_u64_e32 v[2:3], v[58:59], v[32:33]
	v_mov_b64_e32 v[4:5], 0
	v_cmp_le_i64_e64 s5, s[40:41], v[0:1]
	s_nor_b32 s7, s5, s0
	s_delay_alu instid0(SALU_CYCLE_1)
	s_and_saveexec_b32 s6, s7
	s_cbranch_execz .LBB92_45
; %bb.44:                               ;   in Loop: Header=BB92_11 Depth=3
	global_load_b64 v[4:5], v[2:3], off offset:-128
.LBB92_45:                              ;   in Loop: Header=BB92_11 Depth=3
	s_wait_xcnt 0x0
	s_or_b32 exec_lo, exec_lo, s6
	s_nor_b32 s5, s5, s1
	s_wait_loadcnt 0x0
	ds_store_b64 v77, v[4:5]
	s_and_saveexec_b32 s6, s5
	s_delay_alu instid0(SALU_CYCLE_1)
	s_xor_b32 s5, exec_lo, s6
	s_cbranch_execz .LBB92_47
; %bb.46:                               ;   in Loop: Header=BB92_11 Depth=3
	global_load_b64 v[2:3], v[2:3], off
	s_wait_loadcnt 0x0
	ds_store_b64 v77, v[2:3] offset:128
.LBB92_47:                              ;   in Loop: Header=BB92_11 Depth=3
	s_wait_xcnt 0x0
	s_and_not1_saveexec_b32 s5, s5
; %bb.48:                               ;   in Loop: Header=BB92_11 Depth=3
	ds_store_b64 v77, v[36:37] offset:128
; %bb.49:                               ;   in Loop: Header=BB92_11 Depth=3
	s_or_b32 exec_lo, exec_lo, s5
	v_cmp_le_i64_e64 s5, s[20:21], v[0:1]
	v_add_nc_u64_e32 v[0:1], v[58:59], v[22:23]
	v_mov_b64_e32 v[2:3], 0
	s_nor_b32 s7, s5, s0
	s_delay_alu instid0(SALU_CYCLE_1)
	s_and_saveexec_b32 s6, s7
	s_cbranch_execz .LBB92_51
; %bb.50:                               ;   in Loop: Header=BB92_11 Depth=3
	global_load_b64 v[2:3], v[0:1], off
.LBB92_51:                              ;   in Loop: Header=BB92_11 Depth=3
	s_wait_xcnt 0x0
	s_or_b32 exec_lo, exec_lo, s6
	s_nor_b32 s5, s5, s1
	s_wait_loadcnt 0x0
	ds_store_b64 v77, v[2:3] offset:4096
	s_and_saveexec_b32 s6, s5
	s_delay_alu instid0(SALU_CYCLE_1)
	s_xor_b32 s5, exec_lo, s6
	s_cbranch_execz .LBB92_53
; %bb.52:                               ;   in Loop: Header=BB92_11 Depth=3
	global_load_b64 v[0:1], v[0:1], off offset:128
	s_wait_loadcnt 0x0
	ds_store_b64 v77, v[0:1] offset:4224
.LBB92_53:                              ;   in Loop: Header=BB92_11 Depth=3
	s_wait_xcnt 0x0
	s_and_not1_saveexec_b32 s5, s5
	s_cbranch_execz .LBB92_10
; %bb.54:                               ;   in Loop: Header=BB92_11 Depth=3
	ds_store_b64 v77, v[36:37] offset:4224
	s_branch .LBB92_10
.LBB92_55:                              ;   in Loop: Header=BB92_8 Depth=2
	s_delay_alu instid0(VALU_DEP_2) | instskip(SKIP_2) | instid1(VALU_DEP_2)
	v_mul_u64_e32 v[0:1], s[28:29], v[52:53]
	v_cmp_gt_i32_e32 vcc_lo, s38, v52
	s_and_b32 s5, s2, vcc_lo
	v_lshl_add_u64 v[0:1], v[0:1], 3, s[26:27]
	s_and_saveexec_b32 s4, s5
	s_cbranch_execz .LBB92_57
; %bb.56:                               ;   in Loop: Header=BB92_8 Depth=2
	s_delay_alu instid0(VALU_DEP_1) | instskip(SKIP_4) | instid1(VALU_DEP_2)
	v_lshl_add_u64 v[2:3], v[20:21], 3, v[0:1]
	v_pk_mul_f32 v[6:7], v[80:81], v[48:49] op_sel_hi:[0,1]
	global_load_b64 v[4:5], v[2:3], off
	v_pk_fma_f32 v[8:9], v[78:79], v[40:41], v[6:7] op_sel_hi:[0,1,1]
	v_pk_fma_f32 v[6:7], v[78:79], v[40:41], v[6:7] neg_lo:[0,0,1] neg_hi:[0,0,1]
	v_mov_b32_e32 v7, v9
	s_wait_loadcnt 0x0
	s_delay_alu instid0(VALU_DEP_1)
	v_pk_add_f32 v[4:5], v[4:5], v[6:7]
	global_store_b64 v[2:3], v[4:5], off
.LBB92_57:                              ;   in Loop: Header=BB92_8 Depth=2
	s_wait_xcnt 0x0
	s_or_b32 exec_lo, exec_lo, s4
	s_and_b32 s5, s3, vcc_lo
	s_delay_alu instid0(SALU_CYCLE_1)
	s_and_saveexec_b32 s4, s5
	s_cbranch_execz .LBB92_59
; %bb.58:                               ;   in Loop: Header=BB92_8 Depth=2
	v_lshl_add_u64 v[0:1], v[26:27], 3, v[0:1]
	v_pk_mul_f32 v[4:5], v[76:77], v[48:49] op_sel_hi:[0,1]
	global_load_b64 v[2:3], v[0:1], off
	v_pk_fma_f32 v[6:7], v[74:75], v[40:41], v[4:5] op_sel_hi:[0,1,1]
	v_pk_fma_f32 v[4:5], v[74:75], v[40:41], v[4:5] neg_lo:[0,0,1] neg_hi:[0,0,1]
	s_delay_alu instid0(VALU_DEP_2) | instskip(SKIP_1) | instid1(VALU_DEP_1)
	v_mov_b32_e32 v5, v7
	s_wait_loadcnt 0x0
	v_pk_add_f32 v[2:3], v[2:3], v[4:5]
	global_store_b64 v[0:1], v[2:3], off
.LBB92_59:                              ;   in Loop: Header=BB92_8 Depth=2
	s_wait_xcnt 0x0
	s_or_b32 exec_lo, exec_lo, s4
	v_add_nc_u32_e32 v0, 16, v52
	s_delay_alu instid0(VALU_DEP_1) | instskip(SKIP_1) | instid1(VALU_DEP_2)
	v_ashrrev_i32_e32 v1, 31, v0
	v_cmp_gt_i32_e32 vcc_lo, s38, v0
	v_mul_u64_e32 v[2:3], s[28:29], v[0:1]
	s_and_b32 s5, s2, vcc_lo
	s_delay_alu instid0(VALU_DEP_1)
	v_lshl_add_u64 v[0:1], v[2:3], 3, s[26:27]
	s_and_saveexec_b32 s4, s5
	s_cbranch_execz .LBB92_61
; %bb.60:                               ;   in Loop: Header=BB92_8 Depth=2
	s_delay_alu instid0(VALU_DEP_1) | instskip(SKIP_4) | instid1(VALU_DEP_2)
	v_lshl_add_u64 v[2:3], v[20:21], 3, v[0:1]
	v_pk_mul_f32 v[6:7], v[72:73], v[48:49] op_sel_hi:[0,1]
	global_load_b64 v[4:5], v[2:3], off
	v_pk_fma_f32 v[8:9], v[70:71], v[40:41], v[6:7] op_sel_hi:[0,1,1]
	v_pk_fma_f32 v[6:7], v[70:71], v[40:41], v[6:7] neg_lo:[0,0,1] neg_hi:[0,0,1]
	v_mov_b32_e32 v7, v9
	s_wait_loadcnt 0x0
	s_delay_alu instid0(VALU_DEP_1)
	v_pk_add_f32 v[4:5], v[4:5], v[6:7]
	global_store_b64 v[2:3], v[4:5], off
.LBB92_61:                              ;   in Loop: Header=BB92_8 Depth=2
	s_wait_xcnt 0x0
	s_or_b32 exec_lo, exec_lo, s4
	s_and_b32 s5, s3, vcc_lo
	s_delay_alu instid0(SALU_CYCLE_1)
	s_and_saveexec_b32 s4, s5
	s_cbranch_execz .LBB92_7
; %bb.62:                               ;   in Loop: Header=BB92_8 Depth=2
	v_lshl_add_u64 v[0:1], v[26:27], 3, v[0:1]
	v_pk_mul_f32 v[4:5], v[12:13], v[48:49] op_sel_hi:[0,1]
	global_load_b64 v[2:3], v[0:1], off
	v_pk_fma_f32 v[6:7], v[14:15], v[40:41], v[4:5] op_sel_hi:[0,1,1]
	v_pk_fma_f32 v[4:5], v[14:15], v[40:41], v[4:5] neg_lo:[0,0,1] neg_hi:[0,0,1]
	s_delay_alu instid0(VALU_DEP_2) | instskip(SKIP_1) | instid1(VALU_DEP_1)
	v_mov_b32_e32 v5, v7
	s_wait_loadcnt 0x0
	v_pk_add_f32 v[2:3], v[2:3], v[4:5]
	global_store_b64 v[0:1], v[2:3], off
	s_branch .LBB92_7
.LBB92_63:
	s_sendmsg sendmsg(MSG_DEALLOC_VGPRS)
	s_endpgm
	.section	.rodata,"a",@progbits
	.p2align	6, 0x0
	.amdhsa_kernel _ZL30rocblas_trmm_outofplace_kernelI19rocblas_complex_numIfELi32ELi2ELb0ELb0ELb1ELb1EPKS1_S2_S1_Ev17rocblas_diagonal_iiT6_lPT7_lllS7_lllPT8_llli
		.amdhsa_group_segment_fixed_size 16384
		.amdhsa_private_segment_fixed_size 0
		.amdhsa_kernarg_size 392
		.amdhsa_user_sgpr_count 2
		.amdhsa_user_sgpr_dispatch_ptr 0
		.amdhsa_user_sgpr_queue_ptr 0
		.amdhsa_user_sgpr_kernarg_segment_ptr 1
		.amdhsa_user_sgpr_dispatch_id 0
		.amdhsa_user_sgpr_kernarg_preload_length 0
		.amdhsa_user_sgpr_kernarg_preload_offset 0
		.amdhsa_user_sgpr_private_segment_size 0
		.amdhsa_wavefront_size32 1
		.amdhsa_uses_dynamic_stack 0
		.amdhsa_enable_private_segment 0
		.amdhsa_system_sgpr_workgroup_id_x 1
		.amdhsa_system_sgpr_workgroup_id_y 1
		.amdhsa_system_sgpr_workgroup_id_z 1
		.amdhsa_system_sgpr_workgroup_info 0
		.amdhsa_system_vgpr_workitem_id 1
		.amdhsa_next_free_vgpr 96
		.amdhsa_next_free_sgpr 54
		.amdhsa_named_barrier_count 0
		.amdhsa_reserve_vcc 1
		.amdhsa_float_round_mode_32 0
		.amdhsa_float_round_mode_16_64 0
		.amdhsa_float_denorm_mode_32 3
		.amdhsa_float_denorm_mode_16_64 3
		.amdhsa_fp16_overflow 0
		.amdhsa_memory_ordered 1
		.amdhsa_forward_progress 1
		.amdhsa_inst_pref_size 59
		.amdhsa_round_robin_scheduling 0
		.amdhsa_exception_fp_ieee_invalid_op 0
		.amdhsa_exception_fp_denorm_src 0
		.amdhsa_exception_fp_ieee_div_zero 0
		.amdhsa_exception_fp_ieee_overflow 0
		.amdhsa_exception_fp_ieee_underflow 0
		.amdhsa_exception_fp_ieee_inexact 0
		.amdhsa_exception_int_div_zero 0
	.end_amdhsa_kernel
	.section	.text._ZL30rocblas_trmm_outofplace_kernelI19rocblas_complex_numIfELi32ELi2ELb0ELb0ELb1ELb1EPKS1_S2_S1_Ev17rocblas_diagonal_iiT6_lPT7_lllS7_lllPT8_llli,"axG",@progbits,_ZL30rocblas_trmm_outofplace_kernelI19rocblas_complex_numIfELi32ELi2ELb0ELb0ELb1ELb1EPKS1_S2_S1_Ev17rocblas_diagonal_iiT6_lPT7_lllS7_lllPT8_llli,comdat
.Lfunc_end92:
	.size	_ZL30rocblas_trmm_outofplace_kernelI19rocblas_complex_numIfELi32ELi2ELb0ELb0ELb1ELb1EPKS1_S2_S1_Ev17rocblas_diagonal_iiT6_lPT7_lllS7_lllPT8_llli, .Lfunc_end92-_ZL30rocblas_trmm_outofplace_kernelI19rocblas_complex_numIfELi32ELi2ELb0ELb0ELb1ELb1EPKS1_S2_S1_Ev17rocblas_diagonal_iiT6_lPT7_lllS7_lllPT8_llli
                                        ; -- End function
	.set _ZL30rocblas_trmm_outofplace_kernelI19rocblas_complex_numIfELi32ELi2ELb0ELb0ELb1ELb1EPKS1_S2_S1_Ev17rocblas_diagonal_iiT6_lPT7_lllS7_lllPT8_llli.num_vgpr, 96
	.set _ZL30rocblas_trmm_outofplace_kernelI19rocblas_complex_numIfELi32ELi2ELb0ELb0ELb1ELb1EPKS1_S2_S1_Ev17rocblas_diagonal_iiT6_lPT7_lllS7_lllPT8_llli.num_agpr, 0
	.set _ZL30rocblas_trmm_outofplace_kernelI19rocblas_complex_numIfELi32ELi2ELb0ELb0ELb1ELb1EPKS1_S2_S1_Ev17rocblas_diagonal_iiT6_lPT7_lllS7_lllPT8_llli.numbered_sgpr, 54
	.set _ZL30rocblas_trmm_outofplace_kernelI19rocblas_complex_numIfELi32ELi2ELb0ELb0ELb1ELb1EPKS1_S2_S1_Ev17rocblas_diagonal_iiT6_lPT7_lllS7_lllPT8_llli.num_named_barrier, 0
	.set _ZL30rocblas_trmm_outofplace_kernelI19rocblas_complex_numIfELi32ELi2ELb0ELb0ELb1ELb1EPKS1_S2_S1_Ev17rocblas_diagonal_iiT6_lPT7_lllS7_lllPT8_llli.private_seg_size, 0
	.set _ZL30rocblas_trmm_outofplace_kernelI19rocblas_complex_numIfELi32ELi2ELb0ELb0ELb1ELb1EPKS1_S2_S1_Ev17rocblas_diagonal_iiT6_lPT7_lllS7_lllPT8_llli.uses_vcc, 1
	.set _ZL30rocblas_trmm_outofplace_kernelI19rocblas_complex_numIfELi32ELi2ELb0ELb0ELb1ELb1EPKS1_S2_S1_Ev17rocblas_diagonal_iiT6_lPT7_lllS7_lllPT8_llli.uses_flat_scratch, 0
	.set _ZL30rocblas_trmm_outofplace_kernelI19rocblas_complex_numIfELi32ELi2ELb0ELb0ELb1ELb1EPKS1_S2_S1_Ev17rocblas_diagonal_iiT6_lPT7_lllS7_lllPT8_llli.has_dyn_sized_stack, 0
	.set _ZL30rocblas_trmm_outofplace_kernelI19rocblas_complex_numIfELi32ELi2ELb0ELb0ELb1ELb1EPKS1_S2_S1_Ev17rocblas_diagonal_iiT6_lPT7_lllS7_lllPT8_llli.has_recursion, 0
	.set _ZL30rocblas_trmm_outofplace_kernelI19rocblas_complex_numIfELi32ELi2ELb0ELb0ELb1ELb1EPKS1_S2_S1_Ev17rocblas_diagonal_iiT6_lPT7_lllS7_lllPT8_llli.has_indirect_call, 0
	.section	.AMDGPU.csdata,"",@progbits
; Kernel info:
; codeLenInByte = 7528
; TotalNumSgprs: 56
; NumVgprs: 96
; ScratchSize: 0
; MemoryBound: 0
; FloatMode: 240
; IeeeMode: 1
; LDSByteSize: 16384 bytes/workgroup (compile time only)
; SGPRBlocks: 0
; VGPRBlocks: 5
; NumSGPRsForWavesPerEU: 56
; NumVGPRsForWavesPerEU: 96
; NamedBarCnt: 0
; Occupancy: 10
; WaveLimiterHint : 0
; COMPUTE_PGM_RSRC2:SCRATCH_EN: 0
; COMPUTE_PGM_RSRC2:USER_SGPR: 2
; COMPUTE_PGM_RSRC2:TRAP_HANDLER: 0
; COMPUTE_PGM_RSRC2:TGID_X_EN: 1
; COMPUTE_PGM_RSRC2:TGID_Y_EN: 1
; COMPUTE_PGM_RSRC2:TGID_Z_EN: 1
; COMPUTE_PGM_RSRC2:TIDIG_COMP_CNT: 1
	.section	.text._ZL30rocblas_trmm_outofplace_kernelI19rocblas_complex_numIfELi32ELi2ELb0ELb0ELb1ELb1ES1_KS1_S1_Ev17rocblas_diagonal_iiT6_lPT7_lllS6_lllPT8_llli,"axG",@progbits,_ZL30rocblas_trmm_outofplace_kernelI19rocblas_complex_numIfELi32ELi2ELb0ELb0ELb1ELb1ES1_KS1_S1_Ev17rocblas_diagonal_iiT6_lPT7_lllS6_lllPT8_llli,comdat
	.globl	_ZL30rocblas_trmm_outofplace_kernelI19rocblas_complex_numIfELi32ELi2ELb0ELb0ELb1ELb1ES1_KS1_S1_Ev17rocblas_diagonal_iiT6_lPT7_lllS6_lllPT8_llli ; -- Begin function _ZL30rocblas_trmm_outofplace_kernelI19rocblas_complex_numIfELi32ELi2ELb0ELb0ELb1ELb1ES1_KS1_S1_Ev17rocblas_diagonal_iiT6_lPT7_lllS6_lllPT8_llli
	.p2align	8
	.type	_ZL30rocblas_trmm_outofplace_kernelI19rocblas_complex_numIfELi32ELi2ELb0ELb0ELb1ELb1ES1_KS1_S1_Ev17rocblas_diagonal_iiT6_lPT7_lllS6_lllPT8_llli,@function
_ZL30rocblas_trmm_outofplace_kernelI19rocblas_complex_numIfELi32ELi2ELb0ELb0ELb1ELb1ES1_KS1_S1_Ev17rocblas_diagonal_iiT6_lPT7_lllS6_lllPT8_llli: ; @_ZL30rocblas_trmm_outofplace_kernelI19rocblas_complex_numIfELi32ELi2ELb0ELb0ELb1ELb1ES1_KS1_S1_Ev17rocblas_diagonal_iiT6_lPT7_lllS6_lllPT8_llli
; %bb.0:
	s_load_b32 s31, s[0:1], 0x80
	s_bfe_u32 s2, ttmp6, 0x40014
	s_lshr_b32 s3, ttmp7, 16
	s_add_co_i32 s2, s2, 1
	s_bfe_u32 s5, ttmp6, 0x40008
	s_mul_i32 s4, s3, s2
	s_getreg_b32 s2, hwreg(HW_REG_IB_STS2, 6, 4)
	s_add_co_i32 s5, s5, s4
	s_cmp_eq_u32 s2, 0
	s_cselect_b32 s34, s3, s5
	s_wait_kmcnt 0x0
	s_cmp_ge_u32 s34, s31
	s_cbranch_scc1 .LBB93_62
; %bb.1:
	s_load_b64 s[36:37], s[0:1], 0xc
	s_wait_kmcnt 0x0
	s_or_b32 s3, s36, s37
	s_delay_alu instid0(SALU_CYCLE_1) | instskip(NEXT) | instid1(SALU_CYCLE_1)
	s_bitset0_b32 s3, 31
	s_cmp_eq_u32 s3, 0
	s_cbranch_scc1 .LBB93_62
; %bb.2:
	s_clause 0x1
	s_load_b96 s[28:30], s[0:1], 0x0
	s_load_b512 s[4:19], s[0:1], 0x20
	s_bfe_u32 s33, ttmp6, 0x4000c
	s_and_b32 s3, ttmp6, 15
	s_add_co_i32 s33, s33, 1
	s_bfe_u32 s39, ttmp6, 0x40010
	s_mul_i32 s33, ttmp9, s33
	s_and_b32 s38, ttmp7, 0xffff
	s_add_co_i32 s39, s39, 1
	s_add_co_i32 s3, s3, s33
	s_bfe_u32 s40, ttmp6, 0x40004
	s_mul_i32 s39, s38, s39
	v_and_b32_e32 v16, 0x3ff, v0
	s_add_co_i32 s40, s40, s39
	v_bfe_u32 v18, v0, 10, 10
	v_mov_b32_e32 v17, 0
	s_load_b256 s[20:27], s[0:1], 0x60
	v_lshlrev_b32_e32 v8, 3, v16
	s_add_nc_u64 s[44:45], s[0:1], 0x88
	v_lshlrev_b32_e32 v67, 8, v18
	s_wait_kmcnt 0x0
	s_add_co_i32 s41, s30, -1
	v_mov_b32_e32 v19, v17
	s_ashr_i32 s42, s41, 31
	v_dual_mov_b32 v5, v17 :: v_dual_add_nc_u32 v71, v67, v8
	s_lshr_b32 s33, s42, 27
	v_mul_u64_e32 v[0:1], s[8:9], v[16:17]
	s_add_co_i32 s41, s41, s33
	v_mul_u64_e32 v[2:3], s[16:17], v[18:19]
	s_ashr_i32 s33, s41, 5
	s_cmp_eq_u32 s2, 0
	v_or_b32_e32 v69, 0x2000, v8
	s_cselect_b32 s2, ttmp9, s3
	s_cselect_b32 s46, s38, s40
	v_lshl_add_u32 v20, s2, 5, v16
	s_cmp_le_i32 s46, s33
	v_add_nc_u32_e32 v8, 0x80, v8
	s_cselect_b32 s47, -1, 0
	s_delay_alu instid0(VALU_DEP_2) | instskip(SKIP_3) | instid1(VALU_DEP_1)
	v_dual_lshlrev_b32 v4, 3, v18 :: v_dual_ashrrev_i32 v21, 31, v20
	s_cmp_eq_u32 s28, 0x84
	s_mov_b32 s2, s29
	s_cselect_b32 s28, -1, 0
	v_add_nc_u64_e32 v[4:5], 0x80, v[4:5]
	s_lshl_b64 s[0:1], s[6:7], 3
	s_ashr_i32 s3, s29, 31
	s_add_nc_u64 s[4:5], s[4:5], s[0:1]
	v_sub_nc_u64_e32 v[6:7], s[2:3], v[20:21]
	v_mad_nc_u64_u32 v[24:25], s8, v8, s[4:5]
	v_dual_add_nc_u32 v73, v69, v67 :: v_dual_add_nc_u32 v26, 16, v20
	v_mul_u64_e32 v[22:23], s[16:17], v[4:5]
	s_lshl_b64 s[6:7], s[14:15], 3
	s_lshl_b64 s[2:3], s[22:23], 3
	s_delay_alu instid0(VALU_DEP_4)
	v_cmp_gt_i64_e64 s0, 1, v[6:7]
	v_cmp_gt_i64_e64 s1, 17, v[6:7]
	v_sub_nc_u64_e32 v[28:29], 0, v[16:17]
	v_mov_b64_e32 v[36:37], 0
	v_lshl_add_u64 v[30:31], v[0:1], 3, s[4:5]
	v_mad_u32 v25, s9, v8, v25
	s_add_nc_u64 s[4:5], s[12:13], s[6:7]
	v_mov_b64_e32 v[38:39], 0x3f800000
	s_lshl_b64 s[42:43], s[16:17], 8
	s_add_nc_u64 s[16:17], s[20:21], s[2:3]
	v_cmp_gt_i32_e64 s2, s29, v20
	v_cmp_gt_i32_e64 s3, s29, v26
	v_ashrrev_i32_e32 v27, 31, v26
	v_lshl_add_u32 v75, s46, 5, v18
	v_lshl_add_u64 v[32:33], v[2:3], 3, 0x80
	v_lshl_add_u64 v[34:35], v[20:21], 3, s[4:5]
	v_add_nc_u32_e32 v77, 0x800, v69
	v_add_nc_u32_e32 v78, 0x1000, v69
	;; [unrolled: 1-line block ×3, first 2 shown]
	s_ashr_i32 s39, s30, 31
	s_mov_b32 s38, s30
	s_mov_b32 s35, 0
	s_lshl_b64 s[40:41], s[8:9], 8
	s_add_nc_u64 s[20:21], s[38:39], -16
	s_mov_b32 s22, s37
	s_mov_b32 s23, s36
	s_lshl_b64 s[10:11], s[10:11], 3
	s_lshl_b64 s[12:13], s[18:19], 3
	s_branch .LBB93_4
.LBB93_3:                               ;   in Loop: Header=BB93_4 Depth=1
	s_add_co_i32 s34, s34, 0x10000
	s_delay_alu instid0(SALU_CYCLE_1)
	s_cmp_ge_u32 s34, s31
	s_cbranch_scc1 .LBB93_62
.LBB93_4:                               ; =>This Loop Header: Depth=1
                                        ;     Child Loop BB93_7 Depth 2
                                        ;       Child Loop BB93_10 Depth 3
	s_and_not1_b32 vcc_lo, exec_lo, s47
	s_cbranch_vccnz .LBB93_3
; %bb.5:                                ;   in Loop: Header=BB93_4 Depth=1
	s_load_b32 s29, s[44:45], 0x4
	v_mad_nc_u64_u32 v[40:41], s12, s34, v[34:35]
	v_mad_nc_u64_u32 v[42:43], s10, s34, v[24:25]
	;; [unrolled: 1-line block ×3, first 2 shown]
	s_mul_i32 s6, s11, s34
	s_mul_u64 s[4:5], s[26:27], s[34:35]
	v_mov_b32_e32 v46, v75
	s_lshl_b64 s[4:5], s[4:5], 3
	s_mov_b32 s49, s46
	s_add_nc_u64 s[14:15], s[16:17], s[4:5]
	s_delay_alu instid0(VALU_DEP_4) | instskip(NEXT) | instid1(VALU_DEP_3)
	v_mad_u32 v41, s13, s34, v41
	v_dual_add_nc_u32 v43, s6, v43 :: v_dual_add_nc_u32 v45, s6, v45
	s_wait_kmcnt 0x0
	s_lshl_b32 s48, s29, 5
	s_branch .LBB93_7
.LBB93_6:                               ;   in Loop: Header=BB93_7 Depth=2
	s_wait_xcnt 0x0
	s_or_b32 exec_lo, exec_lo, s4
	v_add_nc_u32_e32 v46, s48, v46
	s_add_co_i32 s49, s29, s49
	s_delay_alu instid0(SALU_CYCLE_1)
	s_cmp_gt_i32 s49, s33
	s_cbranch_scc1 .LBB93_3
.LBB93_7:                               ;   Parent Loop BB93_4 Depth=1
                                        ; =>  This Loop Header: Depth=2
                                        ;       Child Loop BB93_10 Depth 3
	s_lshl_b32 s50, s49, 5
	s_delay_alu instid0(SALU_CYCLE_1) | instskip(SKIP_2) | instid1(VALU_DEP_3)
	v_dual_mov_b32 v74, 0 :: v_dual_add_nc_u32 v48, s50, v18
	v_dual_mov_b32 v76, 0 :: v_dual_mov_b32 v70, 0
	v_dual_mov_b32 v72, 0 :: v_dual_mov_b32 v66, 0
	v_dual_mov_b32 v68, 0 :: v_dual_ashrrev_i32 v49, 31, v48
	v_dual_mov_b32 v14, 0 :: v_dual_mov_b32 v12, 0
	s_cmp_lt_i32 s49, 0
	s_cbranch_scc1 .LBB93_54
; %bb.8:                                ;   in Loop: Header=BB93_7 Depth=2
	v_dual_mov_b32 v12, 0 :: v_dual_ashrrev_i32 v47, 31, v46
	v_add_nc_u64_e32 v[50:51], 16, v[48:49]
	v_mov_b64_e32 v[54:55], v[40:41]
	v_mov_b64_e32 v[56:57], v[44:45]
	s_delay_alu instid0(VALU_DEP_4)
	v_add_nc_u64_e32 v[52:53], v[28:29], v[46:47]
	v_mov_b64_e32 v[58:59], v[42:43]
	v_lshlrev_b64_e32 v[60:61], 3, v[46:47]
	v_dual_mov_b32 v14, 0 :: v_dual_mov_b32 v68, 0
	v_cmp_le_i64_e64 s4, s[38:39], v[50:51]
	v_dual_mov_b32 v66, 0 :: v_dual_mov_b32 v72, 0
	v_add_nc_u64_e32 v[62:63], 16, v[52:53]
	v_add_nc_u64_e32 v[64:65], -16, v[52:53]
	v_dual_mov_b32 v70, 0 :: v_dual_mov_b32 v76, 0
	v_mov_b32_e32 v74, 0
	s_mov_b64 s[18:19], 0
	v_cmp_le_i32_e32 vcc_lo, s30, v48
	s_branch .LBB93_10
.LBB93_9:                               ;   in Loop: Header=BB93_10 Depth=3
	s_or_b32 exec_lo, exec_lo, s5
	s_wait_dscnt 0x0
	s_barrier_signal -1
	s_barrier_wait -1
	ds_load_b128 v[80:83], v67
	ds_load_b128 v[8:11], v67 offset:16
	ds_load_b128 v[4:7], v67 offset:32
	;; [unrolled: 1-line block ×3, first 2 shown]
	ds_load_2addr_b64 v[84:87], v69 offset1:16
	ds_load_b128 v[88:91], v67 offset:4096
	v_add_nc_u64_e32 v[58:59], s[40:41], v[58:59]
	v_add_nc_u64_e32 v[56:57], s[40:41], v[56:57]
	;; [unrolled: 1-line block ×3, first 2 shown]
	s_add_nc_u64 s[18:19], s[18:19], 32
	s_delay_alu instid0(SALU_CYCLE_1) | instskip(NEXT) | instid1(SALU_CYCLE_1)
	s_sub_co_i32 s5, s18, 32
	s_cmp_ge_i32 s5, s50
	s_wait_dscnt 0x1
	v_dual_mul_f32 v13, v81, v85 :: v_dual_mul_f32 v15, v80, v85
	s_delay_alu instid0(VALU_DEP_1) | instskip(NEXT) | instid1(VALU_DEP_1)
	v_dual_fma_f32 v13, v80, v84, -v13 :: v_dual_fmac_f32 v15, v81, v84
	v_dual_add_f32 v47, v74, v13 :: v_dual_add_f32 v74, v76, v15
	v_dual_mul_f32 v13, v81, v87 :: v_dual_mul_f32 v15, v80, v87
	s_delay_alu instid0(VALU_DEP_1) | instskip(NEXT) | instid1(VALU_DEP_1)
	v_dual_fma_f32 v13, v80, v86, -v13 :: v_dual_fmac_f32 v15, v81, v86
	v_dual_add_f32 v70, v70, v13 :: v_dual_add_f32 v72, v72, v15
	s_wait_dscnt 0x0
	v_dual_mul_f32 v13, v89, v85 :: v_dual_mul_f32 v15, v88, v85
	s_delay_alu instid0(VALU_DEP_1) | instskip(NEXT) | instid1(VALU_DEP_1)
	v_dual_fma_f32 v13, v88, v84, -v13 :: v_dual_fmac_f32 v15, v89, v84
	v_dual_add_f32 v66, v66, v13 :: v_dual_add_f32 v68, v68, v15
	v_dual_mul_f32 v13, v89, v87 :: v_dual_mul_f32 v15, v88, v87
	s_delay_alu instid0(VALU_DEP_1) | instskip(NEXT) | instid1(VALU_DEP_1)
	v_dual_fma_f32 v13, v88, v86, -v13 :: v_dual_fmac_f32 v15, v89, v86
	v_dual_add_f32 v76, v14, v13 :: v_dual_add_f32 v80, v12, v15
	ds_load_2addr_b64 v[12:15], v69 offset0:32 offset1:48
	s_wait_dscnt 0x0
	v_dual_mul_f32 v81, v83, v13 :: v_dual_mul_f32 v84, v82, v13
	s_delay_alu instid0(VALU_DEP_1) | instskip(NEXT) | instid1(VALU_DEP_1)
	v_dual_fma_f32 v81, v82, v12, -v81 :: v_dual_fmac_f32 v84, v83, v12
	v_dual_add_f32 v47, v47, v81 :: v_dual_add_f32 v74, v74, v84
	v_mul_f32_e32 v81, v83, v15
	s_delay_alu instid0(VALU_DEP_1) | instskip(NEXT) | instid1(VALU_DEP_1)
	v_dual_fma_f32 v81, v82, v14, -v81 :: v_dual_mul_f32 v82, v82, v15
	v_dual_fmac_f32 v82, v83, v14 :: v_dual_add_f32 v70, v70, v81
	v_dual_mul_f32 v81, v91, v13 :: v_dual_mul_f32 v13, v90, v13
	s_delay_alu instid0(VALU_DEP_1) | instskip(NEXT) | instid1(VALU_DEP_2)
	v_dual_add_f32 v72, v72, v82 :: v_dual_fmac_f32 v13, v91, v12
	v_dual_fma_f32 v81, v90, v12, -v81 :: v_dual_mul_f32 v12, v91, v15
	s_delay_alu instid0(VALU_DEP_2) | instskip(NEXT) | instid1(VALU_DEP_2)
	v_dual_add_f32 v68, v68, v13 :: v_dual_mul_f32 v13, v90, v15
	v_fma_f32 v12, v90, v14, -v12
	s_delay_alu instid0(VALU_DEP_2) | instskip(NEXT) | instid1(VALU_DEP_1)
	v_dual_add_f32 v66, v66, v81 :: v_dual_fmac_f32 v13, v91, v14
	v_add_f32_e32 v84, v80, v13
	ds_load_2addr_b64 v[80:83], v69 offset0:64 offset1:80
	s_wait_dscnt 0x0
	v_dual_add_f32 v76, v76, v12 :: v_dual_mul_f32 v12, v9, v81
	s_delay_alu instid0(VALU_DEP_1) | instskip(NEXT) | instid1(VALU_DEP_1)
	v_dual_mul_f32 v13, v8, v81 :: v_dual_fma_f32 v12, v8, v80, -v12
	v_fmac_f32_e32 v13, v9, v80
	s_delay_alu instid0(VALU_DEP_1) | instskip(SKIP_1) | instid1(VALU_DEP_1)
	v_dual_add_f32 v47, v47, v12 :: v_dual_add_f32 v74, v74, v13
	v_mul_f32_e32 v12, v9, v83
	v_dual_fma_f32 v12, v8, v82, -v12 :: v_dual_mul_f32 v8, v8, v83
	s_delay_alu instid0(VALU_DEP_1) | instskip(SKIP_3) | instid1(VALU_DEP_1)
	v_dual_fmac_f32 v8, v9, v82 :: v_dual_add_f32 v9, v70, v12
	ds_load_b128 v[12:15], v67 offset:4112
	s_wait_dscnt 0x0
	v_mul_f32_e32 v70, v13, v81
	v_fma_f32 v70, v12, v80, -v70
	v_add_f32_e32 v8, v72, v8
	s_delay_alu instid0(VALU_DEP_2) | instskip(NEXT) | instid1(VALU_DEP_1)
	v_dual_mul_f32 v72, v12, v81 :: v_dual_add_f32 v66, v66, v70
	v_dual_mul_f32 v70, v13, v83 :: v_dual_fmac_f32 v72, v13, v80
	s_delay_alu instid0(VALU_DEP_1) | instskip(NEXT) | instid1(VALU_DEP_1)
	v_dual_fma_f32 v70, v12, v82, -v70 :: v_dual_mul_f32 v12, v12, v83
	v_dual_add_f32 v68, v68, v72 :: v_dual_fmac_f32 v12, v13, v82
	ds_load_2addr_b64 v[80:83], v69 offset0:96 offset1:112
	v_add_f32_e32 v13, v76, v70
	s_wait_dscnt 0x0
	v_dual_add_f32 v12, v84, v12 :: v_dual_mul_f32 v72, v10, v81
	s_delay_alu instid0(VALU_DEP_1) | instskip(NEXT) | instid1(VALU_DEP_1)
	v_dual_mul_f32 v70, v11, v81 :: v_dual_fmac_f32 v72, v11, v80
	v_fma_f32 v70, v10, v80, -v70
	s_delay_alu instid0(VALU_DEP_1) | instskip(SKIP_1) | instid1(VALU_DEP_1)
	v_dual_add_f32 v47, v47, v70 :: v_dual_add_f32 v70, v74, v72
	v_mul_f32_e32 v72, v11, v83
	v_dual_fma_f32 v72, v10, v82, -v72 :: v_dual_mul_f32 v10, v10, v83
	s_delay_alu instid0(VALU_DEP_1) | instskip(NEXT) | instid1(VALU_DEP_1)
	v_dual_fmac_f32 v10, v11, v82 :: v_dual_add_f32 v72, v9, v72
	v_dual_mul_f32 v9, v14, v81 :: v_dual_add_f32 v74, v8, v10
	s_delay_alu instid0(VALU_DEP_1) | instskip(NEXT) | instid1(VALU_DEP_1)
	v_dual_mul_f32 v8, v15, v81 :: v_dual_fmac_f32 v9, v15, v80
	v_dual_fma_f32 v8, v14, v80, -v8 :: v_dual_add_f32 v68, v68, v9
	v_mul_f32_e32 v9, v14, v83
	s_delay_alu instid0(VALU_DEP_2) | instskip(NEXT) | instid1(VALU_DEP_1)
	v_dual_add_f32 v66, v66, v8 :: v_dual_mul_f32 v8, v15, v83
	v_dual_fmac_f32 v9, v15, v82 :: v_dual_fma_f32 v8, v14, v82, -v8
	s_delay_alu instid0(VALU_DEP_1) | instskip(SKIP_3) | instid1(VALU_DEP_1)
	v_dual_add_f32 v80, v12, v9 :: v_dual_add_f32 v76, v13, v8
	ds_load_2addr_b64 v[8:11], v69 offset0:128 offset1:144
	s_wait_dscnt 0x0
	v_dual_mul_f32 v12, v5, v9 :: v_dual_mul_f32 v13, v4, v9
	v_dual_fma_f32 v12, v4, v8, -v12 :: v_dual_fmac_f32 v13, v5, v8
	s_delay_alu instid0(VALU_DEP_1) | instskip(SKIP_1) | instid1(VALU_DEP_1)
	v_dual_add_f32 v47, v47, v12 :: v_dual_add_f32 v70, v70, v13
	v_mul_f32_e32 v12, v5, v11
	v_dual_fma_f32 v12, v4, v10, -v12 :: v_dual_mul_f32 v4, v4, v11
	s_delay_alu instid0(VALU_DEP_1) | instskip(NEXT) | instid1(VALU_DEP_1)
	v_fmac_f32_e32 v4, v5, v10
	v_add_f32_e32 v4, v74, v4
	s_delay_alu instid0(VALU_DEP_3) | instskip(SKIP_3) | instid1(VALU_DEP_1)
	v_add_f32_e32 v5, v72, v12
	ds_load_b128 v[12:15], v67 offset:4128
	s_wait_dscnt 0x0
	v_dual_mul_f32 v72, v13, v9 :: v_dual_mul_f32 v9, v12, v9
	v_dual_fma_f32 v72, v12, v8, -v72 :: v_dual_fmac_f32 v9, v13, v8
	s_delay_alu instid0(VALU_DEP_1) | instskip(NEXT) | instid1(VALU_DEP_2)
	v_dual_mul_f32 v8, v13, v11 :: v_dual_add_f32 v66, v66, v72
	v_add_f32_e32 v68, v68, v9
	s_delay_alu instid0(VALU_DEP_2) | instskip(NEXT) | instid1(VALU_DEP_1)
	v_dual_mul_f32 v9, v12, v11 :: v_dual_fma_f32 v8, v12, v10, -v8
	v_dual_fmac_f32 v9, v13, v10 :: v_dual_add_f32 v12, v76, v8
	s_delay_alu instid0(VALU_DEP_1) | instskip(SKIP_3) | instid1(VALU_DEP_1)
	v_add_f32_e32 v13, v80, v9
	ds_load_2addr_b64 v[8:11], v69 offset0:160 offset1:176
	s_wait_dscnt 0x0
	v_mul_f32_e32 v72, v7, v9
	v_dual_fma_f32 v72, v6, v8, -v72 :: v_dual_mul_f32 v74, v6, v9
	s_delay_alu instid0(VALU_DEP_1) | instskip(NEXT) | instid1(VALU_DEP_2)
	v_add_f32_e32 v47, v47, v72
	v_dual_fmac_f32 v74, v7, v8 :: v_dual_mul_f32 v72, v7, v11
	s_delay_alu instid0(VALU_DEP_1) | instskip(NEXT) | instid1(VALU_DEP_1)
	v_dual_fma_f32 v72, v6, v10, -v72 :: v_dual_mul_f32 v6, v6, v11
	v_dual_add_f32 v70, v70, v74 :: v_dual_add_f32 v72, v5, v72
	s_delay_alu instid0(VALU_DEP_2) | instskip(NEXT) | instid1(VALU_DEP_1)
	v_dual_fmac_f32 v6, v7, v10 :: v_dual_mul_f32 v5, v14, v9
	v_dual_add_f32 v74, v4, v6 :: v_dual_mul_f32 v4, v15, v9
	s_delay_alu instid0(VALU_DEP_1) | instskip(NEXT) | instid1(VALU_DEP_1)
	v_fma_f32 v4, v14, v8, -v4
	v_dual_add_f32 v66, v66, v4 :: v_dual_mul_f32 v4, v15, v11
	s_delay_alu instid0(VALU_DEP_1) | instskip(NEXT) | instid1(VALU_DEP_1)
	v_dual_fmac_f32 v5, v15, v8 :: v_dual_fma_f32 v4, v14, v10, -v4
	v_dual_add_f32 v68, v68, v5 :: v_dual_mul_f32 v5, v14, v11
	s_delay_alu instid0(VALU_DEP_1) | instskip(NEXT) | instid1(VALU_DEP_1)
	v_dual_add_f32 v12, v12, v4 :: v_dual_fmac_f32 v5, v15, v10
	v_add_f32_e32 v13, v13, v5
	ds_load_2addr_b64 v[4:7], v69 offset0:192 offset1:208
	s_wait_dscnt 0x0
	v_dual_mul_f32 v9, v0, v5 :: v_dual_mul_f32 v8, v1, v5
	s_delay_alu instid0(VALU_DEP_1) | instskip(NEXT) | instid1(VALU_DEP_1)
	v_dual_fmac_f32 v9, v1, v4 :: v_dual_fma_f32 v8, v0, v4, -v8
	v_dual_add_f32 v15, v70, v9 :: v_dual_add_f32 v14, v47, v8
	v_mul_f32_e32 v8, v1, v7
	s_delay_alu instid0(VALU_DEP_1) | instskip(NEXT) | instid1(VALU_DEP_1)
	v_dual_fma_f32 v8, v0, v6, -v8 :: v_dual_mul_f32 v0, v0, v7
	v_fmac_f32_e32 v0, v1, v6
	s_delay_alu instid0(VALU_DEP_1) | instskip(NEXT) | instid1(VALU_DEP_3)
	v_add_f32_e32 v0, v74, v0
	v_add_f32_e32 v1, v72, v8
	ds_load_b128 v[8:11], v67 offset:4144
	s_wait_dscnt 0x0
	v_dual_mul_f32 v47, v9, v5 :: v_dual_mul_f32 v5, v8, v5
	s_delay_alu instid0(VALU_DEP_1) | instskip(SKIP_1) | instid1(VALU_DEP_2)
	v_dual_fma_f32 v47, v8, v4, -v47 :: v_dual_fmac_f32 v5, v9, v4
	v_mul_f32_e32 v4, v9, v7
	v_dual_add_f32 v47, v66, v47 :: v_dual_add_f32 v66, v68, v5
	s_delay_alu instid0(VALU_DEP_2) | instskip(NEXT) | instid1(VALU_DEP_1)
	v_dual_mul_f32 v5, v8, v7 :: v_dual_fma_f32 v4, v8, v6, -v4
	v_dual_fmac_f32 v5, v9, v6 :: v_dual_add_f32 v8, v12, v4
	s_delay_alu instid0(VALU_DEP_1) | instskip(SKIP_3) | instid1(VALU_DEP_1)
	v_add_f32_e32 v9, v13, v5
	ds_load_2addr_b64 v[4:7], v69 offset0:224 offset1:240
	s_wait_dscnt 0x0
	v_dual_mul_f32 v12, v3, v5 :: v_dual_mul_f32 v13, v2, v5
	v_dual_fma_f32 v12, v2, v4, -v12 :: v_dual_fmac_f32 v13, v3, v4
	s_delay_alu instid0(VALU_DEP_1) | instskip(SKIP_1) | instid1(VALU_DEP_1)
	v_dual_add_f32 v12, v14, v12 :: v_dual_add_f32 v13, v15, v13
	v_mul_f32_e32 v14, v3, v7
	v_dual_fma_f32 v14, v2, v6, -v14 :: v_dual_mul_f32 v2, v2, v7
	s_delay_alu instid0(VALU_DEP_1) | instskip(NEXT) | instid1(VALU_DEP_1)
	v_fmac_f32_e32 v2, v3, v6
	v_dual_add_f32 v15, v0, v2 :: v_dual_mul_f32 v0, v11, v5
	s_delay_alu instid0(VALU_DEP_3) | instskip(NEXT) | instid1(VALU_DEP_1)
	v_dual_add_f32 v14, v1, v14 :: v_dual_mul_f32 v1, v10, v5
	v_dual_fma_f32 v0, v10, v4, -v0 :: v_dual_fmac_f32 v1, v11, v4
	s_delay_alu instid0(VALU_DEP_1) | instskip(NEXT) | instid1(VALU_DEP_2)
	v_add_f32_e32 v47, v47, v0
	v_dual_mul_f32 v0, v11, v7 :: v_dual_add_f32 v66, v66, v1
	s_delay_alu instid0(VALU_DEP_1) | instskip(NEXT) | instid1(VALU_DEP_1)
	v_dual_mul_f32 v1, v10, v7 :: v_dual_fma_f32 v0, v10, v6, -v0
	v_dual_fmac_f32 v1, v11, v6 :: v_dual_add_f32 v68, v8, v0
	s_delay_alu instid0(VALU_DEP_1) | instskip(SKIP_4) | instid1(VALU_DEP_1)
	v_add_f32_e32 v70, v9, v1
	ds_load_b128 v[0:3], v67 offset:64
	ds_load_2addr_b64 v[4:7], v77 offset1:16
	s_wait_dscnt 0x0
	v_dual_mul_f32 v8, v1, v5 :: v_dual_mul_f32 v9, v0, v5
	v_dual_fma_f32 v8, v0, v4, -v8 :: v_dual_fmac_f32 v9, v1, v4
	s_delay_alu instid0(VALU_DEP_1) | instskip(SKIP_1) | instid1(VALU_DEP_1)
	v_dual_add_f32 v12, v12, v8 :: v_dual_add_f32 v13, v13, v9
	v_mul_f32_e32 v8, v1, v7
	v_dual_fma_f32 v8, v0, v6, -v8 :: v_dual_mul_f32 v0, v0, v7
	s_delay_alu instid0(VALU_DEP_1) | instskip(NEXT) | instid1(VALU_DEP_1)
	v_fmac_f32_e32 v0, v1, v6
	v_add_f32_e32 v0, v15, v0
	s_delay_alu instid0(VALU_DEP_3) | instskip(SKIP_3) | instid1(VALU_DEP_1)
	v_add_f32_e32 v1, v14, v8
	ds_load_b128 v[8:11], v67 offset:4160
	s_wait_dscnt 0x0
	v_dual_mul_f32 v14, v9, v5 :: v_dual_mul_f32 v5, v8, v5
	v_dual_fma_f32 v14, v8, v4, -v14 :: v_dual_fmac_f32 v5, v9, v4
	s_delay_alu instid0(VALU_DEP_1) | instskip(NEXT) | instid1(VALU_DEP_2)
	v_dual_mul_f32 v4, v9, v7 :: v_dual_add_f32 v14, v47, v14
	v_dual_add_f32 v15, v66, v5 :: v_dual_mul_f32 v5, v8, v7
	s_delay_alu instid0(VALU_DEP_1) | instskip(NEXT) | instid1(VALU_DEP_1)
	v_dual_fma_f32 v4, v8, v6, -v4 :: v_dual_fmac_f32 v5, v9, v6
	v_dual_add_f32 v8, v68, v4 :: v_dual_add_f32 v9, v70, v5
	ds_load_2addr_b64 v[4:7], v77 offset0:32 offset1:48
	s_wait_dscnt 0x0
	v_dual_mul_f32 v47, v3, v5 :: v_dual_mul_f32 v66, v2, v5
	s_delay_alu instid0(VALU_DEP_1) | instskip(NEXT) | instid1(VALU_DEP_1)
	v_dual_fma_f32 v47, v2, v4, -v47 :: v_dual_fmac_f32 v66, v3, v4
	v_dual_add_f32 v12, v12, v47 :: v_dual_add_f32 v13, v13, v66
	v_mul_f32_e32 v47, v3, v7
	s_delay_alu instid0(VALU_DEP_1) | instskip(NEXT) | instid1(VALU_DEP_1)
	v_dual_fma_f32 v47, v2, v6, -v47 :: v_dual_mul_f32 v2, v2, v7
	v_dual_fmac_f32 v2, v3, v6 :: v_dual_add_f32 v47, v1, v47
	s_delay_alu instid0(VALU_DEP_1) | instskip(NEXT) | instid1(VALU_DEP_1)
	v_dual_mul_f32 v1, v10, v5 :: v_dual_add_f32 v66, v0, v2
	v_dual_mul_f32 v0, v11, v5 :: v_dual_fmac_f32 v1, v11, v4
	s_delay_alu instid0(VALU_DEP_1) | instskip(SKIP_1) | instid1(VALU_DEP_2)
	v_dual_fma_f32 v0, v10, v4, -v0 :: v_dual_add_f32 v15, v15, v1
	v_mul_f32_e32 v1, v10, v7
	v_dual_add_f32 v14, v14, v0 :: v_dual_mul_f32 v0, v11, v7
	s_delay_alu instid0(VALU_DEP_1) | instskip(NEXT) | instid1(VALU_DEP_1)
	v_dual_fmac_f32 v1, v11, v6 :: v_dual_fma_f32 v0, v10, v6, -v0
	v_dual_add_f32 v70, v9, v1 :: v_dual_add_f32 v68, v8, v0
	ds_load_b128 v[0:3], v67 offset:80
	ds_load_2addr_b64 v[4:7], v77 offset0:64 offset1:80
	s_wait_dscnt 0x0
	v_dual_mul_f32 v8, v1, v5 :: v_dual_mul_f32 v9, v0, v5
	s_delay_alu instid0(VALU_DEP_1) | instskip(NEXT) | instid1(VALU_DEP_1)
	v_dual_fma_f32 v8, v0, v4, -v8 :: v_dual_fmac_f32 v9, v1, v4
	v_dual_add_f32 v12, v12, v8 :: v_dual_add_f32 v13, v13, v9
	v_mul_f32_e32 v8, v1, v7
	s_delay_alu instid0(VALU_DEP_1) | instskip(NEXT) | instid1(VALU_DEP_1)
	v_dual_fma_f32 v8, v0, v6, -v8 :: v_dual_mul_f32 v0, v0, v7
	v_fmac_f32_e32 v0, v1, v6
	s_delay_alu instid0(VALU_DEP_1) | instskip(NEXT) | instid1(VALU_DEP_3)
	v_add_f32_e32 v0, v66, v0
	v_add_f32_e32 v1, v47, v8
	ds_load_b128 v[8:11], v67 offset:4176
	s_wait_dscnt 0x0
	v_dual_mul_f32 v47, v9, v5 :: v_dual_mul_f32 v5, v8, v5
	s_delay_alu instid0(VALU_DEP_1) | instskip(SKIP_1) | instid1(VALU_DEP_2)
	v_dual_fma_f32 v47, v8, v4, -v47 :: v_dual_fmac_f32 v5, v9, v4
	v_mul_f32_e32 v4, v9, v7
	v_dual_add_f32 v14, v14, v47 :: v_dual_add_f32 v15, v15, v5
	s_delay_alu instid0(VALU_DEP_2) | instskip(NEXT) | instid1(VALU_DEP_1)
	v_dual_mul_f32 v5, v8, v7 :: v_dual_fma_f32 v4, v8, v6, -v4
	v_dual_fmac_f32 v5, v9, v6 :: v_dual_add_f32 v8, v68, v4
	s_delay_alu instid0(VALU_DEP_1) | instskip(SKIP_3) | instid1(VALU_DEP_1)
	v_add_f32_e32 v9, v70, v5
	ds_load_2addr_b64 v[4:7], v77 offset0:96 offset1:112
	s_wait_dscnt 0x0
	v_dual_mul_f32 v47, v3, v5 :: v_dual_mul_f32 v66, v2, v5
	v_dual_fma_f32 v47, v2, v4, -v47 :: v_dual_fmac_f32 v66, v3, v4
	s_delay_alu instid0(VALU_DEP_1) | instskip(SKIP_1) | instid1(VALU_DEP_1)
	v_dual_add_f32 v12, v12, v47 :: v_dual_add_f32 v13, v13, v66
	v_mul_f32_e32 v47, v3, v7
	v_dual_fma_f32 v47, v2, v6, -v47 :: v_dual_mul_f32 v2, v2, v7
	s_delay_alu instid0(VALU_DEP_1) | instskip(NEXT) | instid1(VALU_DEP_1)
	v_dual_fmac_f32 v2, v3, v6 :: v_dual_add_f32 v47, v1, v47
	v_dual_mul_f32 v1, v10, v5 :: v_dual_add_f32 v66, v0, v2
	s_delay_alu instid0(VALU_DEP_1) | instskip(NEXT) | instid1(VALU_DEP_1)
	v_dual_mul_f32 v0, v11, v5 :: v_dual_fmac_f32 v1, v11, v4
	v_dual_fma_f32 v0, v10, v4, -v0 :: v_dual_add_f32 v15, v15, v1
	v_mul_f32_e32 v1, v10, v7
	s_delay_alu instid0(VALU_DEP_2) | instskip(NEXT) | instid1(VALU_DEP_1)
	v_dual_add_f32 v14, v14, v0 :: v_dual_mul_f32 v0, v11, v7
	v_dual_fmac_f32 v1, v11, v6 :: v_dual_fma_f32 v0, v10, v6, -v0
	s_delay_alu instid0(VALU_DEP_1) | instskip(SKIP_4) | instid1(VALU_DEP_1)
	v_dual_add_f32 v70, v9, v1 :: v_dual_add_f32 v68, v8, v0
	ds_load_b128 v[0:3], v67 offset:96
	ds_load_2addr_b64 v[4:7], v77 offset0:128 offset1:144
	s_wait_dscnt 0x0
	v_dual_mul_f32 v8, v1, v5 :: v_dual_mul_f32 v9, v0, v5
	v_dual_fma_f32 v8, v0, v4, -v8 :: v_dual_fmac_f32 v9, v1, v4
	s_delay_alu instid0(VALU_DEP_1) | instskip(SKIP_1) | instid1(VALU_DEP_1)
	v_dual_add_f32 v12, v12, v8 :: v_dual_add_f32 v13, v13, v9
	v_mul_f32_e32 v8, v1, v7
	v_dual_fma_f32 v8, v0, v6, -v8 :: v_dual_mul_f32 v0, v0, v7
	s_delay_alu instid0(VALU_DEP_1) | instskip(NEXT) | instid1(VALU_DEP_1)
	v_fmac_f32_e32 v0, v1, v6
	v_add_f32_e32 v0, v66, v0
	s_delay_alu instid0(VALU_DEP_3) | instskip(SKIP_3) | instid1(VALU_DEP_1)
	v_add_f32_e32 v1, v47, v8
	ds_load_b128 v[8:11], v67 offset:4192
	s_wait_dscnt 0x0
	v_dual_mul_f32 v47, v9, v5 :: v_dual_mul_f32 v5, v8, v5
	v_dual_fma_f32 v47, v8, v4, -v47 :: v_dual_fmac_f32 v5, v9, v4
	v_mul_f32_e32 v4, v9, v7
	s_delay_alu instid0(VALU_DEP_2) | instskip(NEXT) | instid1(VALU_DEP_2)
	v_dual_add_f32 v14, v14, v47 :: v_dual_add_f32 v15, v15, v5
	v_dual_mul_f32 v5, v8, v7 :: v_dual_fma_f32 v4, v8, v6, -v4
	s_delay_alu instid0(VALU_DEP_1) | instskip(NEXT) | instid1(VALU_DEP_1)
	v_dual_fmac_f32 v5, v9, v6 :: v_dual_add_f32 v8, v68, v4
	v_add_f32_e32 v9, v70, v5
	ds_load_2addr_b64 v[4:7], v77 offset0:160 offset1:176
	s_wait_dscnt 0x0
	v_dual_mul_f32 v47, v3, v5 :: v_dual_mul_f32 v66, v2, v5
	s_delay_alu instid0(VALU_DEP_1) | instskip(NEXT) | instid1(VALU_DEP_1)
	v_dual_fma_f32 v47, v2, v4, -v47 :: v_dual_fmac_f32 v66, v3, v4
	v_dual_add_f32 v12, v12, v47 :: v_dual_add_f32 v13, v13, v66
	v_mul_f32_e32 v47, v3, v7
	s_delay_alu instid0(VALU_DEP_1) | instskip(NEXT) | instid1(VALU_DEP_1)
	v_dual_fma_f32 v47, v2, v6, -v47 :: v_dual_mul_f32 v2, v2, v7
	v_dual_fmac_f32 v2, v3, v6 :: v_dual_add_f32 v47, v1, v47
	s_delay_alu instid0(VALU_DEP_1) | instskip(NEXT) | instid1(VALU_DEP_1)
	v_dual_mul_f32 v1, v10, v5 :: v_dual_add_f32 v66, v0, v2
	v_dual_mul_f32 v0, v11, v5 :: v_dual_fmac_f32 v1, v11, v4
	s_delay_alu instid0(VALU_DEP_1) | instskip(SKIP_1) | instid1(VALU_DEP_2)
	v_dual_fma_f32 v0, v10, v4, -v0 :: v_dual_add_f32 v15, v15, v1
	v_mul_f32_e32 v1, v10, v7
	v_dual_add_f32 v14, v14, v0 :: v_dual_mul_f32 v0, v11, v7
	s_delay_alu instid0(VALU_DEP_1) | instskip(NEXT) | instid1(VALU_DEP_1)
	v_dual_fmac_f32 v1, v11, v6 :: v_dual_fma_f32 v0, v10, v6, -v0
	v_dual_add_f32 v70, v9, v1 :: v_dual_add_f32 v68, v8, v0
	ds_load_b128 v[0:3], v67 offset:112
	ds_load_2addr_b64 v[4:7], v77 offset0:192 offset1:208
	s_wait_dscnt 0x0
	v_dual_mul_f32 v8, v1, v5 :: v_dual_mul_f32 v9, v0, v5
	s_delay_alu instid0(VALU_DEP_1) | instskip(NEXT) | instid1(VALU_DEP_1)
	v_dual_fma_f32 v8, v0, v4, -v8 :: v_dual_fmac_f32 v9, v1, v4
	v_dual_add_f32 v12, v12, v8 :: v_dual_add_f32 v13, v13, v9
	v_mul_f32_e32 v8, v1, v7
	s_delay_alu instid0(VALU_DEP_1) | instskip(NEXT) | instid1(VALU_DEP_1)
	v_dual_fma_f32 v8, v0, v6, -v8 :: v_dual_mul_f32 v0, v0, v7
	v_fmac_f32_e32 v0, v1, v6
	s_delay_alu instid0(VALU_DEP_1) | instskip(NEXT) | instid1(VALU_DEP_3)
	v_add_f32_e32 v0, v66, v0
	v_add_f32_e32 v1, v47, v8
	ds_load_b128 v[8:11], v67 offset:4208
	s_wait_dscnt 0x0
	v_dual_mul_f32 v47, v9, v5 :: v_dual_mul_f32 v5, v8, v5
	s_delay_alu instid0(VALU_DEP_1) | instskip(SKIP_1) | instid1(VALU_DEP_2)
	v_dual_fma_f32 v47, v8, v4, -v47 :: v_dual_fmac_f32 v5, v9, v4
	v_mul_f32_e32 v4, v9, v7
	v_dual_add_f32 v14, v14, v47 :: v_dual_add_f32 v15, v15, v5
	s_delay_alu instid0(VALU_DEP_2) | instskip(NEXT) | instid1(VALU_DEP_1)
	v_dual_mul_f32 v5, v8, v7 :: v_dual_fma_f32 v4, v8, v6, -v4
	v_dual_fmac_f32 v5, v9, v6 :: v_dual_add_f32 v8, v68, v4
	s_delay_alu instid0(VALU_DEP_1) | instskip(SKIP_3) | instid1(VALU_DEP_1)
	v_add_f32_e32 v9, v70, v5
	ds_load_2addr_b64 v[4:7], v77 offset0:224 offset1:240
	s_wait_dscnt 0x0
	v_dual_mul_f32 v47, v3, v5 :: v_dual_mul_f32 v66, v2, v5
	v_dual_fma_f32 v47, v2, v4, -v47 :: v_dual_fmac_f32 v66, v3, v4
	s_delay_alu instid0(VALU_DEP_1) | instskip(SKIP_1) | instid1(VALU_DEP_1)
	v_dual_add_f32 v12, v12, v47 :: v_dual_add_f32 v13, v13, v66
	v_mul_f32_e32 v47, v3, v7
	v_dual_fma_f32 v47, v2, v6, -v47 :: v_dual_mul_f32 v2, v2, v7
	s_delay_alu instid0(VALU_DEP_1) | instskip(NEXT) | instid1(VALU_DEP_1)
	v_dual_fmac_f32 v2, v3, v6 :: v_dual_add_f32 v47, v1, v47
	v_dual_mul_f32 v1, v10, v5 :: v_dual_add_f32 v66, v0, v2
	s_delay_alu instid0(VALU_DEP_1) | instskip(NEXT) | instid1(VALU_DEP_1)
	v_dual_mul_f32 v0, v11, v5 :: v_dual_fmac_f32 v1, v11, v4
	v_dual_fma_f32 v0, v10, v4, -v0 :: v_dual_add_f32 v15, v15, v1
	v_mul_f32_e32 v1, v10, v7
	s_delay_alu instid0(VALU_DEP_2) | instskip(NEXT) | instid1(VALU_DEP_1)
	v_dual_add_f32 v14, v14, v0 :: v_dual_mul_f32 v0, v11, v7
	v_dual_fmac_f32 v1, v11, v6 :: v_dual_fma_f32 v0, v10, v6, -v0
	s_delay_alu instid0(VALU_DEP_1) | instskip(SKIP_4) | instid1(VALU_DEP_1)
	v_dual_add_f32 v70, v9, v1 :: v_dual_add_f32 v68, v8, v0
	ds_load_b128 v[0:3], v67 offset:128
	ds_load_2addr_b64 v[4:7], v78 offset1:16
	s_wait_dscnt 0x0
	v_dual_mul_f32 v8, v1, v5 :: v_dual_mul_f32 v9, v0, v5
	v_dual_fma_f32 v8, v0, v4, -v8 :: v_dual_fmac_f32 v9, v1, v4
	s_delay_alu instid0(VALU_DEP_1) | instskip(SKIP_1) | instid1(VALU_DEP_1)
	v_dual_add_f32 v12, v12, v8 :: v_dual_add_f32 v13, v13, v9
	v_mul_f32_e32 v8, v1, v7
	v_dual_fma_f32 v8, v0, v6, -v8 :: v_dual_mul_f32 v0, v0, v7
	s_delay_alu instid0(VALU_DEP_1) | instskip(NEXT) | instid1(VALU_DEP_1)
	v_fmac_f32_e32 v0, v1, v6
	v_add_f32_e32 v0, v66, v0
	s_delay_alu instid0(VALU_DEP_3) | instskip(SKIP_3) | instid1(VALU_DEP_1)
	v_add_f32_e32 v1, v47, v8
	ds_load_b128 v[8:11], v67 offset:4224
	s_wait_dscnt 0x0
	v_dual_mul_f32 v47, v9, v5 :: v_dual_mul_f32 v5, v8, v5
	v_dual_fma_f32 v47, v8, v4, -v47 :: v_dual_fmac_f32 v5, v9, v4
	v_mul_f32_e32 v4, v9, v7
	s_delay_alu instid0(VALU_DEP_2) | instskip(NEXT) | instid1(VALU_DEP_2)
	v_dual_add_f32 v14, v14, v47 :: v_dual_add_f32 v15, v15, v5
	v_dual_mul_f32 v5, v8, v7 :: v_dual_fma_f32 v4, v8, v6, -v4
	s_delay_alu instid0(VALU_DEP_1) | instskip(NEXT) | instid1(VALU_DEP_1)
	v_dual_fmac_f32 v5, v9, v6 :: v_dual_add_f32 v8, v68, v4
	v_add_f32_e32 v9, v70, v5
	ds_load_2addr_b64 v[4:7], v78 offset0:32 offset1:48
	s_wait_dscnt 0x0
	v_dual_mul_f32 v47, v3, v5 :: v_dual_mul_f32 v66, v2, v5
	s_delay_alu instid0(VALU_DEP_1) | instskip(NEXT) | instid1(VALU_DEP_1)
	v_dual_fma_f32 v47, v2, v4, -v47 :: v_dual_fmac_f32 v66, v3, v4
	v_dual_add_f32 v12, v12, v47 :: v_dual_add_f32 v13, v13, v66
	v_mul_f32_e32 v47, v3, v7
	s_delay_alu instid0(VALU_DEP_1) | instskip(NEXT) | instid1(VALU_DEP_1)
	v_dual_fma_f32 v47, v2, v6, -v47 :: v_dual_mul_f32 v2, v2, v7
	v_dual_fmac_f32 v2, v3, v6 :: v_dual_add_f32 v47, v1, v47
	s_delay_alu instid0(VALU_DEP_1) | instskip(NEXT) | instid1(VALU_DEP_1)
	v_dual_mul_f32 v1, v10, v5 :: v_dual_add_f32 v66, v0, v2
	v_dual_mul_f32 v0, v11, v5 :: v_dual_fmac_f32 v1, v11, v4
	s_delay_alu instid0(VALU_DEP_1) | instskip(SKIP_1) | instid1(VALU_DEP_2)
	v_dual_fma_f32 v0, v10, v4, -v0 :: v_dual_add_f32 v15, v15, v1
	v_mul_f32_e32 v1, v10, v7
	v_dual_add_f32 v14, v14, v0 :: v_dual_mul_f32 v0, v11, v7
	s_delay_alu instid0(VALU_DEP_1) | instskip(NEXT) | instid1(VALU_DEP_1)
	v_dual_fmac_f32 v1, v11, v6 :: v_dual_fma_f32 v0, v10, v6, -v0
	v_dual_add_f32 v70, v9, v1 :: v_dual_add_f32 v68, v8, v0
	ds_load_b128 v[0:3], v67 offset:144
	ds_load_2addr_b64 v[4:7], v78 offset0:64 offset1:80
	s_wait_dscnt 0x0
	v_dual_mul_f32 v8, v1, v5 :: v_dual_mul_f32 v9, v0, v5
	s_delay_alu instid0(VALU_DEP_1) | instskip(NEXT) | instid1(VALU_DEP_1)
	v_dual_fma_f32 v8, v0, v4, -v8 :: v_dual_fmac_f32 v9, v1, v4
	v_dual_add_f32 v12, v12, v8 :: v_dual_add_f32 v13, v13, v9
	v_mul_f32_e32 v8, v1, v7
	s_delay_alu instid0(VALU_DEP_1) | instskip(NEXT) | instid1(VALU_DEP_1)
	v_dual_fma_f32 v8, v0, v6, -v8 :: v_dual_mul_f32 v0, v0, v7
	v_fmac_f32_e32 v0, v1, v6
	s_delay_alu instid0(VALU_DEP_1) | instskip(NEXT) | instid1(VALU_DEP_3)
	v_add_f32_e32 v0, v66, v0
	v_add_f32_e32 v1, v47, v8
	ds_load_b128 v[8:11], v67 offset:4240
	s_wait_dscnt 0x0
	v_dual_mul_f32 v47, v9, v5 :: v_dual_mul_f32 v5, v8, v5
	s_delay_alu instid0(VALU_DEP_1) | instskip(SKIP_1) | instid1(VALU_DEP_2)
	v_dual_fma_f32 v47, v8, v4, -v47 :: v_dual_fmac_f32 v5, v9, v4
	v_mul_f32_e32 v4, v9, v7
	v_dual_add_f32 v14, v14, v47 :: v_dual_add_f32 v15, v15, v5
	s_delay_alu instid0(VALU_DEP_2) | instskip(NEXT) | instid1(VALU_DEP_1)
	v_dual_mul_f32 v5, v8, v7 :: v_dual_fma_f32 v4, v8, v6, -v4
	v_dual_fmac_f32 v5, v9, v6 :: v_dual_add_f32 v8, v68, v4
	s_delay_alu instid0(VALU_DEP_1) | instskip(SKIP_3) | instid1(VALU_DEP_1)
	v_add_f32_e32 v9, v70, v5
	ds_load_2addr_b64 v[4:7], v78 offset0:96 offset1:112
	s_wait_dscnt 0x0
	v_dual_mul_f32 v47, v3, v5 :: v_dual_mul_f32 v66, v2, v5
	v_dual_fma_f32 v47, v2, v4, -v47 :: v_dual_fmac_f32 v66, v3, v4
	s_delay_alu instid0(VALU_DEP_1) | instskip(SKIP_1) | instid1(VALU_DEP_1)
	v_dual_add_f32 v12, v12, v47 :: v_dual_add_f32 v13, v13, v66
	v_mul_f32_e32 v47, v3, v7
	v_dual_fma_f32 v47, v2, v6, -v47 :: v_dual_mul_f32 v2, v2, v7
	s_delay_alu instid0(VALU_DEP_1) | instskip(NEXT) | instid1(VALU_DEP_1)
	v_dual_fmac_f32 v2, v3, v6 :: v_dual_add_f32 v47, v1, v47
	v_dual_mul_f32 v1, v10, v5 :: v_dual_add_f32 v66, v0, v2
	s_delay_alu instid0(VALU_DEP_1) | instskip(NEXT) | instid1(VALU_DEP_1)
	v_dual_mul_f32 v0, v11, v5 :: v_dual_fmac_f32 v1, v11, v4
	v_dual_fma_f32 v0, v10, v4, -v0 :: v_dual_add_f32 v15, v15, v1
	v_mul_f32_e32 v1, v10, v7
	s_delay_alu instid0(VALU_DEP_2) | instskip(NEXT) | instid1(VALU_DEP_1)
	v_dual_add_f32 v14, v14, v0 :: v_dual_mul_f32 v0, v11, v7
	v_dual_fmac_f32 v1, v11, v6 :: v_dual_fma_f32 v0, v10, v6, -v0
	s_delay_alu instid0(VALU_DEP_1) | instskip(SKIP_4) | instid1(VALU_DEP_1)
	v_dual_add_f32 v70, v9, v1 :: v_dual_add_f32 v68, v8, v0
	ds_load_b128 v[0:3], v67 offset:160
	ds_load_2addr_b64 v[4:7], v78 offset0:128 offset1:144
	s_wait_dscnt 0x0
	v_dual_mul_f32 v8, v1, v5 :: v_dual_mul_f32 v9, v0, v5
	v_dual_fma_f32 v8, v0, v4, -v8 :: v_dual_fmac_f32 v9, v1, v4
	s_delay_alu instid0(VALU_DEP_1) | instskip(SKIP_1) | instid1(VALU_DEP_1)
	v_dual_add_f32 v12, v12, v8 :: v_dual_add_f32 v13, v13, v9
	v_mul_f32_e32 v8, v1, v7
	v_dual_fma_f32 v8, v0, v6, -v8 :: v_dual_mul_f32 v0, v0, v7
	s_delay_alu instid0(VALU_DEP_1) | instskip(NEXT) | instid1(VALU_DEP_1)
	v_fmac_f32_e32 v0, v1, v6
	v_add_f32_e32 v0, v66, v0
	s_delay_alu instid0(VALU_DEP_3) | instskip(SKIP_3) | instid1(VALU_DEP_1)
	v_add_f32_e32 v1, v47, v8
	ds_load_b128 v[8:11], v67 offset:4256
	s_wait_dscnt 0x0
	v_dual_mul_f32 v47, v9, v5 :: v_dual_mul_f32 v5, v8, v5
	v_dual_fma_f32 v47, v8, v4, -v47 :: v_dual_fmac_f32 v5, v9, v4
	v_mul_f32_e32 v4, v9, v7
	s_delay_alu instid0(VALU_DEP_2) | instskip(NEXT) | instid1(VALU_DEP_2)
	v_dual_add_f32 v14, v14, v47 :: v_dual_add_f32 v15, v15, v5
	v_dual_mul_f32 v5, v8, v7 :: v_dual_fma_f32 v4, v8, v6, -v4
	s_delay_alu instid0(VALU_DEP_1) | instskip(NEXT) | instid1(VALU_DEP_1)
	v_dual_fmac_f32 v5, v9, v6 :: v_dual_add_f32 v8, v68, v4
	v_add_f32_e32 v9, v70, v5
	ds_load_2addr_b64 v[4:7], v78 offset0:160 offset1:176
	s_wait_dscnt 0x0
	v_dual_mul_f32 v47, v3, v5 :: v_dual_mul_f32 v66, v2, v5
	s_delay_alu instid0(VALU_DEP_1) | instskip(NEXT) | instid1(VALU_DEP_1)
	v_dual_fma_f32 v47, v2, v4, -v47 :: v_dual_fmac_f32 v66, v3, v4
	v_dual_add_f32 v12, v12, v47 :: v_dual_add_f32 v13, v13, v66
	v_mul_f32_e32 v47, v3, v7
	s_delay_alu instid0(VALU_DEP_1) | instskip(NEXT) | instid1(VALU_DEP_1)
	v_dual_fma_f32 v47, v2, v6, -v47 :: v_dual_mul_f32 v2, v2, v7
	v_dual_fmac_f32 v2, v3, v6 :: v_dual_add_f32 v47, v1, v47
	s_delay_alu instid0(VALU_DEP_1) | instskip(NEXT) | instid1(VALU_DEP_1)
	v_dual_mul_f32 v1, v10, v5 :: v_dual_add_f32 v66, v0, v2
	v_dual_mul_f32 v0, v11, v5 :: v_dual_fmac_f32 v1, v11, v4
	s_delay_alu instid0(VALU_DEP_1) | instskip(SKIP_1) | instid1(VALU_DEP_2)
	v_dual_fma_f32 v0, v10, v4, -v0 :: v_dual_add_f32 v15, v15, v1
	v_mul_f32_e32 v1, v10, v7
	v_dual_add_f32 v14, v14, v0 :: v_dual_mul_f32 v0, v11, v7
	s_delay_alu instid0(VALU_DEP_1) | instskip(NEXT) | instid1(VALU_DEP_1)
	v_dual_fmac_f32 v1, v11, v6 :: v_dual_fma_f32 v0, v10, v6, -v0
	v_dual_add_f32 v70, v9, v1 :: v_dual_add_f32 v68, v8, v0
	ds_load_b128 v[0:3], v67 offset:176
	ds_load_2addr_b64 v[4:7], v78 offset0:192 offset1:208
	s_wait_dscnt 0x0
	v_dual_mul_f32 v8, v1, v5 :: v_dual_mul_f32 v9, v0, v5
	s_delay_alu instid0(VALU_DEP_1) | instskip(NEXT) | instid1(VALU_DEP_1)
	v_dual_fma_f32 v8, v0, v4, -v8 :: v_dual_fmac_f32 v9, v1, v4
	v_dual_add_f32 v12, v12, v8 :: v_dual_add_f32 v13, v13, v9
	v_mul_f32_e32 v8, v1, v7
	s_delay_alu instid0(VALU_DEP_1) | instskip(NEXT) | instid1(VALU_DEP_1)
	v_dual_fma_f32 v8, v0, v6, -v8 :: v_dual_mul_f32 v0, v0, v7
	v_fmac_f32_e32 v0, v1, v6
	s_delay_alu instid0(VALU_DEP_1) | instskip(NEXT) | instid1(VALU_DEP_3)
	v_add_f32_e32 v0, v66, v0
	v_add_f32_e32 v1, v47, v8
	ds_load_b128 v[8:11], v67 offset:4272
	s_wait_dscnt 0x0
	v_dual_mul_f32 v47, v9, v5 :: v_dual_mul_f32 v5, v8, v5
	s_delay_alu instid0(VALU_DEP_1) | instskip(SKIP_1) | instid1(VALU_DEP_2)
	v_dual_fma_f32 v47, v8, v4, -v47 :: v_dual_fmac_f32 v5, v9, v4
	v_mul_f32_e32 v4, v9, v7
	v_dual_add_f32 v14, v14, v47 :: v_dual_add_f32 v15, v15, v5
	s_delay_alu instid0(VALU_DEP_2) | instskip(NEXT) | instid1(VALU_DEP_1)
	v_dual_mul_f32 v5, v8, v7 :: v_dual_fma_f32 v4, v8, v6, -v4
	v_dual_fmac_f32 v5, v9, v6 :: v_dual_add_f32 v8, v68, v4
	s_delay_alu instid0(VALU_DEP_1) | instskip(SKIP_3) | instid1(VALU_DEP_1)
	v_add_f32_e32 v9, v70, v5
	ds_load_2addr_b64 v[4:7], v78 offset0:224 offset1:240
	s_wait_dscnt 0x0
	v_dual_mul_f32 v47, v3, v5 :: v_dual_mul_f32 v66, v2, v5
	v_dual_fma_f32 v47, v2, v4, -v47 :: v_dual_fmac_f32 v66, v3, v4
	s_delay_alu instid0(VALU_DEP_1) | instskip(SKIP_1) | instid1(VALU_DEP_1)
	v_dual_add_f32 v12, v12, v47 :: v_dual_add_f32 v13, v13, v66
	v_mul_f32_e32 v47, v3, v7
	v_dual_fma_f32 v47, v2, v6, -v47 :: v_dual_mul_f32 v2, v2, v7
	s_delay_alu instid0(VALU_DEP_1) | instskip(NEXT) | instid1(VALU_DEP_1)
	v_dual_fmac_f32 v2, v3, v6 :: v_dual_add_f32 v47, v1, v47
	v_dual_mul_f32 v1, v10, v5 :: v_dual_add_f32 v66, v0, v2
	s_delay_alu instid0(VALU_DEP_1) | instskip(NEXT) | instid1(VALU_DEP_1)
	v_dual_mul_f32 v0, v11, v5 :: v_dual_fmac_f32 v1, v11, v4
	v_dual_fma_f32 v0, v10, v4, -v0 :: v_dual_add_f32 v15, v15, v1
	v_mul_f32_e32 v1, v10, v7
	s_delay_alu instid0(VALU_DEP_2) | instskip(NEXT) | instid1(VALU_DEP_1)
	v_dual_add_f32 v14, v14, v0 :: v_dual_mul_f32 v0, v11, v7
	v_dual_fmac_f32 v1, v11, v6 :: v_dual_fma_f32 v0, v10, v6, -v0
	s_delay_alu instid0(VALU_DEP_1) | instskip(SKIP_4) | instid1(VALU_DEP_1)
	v_dual_add_f32 v70, v9, v1 :: v_dual_add_f32 v68, v8, v0
	ds_load_b128 v[0:3], v67 offset:192
	ds_load_2addr_b64 v[4:7], v79 offset1:16
	s_wait_dscnt 0x0
	v_dual_mul_f32 v8, v1, v5 :: v_dual_mul_f32 v9, v0, v5
	v_dual_fma_f32 v8, v0, v4, -v8 :: v_dual_fmac_f32 v9, v1, v4
	s_delay_alu instid0(VALU_DEP_1) | instskip(SKIP_1) | instid1(VALU_DEP_1)
	v_dual_add_f32 v12, v12, v8 :: v_dual_add_f32 v13, v13, v9
	v_mul_f32_e32 v8, v1, v7
	v_dual_fma_f32 v8, v0, v6, -v8 :: v_dual_mul_f32 v0, v0, v7
	s_delay_alu instid0(VALU_DEP_1) | instskip(NEXT) | instid1(VALU_DEP_1)
	v_fmac_f32_e32 v0, v1, v6
	v_add_f32_e32 v0, v66, v0
	s_delay_alu instid0(VALU_DEP_3) | instskip(SKIP_3) | instid1(VALU_DEP_1)
	v_add_f32_e32 v1, v47, v8
	ds_load_b128 v[8:11], v67 offset:4288
	s_wait_dscnt 0x0
	v_dual_mul_f32 v47, v9, v5 :: v_dual_mul_f32 v5, v8, v5
	v_dual_fma_f32 v47, v8, v4, -v47 :: v_dual_fmac_f32 v5, v9, v4
	v_mul_f32_e32 v4, v9, v7
	s_delay_alu instid0(VALU_DEP_2) | instskip(NEXT) | instid1(VALU_DEP_2)
	v_dual_add_f32 v14, v14, v47 :: v_dual_add_f32 v15, v15, v5
	v_dual_mul_f32 v5, v8, v7 :: v_dual_fma_f32 v4, v8, v6, -v4
	s_delay_alu instid0(VALU_DEP_1) | instskip(NEXT) | instid1(VALU_DEP_1)
	v_dual_fmac_f32 v5, v9, v6 :: v_dual_add_f32 v8, v68, v4
	v_add_f32_e32 v9, v70, v5
	ds_load_2addr_b64 v[4:7], v79 offset0:32 offset1:48
	s_wait_dscnt 0x0
	v_dual_mul_f32 v47, v3, v5 :: v_dual_mul_f32 v66, v2, v5
	s_delay_alu instid0(VALU_DEP_1) | instskip(NEXT) | instid1(VALU_DEP_1)
	v_dual_fma_f32 v47, v2, v4, -v47 :: v_dual_fmac_f32 v66, v3, v4
	v_dual_add_f32 v12, v12, v47 :: v_dual_add_f32 v13, v13, v66
	v_mul_f32_e32 v47, v3, v7
	s_delay_alu instid0(VALU_DEP_1) | instskip(NEXT) | instid1(VALU_DEP_1)
	v_dual_fma_f32 v47, v2, v6, -v47 :: v_dual_mul_f32 v2, v2, v7
	v_dual_fmac_f32 v2, v3, v6 :: v_dual_add_f32 v47, v1, v47
	s_delay_alu instid0(VALU_DEP_1) | instskip(NEXT) | instid1(VALU_DEP_1)
	v_dual_mul_f32 v1, v10, v5 :: v_dual_add_f32 v66, v0, v2
	v_dual_mul_f32 v0, v11, v5 :: v_dual_fmac_f32 v1, v11, v4
	s_delay_alu instid0(VALU_DEP_1) | instskip(SKIP_1) | instid1(VALU_DEP_2)
	v_dual_fma_f32 v0, v10, v4, -v0 :: v_dual_add_f32 v15, v15, v1
	v_mul_f32_e32 v1, v10, v7
	v_dual_add_f32 v14, v14, v0 :: v_dual_mul_f32 v0, v11, v7
	s_delay_alu instid0(VALU_DEP_1) | instskip(NEXT) | instid1(VALU_DEP_1)
	v_dual_fmac_f32 v1, v11, v6 :: v_dual_fma_f32 v0, v10, v6, -v0
	v_dual_add_f32 v70, v9, v1 :: v_dual_add_f32 v68, v8, v0
	ds_load_b128 v[0:3], v67 offset:208
	ds_load_2addr_b64 v[4:7], v79 offset0:64 offset1:80
	s_wait_dscnt 0x0
	v_dual_mul_f32 v8, v1, v5 :: v_dual_mul_f32 v9, v0, v5
	s_delay_alu instid0(VALU_DEP_1) | instskip(NEXT) | instid1(VALU_DEP_1)
	v_dual_fma_f32 v8, v0, v4, -v8 :: v_dual_fmac_f32 v9, v1, v4
	v_dual_add_f32 v12, v12, v8 :: v_dual_add_f32 v13, v13, v9
	v_mul_f32_e32 v8, v1, v7
	s_delay_alu instid0(VALU_DEP_1) | instskip(NEXT) | instid1(VALU_DEP_1)
	v_dual_fma_f32 v8, v0, v6, -v8 :: v_dual_mul_f32 v0, v0, v7
	v_fmac_f32_e32 v0, v1, v6
	s_delay_alu instid0(VALU_DEP_1) | instskip(NEXT) | instid1(VALU_DEP_3)
	v_add_f32_e32 v0, v66, v0
	v_add_f32_e32 v1, v47, v8
	ds_load_b128 v[8:11], v67 offset:4304
	s_wait_dscnt 0x0
	v_dual_mul_f32 v47, v9, v5 :: v_dual_mul_f32 v5, v8, v5
	s_delay_alu instid0(VALU_DEP_1) | instskip(SKIP_1) | instid1(VALU_DEP_2)
	v_dual_fma_f32 v47, v8, v4, -v47 :: v_dual_fmac_f32 v5, v9, v4
	v_mul_f32_e32 v4, v9, v7
	v_dual_add_f32 v14, v14, v47 :: v_dual_add_f32 v15, v15, v5
	s_delay_alu instid0(VALU_DEP_2) | instskip(NEXT) | instid1(VALU_DEP_1)
	v_dual_mul_f32 v5, v8, v7 :: v_dual_fma_f32 v4, v8, v6, -v4
	v_dual_fmac_f32 v5, v9, v6 :: v_dual_add_f32 v8, v68, v4
	s_delay_alu instid0(VALU_DEP_1) | instskip(SKIP_3) | instid1(VALU_DEP_1)
	v_add_f32_e32 v9, v70, v5
	ds_load_2addr_b64 v[4:7], v79 offset0:96 offset1:112
	s_wait_dscnt 0x0
	v_dual_mul_f32 v47, v3, v5 :: v_dual_mul_f32 v66, v2, v5
	v_dual_fma_f32 v47, v2, v4, -v47 :: v_dual_fmac_f32 v66, v3, v4
	s_delay_alu instid0(VALU_DEP_1) | instskip(SKIP_1) | instid1(VALU_DEP_1)
	v_dual_add_f32 v12, v12, v47 :: v_dual_add_f32 v13, v13, v66
	v_mul_f32_e32 v47, v3, v7
	v_dual_fma_f32 v47, v2, v6, -v47 :: v_dual_mul_f32 v2, v2, v7
	s_delay_alu instid0(VALU_DEP_1) | instskip(NEXT) | instid1(VALU_DEP_1)
	v_dual_fmac_f32 v2, v3, v6 :: v_dual_add_f32 v47, v1, v47
	v_dual_mul_f32 v1, v10, v5 :: v_dual_add_f32 v66, v0, v2
	s_delay_alu instid0(VALU_DEP_1) | instskip(NEXT) | instid1(VALU_DEP_1)
	v_dual_mul_f32 v0, v11, v5 :: v_dual_fmac_f32 v1, v11, v4
	v_dual_fma_f32 v0, v10, v4, -v0 :: v_dual_add_f32 v15, v15, v1
	v_mul_f32_e32 v1, v10, v7
	s_delay_alu instid0(VALU_DEP_2) | instskip(NEXT) | instid1(VALU_DEP_1)
	v_dual_add_f32 v14, v14, v0 :: v_dual_mul_f32 v0, v11, v7
	v_dual_fmac_f32 v1, v11, v6 :: v_dual_fma_f32 v0, v10, v6, -v0
	s_delay_alu instid0(VALU_DEP_1) | instskip(SKIP_4) | instid1(VALU_DEP_1)
	v_dual_add_f32 v70, v9, v1 :: v_dual_add_f32 v68, v8, v0
	ds_load_b128 v[0:3], v67 offset:224
	ds_load_2addr_b64 v[4:7], v79 offset0:128 offset1:144
	s_wait_dscnt 0x0
	v_dual_mul_f32 v8, v1, v5 :: v_dual_mul_f32 v9, v0, v5
	v_dual_fma_f32 v8, v0, v4, -v8 :: v_dual_fmac_f32 v9, v1, v4
	s_delay_alu instid0(VALU_DEP_1) | instskip(SKIP_1) | instid1(VALU_DEP_1)
	v_dual_add_f32 v12, v12, v8 :: v_dual_add_f32 v13, v13, v9
	v_mul_f32_e32 v8, v1, v7
	v_dual_fma_f32 v8, v0, v6, -v8 :: v_dual_mul_f32 v0, v0, v7
	s_delay_alu instid0(VALU_DEP_1) | instskip(NEXT) | instid1(VALU_DEP_1)
	v_fmac_f32_e32 v0, v1, v6
	v_add_f32_e32 v0, v66, v0
	s_delay_alu instid0(VALU_DEP_3) | instskip(SKIP_3) | instid1(VALU_DEP_1)
	v_add_f32_e32 v1, v47, v8
	ds_load_b128 v[8:11], v67 offset:4320
	s_wait_dscnt 0x0
	v_dual_mul_f32 v47, v9, v5 :: v_dual_mul_f32 v5, v8, v5
	v_dual_fma_f32 v47, v8, v4, -v47 :: v_dual_fmac_f32 v5, v9, v4
	v_mul_f32_e32 v4, v9, v7
	s_delay_alu instid0(VALU_DEP_2) | instskip(NEXT) | instid1(VALU_DEP_2)
	v_dual_add_f32 v14, v14, v47 :: v_dual_add_f32 v15, v15, v5
	v_dual_mul_f32 v5, v8, v7 :: v_dual_fma_f32 v4, v8, v6, -v4
	s_delay_alu instid0(VALU_DEP_1) | instskip(NEXT) | instid1(VALU_DEP_1)
	v_dual_fmac_f32 v5, v9, v6 :: v_dual_add_f32 v8, v68, v4
	v_add_f32_e32 v9, v70, v5
	ds_load_2addr_b64 v[4:7], v79 offset0:160 offset1:176
	s_wait_dscnt 0x0
	v_dual_mul_f32 v47, v3, v5 :: v_dual_mul_f32 v66, v2, v5
	s_delay_alu instid0(VALU_DEP_1) | instskip(NEXT) | instid1(VALU_DEP_1)
	v_dual_fma_f32 v47, v2, v4, -v47 :: v_dual_fmac_f32 v66, v3, v4
	v_dual_add_f32 v12, v12, v47 :: v_dual_add_f32 v13, v13, v66
	v_mul_f32_e32 v47, v3, v7
	s_delay_alu instid0(VALU_DEP_1) | instskip(NEXT) | instid1(VALU_DEP_1)
	v_dual_fma_f32 v47, v2, v6, -v47 :: v_dual_mul_f32 v2, v2, v7
	v_dual_fmac_f32 v2, v3, v6 :: v_dual_add_f32 v47, v1, v47
	s_delay_alu instid0(VALU_DEP_1) | instskip(NEXT) | instid1(VALU_DEP_1)
	v_dual_mul_f32 v1, v10, v5 :: v_dual_add_f32 v66, v0, v2
	v_dual_mul_f32 v0, v11, v5 :: v_dual_fmac_f32 v1, v11, v4
	s_delay_alu instid0(VALU_DEP_1) | instskip(SKIP_1) | instid1(VALU_DEP_2)
	v_dual_fma_f32 v0, v10, v4, -v0 :: v_dual_add_f32 v15, v15, v1
	v_mul_f32_e32 v1, v10, v7
	v_dual_add_f32 v14, v14, v0 :: v_dual_mul_f32 v0, v11, v7
	s_delay_alu instid0(VALU_DEP_1) | instskip(NEXT) | instid1(VALU_DEP_1)
	v_dual_fmac_f32 v1, v11, v6 :: v_dual_fma_f32 v0, v10, v6, -v0
	v_dual_add_f32 v70, v9, v1 :: v_dual_add_f32 v68, v8, v0
	ds_load_b128 v[0:3], v67 offset:240
	ds_load_2addr_b64 v[8:11], v79 offset0:192 offset1:208
	s_wait_dscnt 0x0
	v_dual_mul_f32 v4, v1, v9 :: v_dual_mul_f32 v5, v0, v9
	s_delay_alu instid0(VALU_DEP_1) | instskip(NEXT) | instid1(VALU_DEP_1)
	v_dual_fma_f32 v4, v0, v8, -v4 :: v_dual_fmac_f32 v5, v1, v8
	v_dual_add_f32 v12, v12, v4 :: v_dual_add_f32 v13, v13, v5
	v_mul_f32_e32 v4, v1, v11
	s_delay_alu instid0(VALU_DEP_1) | instskip(NEXT) | instid1(VALU_DEP_1)
	v_dual_fma_f32 v4, v0, v10, -v4 :: v_dual_mul_f32 v0, v0, v11
	v_fmac_f32_e32 v0, v1, v10
	s_delay_alu instid0(VALU_DEP_1) | instskip(NEXT) | instid1(VALU_DEP_3)
	v_add_f32_e32 v0, v66, v0
	v_add_f32_e32 v1, v47, v4
	ds_load_b128 v[4:7], v67 offset:4336
	s_wait_dscnt 0x0
	v_dual_mul_f32 v47, v5, v9 :: v_dual_mul_f32 v9, v4, v9
	s_delay_alu instid0(VALU_DEP_1) | instskip(SKIP_1) | instid1(VALU_DEP_2)
	v_dual_fma_f32 v47, v4, v8, -v47 :: v_dual_fmac_f32 v9, v5, v8
	v_mul_f32_e32 v8, v5, v11
	v_dual_add_f32 v14, v14, v47 :: v_dual_add_f32 v15, v15, v9
	s_delay_alu instid0(VALU_DEP_2) | instskip(NEXT) | instid1(VALU_DEP_1)
	v_dual_fma_f32 v8, v4, v10, -v8 :: v_dual_mul_f32 v4, v4, v11
	v_fmac_f32_e32 v4, v5, v10
	s_delay_alu instid0(VALU_DEP_1) | instskip(NEXT) | instid1(VALU_DEP_3)
	v_add_f32_e32 v4, v70, v4
	v_add_f32_e32 v5, v68, v8
	ds_load_2addr_b64 v[8:11], v79 offset0:224 offset1:240
	s_wait_dscnt 0x0
	s_barrier_signal -1
	s_barrier_wait -1
	v_dual_mul_f32 v47, v3, v9 :: v_dual_mul_f32 v66, v2, v9
	s_delay_alu instid0(VALU_DEP_1) | instskip(NEXT) | instid1(VALU_DEP_1)
	v_dual_fma_f32 v47, v2, v8, -v47 :: v_dual_fmac_f32 v66, v3, v8
	v_dual_add_f32 v74, v12, v47 :: v_dual_add_f32 v76, v13, v66
	v_mul_f32_e32 v12, v3, v11
	s_delay_alu instid0(VALU_DEP_1) | instskip(NEXT) | instid1(VALU_DEP_1)
	v_dual_fma_f32 v12, v2, v10, -v12 :: v_dual_mul_f32 v2, v2, v11
	v_dual_fmac_f32 v2, v3, v10 :: v_dual_add_f32 v70, v1, v12
	s_delay_alu instid0(VALU_DEP_1) | instskip(NEXT) | instid1(VALU_DEP_1)
	v_dual_mul_f32 v1, v6, v9 :: v_dual_add_f32 v72, v0, v2
	v_dual_mul_f32 v0, v7, v9 :: v_dual_fmac_f32 v1, v7, v8
	s_delay_alu instid0(VALU_DEP_1) | instskip(SKIP_1) | instid1(VALU_DEP_2)
	v_dual_fma_f32 v0, v6, v8, -v0 :: v_dual_add_f32 v68, v15, v1
	v_mul_f32_e32 v1, v6, v11
	v_dual_add_f32 v66, v14, v0 :: v_dual_mul_f32 v0, v7, v11
	s_delay_alu instid0(VALU_DEP_1) | instskip(NEXT) | instid1(VALU_DEP_1)
	v_dual_fmac_f32 v1, v7, v10 :: v_dual_fma_f32 v0, v6, v10, -v0
	v_dual_add_f32 v12, v4, v1 :: v_dual_add_f32 v14, v5, v0
	s_cbranch_scc1 .LBB93_54
.LBB93_10:                              ;   Parent Loop BB93_4 Depth=1
                                        ;     Parent Loop BB93_7 Depth=2
                                        ; =>    This Inner Loop Header: Depth=3
	v_add_nc_u64_e32 v[2:3], s[18:19], v[16:17]
	v_cmp_eq_u64_e64 s7, s[18:19], v[52:53]
	v_add_nc_u64_e32 v[0:1], v[56:57], v[60:61]
	s_delay_alu instid0(VALU_DEP_3) | instskip(SKIP_3) | instid1(SALU_CYCLE_1)
	v_cmp_gt_i64_e64 s5, v[2:3], v[48:49]
	v_cmp_le_i64_e64 s6, s[38:39], v[2:3]
	s_and_b32 s52, s28, s7
	s_or_b32 s7, vcc_lo, s5
	s_or_b32 s7, s7, s52
	s_delay_alu instid0(SALU_CYCLE_1) | instskip(NEXT) | instid1(SALU_CYCLE_1)
	s_nor_b32 s7, s6, s7
	s_and_saveexec_b32 s8, s7
	s_delay_alu instid0(SALU_CYCLE_1)
	s_xor_b32 s7, exec_lo, s8
	s_cbranch_execz .LBB93_12
; %bb.11:                               ;   in Loop: Header=BB93_10 Depth=3
	global_load_b64 v[4:5], v[0:1], off
	s_wait_loadcnt 0x0
	v_xor_b32_e32 v5, 0x80000000, v5
	ds_store_b64 v71, v[4:5]
.LBB93_12:                              ;   in Loop: Header=BB93_10 Depth=3
	s_wait_xcnt 0x0
	s_or_saveexec_b32 s7, s7
	s_xor_b32 s51, s52, -1
	s_xor_b32 exec_lo, exec_lo, s7
	s_cbranch_execz .LBB93_18
; %bb.13:                               ;   in Loop: Header=BB93_10 Depth=3
	s_and_saveexec_b32 s8, s51
	s_delay_alu instid0(SALU_CYCLE_1)
	s_xor_b32 s8, exec_lo, s8
; %bb.14:                               ;   in Loop: Header=BB93_10 Depth=3
	ds_store_b64 v71, v[36:37]
; %bb.15:                               ;   in Loop: Header=BB93_10 Depth=3
	s_and_not1_saveexec_b32 s8, s8
; %bb.16:                               ;   in Loop: Header=BB93_10 Depth=3
	ds_store_b64 v71, v[38:39]
; %bb.17:                               ;   in Loop: Header=BB93_10 Depth=3
	s_or_b32 exec_lo, exec_lo, s8
.LBB93_18:                              ;   in Loop: Header=BB93_10 Depth=3
	s_delay_alu instid0(SALU_CYCLE_1) | instskip(SKIP_2) | instid1(VALU_DEP_2)
	s_or_b32 exec_lo, exec_lo, s7
	v_add_nc_u64_e32 v[4:5], 16, v[2:3]
	v_cmp_eq_u64_e64 s8, s[18:19], v[64:65]
	v_cmp_gt_i64_e64 s9, v[4:5], v[48:49]
	v_cmp_le_i64_e64 s7, s[38:39], v[4:5]
	v_add_nc_u64_e32 v[4:5], v[58:59], v[60:61]
	s_and_b32 s8, s28, s8
	s_or_b32 s9, vcc_lo, s9
	s_delay_alu instid0(SALU_CYCLE_1) | instskip(NEXT) | instid1(SALU_CYCLE_1)
	s_or_b32 s9, s9, s8
	s_nor_b32 s9, s7, s9
	s_delay_alu instid0(SALU_CYCLE_1) | instskip(NEXT) | instid1(SALU_CYCLE_1)
	s_and_saveexec_b32 s53, s9
	s_xor_b32 s9, exec_lo, s53
	s_cbranch_execz .LBB93_20
; %bb.19:                               ;   in Loop: Header=BB93_10 Depth=3
	global_load_b64 v[6:7], v[4:5], off
	s_wait_loadcnt 0x0
	v_xor_b32_e32 v7, 0x80000000, v7
	ds_store_b64 v71, v[6:7] offset:128
.LBB93_20:                              ;   in Loop: Header=BB93_10 Depth=3
	s_wait_xcnt 0x0
	s_and_not1_saveexec_b32 s9, s9
	s_cbranch_execz .LBB93_26
; %bb.21:                               ;   in Loop: Header=BB93_10 Depth=3
	s_xor_b32 s8, s8, -1
	s_delay_alu instid0(SALU_CYCLE_1) | instskip(NEXT) | instid1(SALU_CYCLE_1)
	s_and_saveexec_b32 s53, s8
	s_xor_b32 s8, exec_lo, s53
; %bb.22:                               ;   in Loop: Header=BB93_10 Depth=3
	ds_store_b64 v71, v[36:37] offset:128
; %bb.23:                               ;   in Loop: Header=BB93_10 Depth=3
	s_and_not1_saveexec_b32 s8, s8
; %bb.24:                               ;   in Loop: Header=BB93_10 Depth=3
	ds_store_b64 v71, v[38:39] offset:128
; %bb.25:                               ;   in Loop: Header=BB93_10 Depth=3
	s_or_b32 exec_lo, exec_lo, s8
.LBB93_26:                              ;   in Loop: Header=BB93_10 Depth=3
	s_delay_alu instid0(SALU_CYCLE_1) | instskip(SKIP_4) | instid1(SALU_CYCLE_1)
	s_or_b32 exec_lo, exec_lo, s9
	v_cmp_eq_u64_e64 s8, s[18:19], v[62:63]
	v_cmp_gt_i64_e64 s9, v[2:3], v[50:51]
	s_and_b32 s8, s28, s8
	s_or_b32 s9, s4, s9
	s_or_b32 s9, s9, s8
	s_delay_alu instid0(SALU_CYCLE_1) | instskip(NEXT) | instid1(SALU_CYCLE_1)
	s_nor_b32 s6, s6, s9
	s_and_saveexec_b32 s9, s6
	s_delay_alu instid0(SALU_CYCLE_1)
	s_xor_b32 s6, exec_lo, s9
	s_cbranch_execz .LBB93_28
; %bb.27:                               ;   in Loop: Header=BB93_10 Depth=3
	global_load_b64 v[0:1], v[0:1], off offset:128
	s_wait_loadcnt 0x0
	s_wait_xcnt 0x0
	v_xor_b32_e32 v1, 0x80000000, v1
	ds_store_b64 v71, v[0:1] offset:4096
.LBB93_28:                              ;   in Loop: Header=BB93_10 Depth=3
	s_and_not1_saveexec_b32 s6, s6
	s_cbranch_execz .LBB93_34
; %bb.29:                               ;   in Loop: Header=BB93_10 Depth=3
	s_xor_b32 s8, s8, -1
	s_delay_alu instid0(SALU_CYCLE_1) | instskip(NEXT) | instid1(SALU_CYCLE_1)
	s_and_saveexec_b32 s9, s8
	s_xor_b32 s8, exec_lo, s9
; %bb.30:                               ;   in Loop: Header=BB93_10 Depth=3
	ds_store_b64 v71, v[36:37] offset:4096
; %bb.31:                               ;   in Loop: Header=BB93_10 Depth=3
	s_and_not1_saveexec_b32 s8, s8
; %bb.32:                               ;   in Loop: Header=BB93_10 Depth=3
	ds_store_b64 v71, v[38:39] offset:4096
; %bb.33:                               ;   in Loop: Header=BB93_10 Depth=3
	s_or_b32 exec_lo, exec_lo, s8
.LBB93_34:                              ;   in Loop: Header=BB93_10 Depth=3
	s_delay_alu instid0(SALU_CYCLE_1) | instskip(SKIP_1) | instid1(SALU_CYCLE_1)
	s_or_b32 exec_lo, exec_lo, s6
	s_or_b32 s5, s4, s5
	s_or_b32 s5, s5, s52
	s_delay_alu instid0(SALU_CYCLE_1) | instskip(NEXT) | instid1(SALU_CYCLE_1)
	s_nor_b32 s5, s7, s5
	s_and_saveexec_b32 s6, s5
	s_delay_alu instid0(SALU_CYCLE_1)
	s_xor_b32 s5, exec_lo, s6
	s_cbranch_execz .LBB93_36
; %bb.35:                               ;   in Loop: Header=BB93_10 Depth=3
	global_load_b64 v[0:1], v[4:5], off offset:128
	s_wait_loadcnt 0x0
	v_xor_b32_e32 v1, 0x80000000, v1
	ds_store_b64 v71, v[0:1] offset:4224
.LBB93_36:                              ;   in Loop: Header=BB93_10 Depth=3
	s_wait_xcnt 0x0
	s_and_not1_saveexec_b32 s5, s5
	s_cbranch_execz .LBB93_42
; %bb.37:                               ;   in Loop: Header=BB93_10 Depth=3
	s_and_saveexec_b32 s6, s51
	s_delay_alu instid0(SALU_CYCLE_1)
	s_xor_b32 s6, exec_lo, s6
; %bb.38:                               ;   in Loop: Header=BB93_10 Depth=3
	ds_store_b64 v71, v[36:37] offset:4224
; %bb.39:                               ;   in Loop: Header=BB93_10 Depth=3
	s_and_not1_saveexec_b32 s6, s6
; %bb.40:                               ;   in Loop: Header=BB93_10 Depth=3
	ds_store_b64 v71, v[38:39] offset:4224
; %bb.41:                               ;   in Loop: Header=BB93_10 Depth=3
	s_or_b32 exec_lo, exec_lo, s6
.LBB93_42:                              ;   in Loop: Header=BB93_10 Depth=3
	s_delay_alu instid0(SALU_CYCLE_1) | instskip(SKIP_3) | instid1(VALU_DEP_3)
	s_or_b32 exec_lo, exec_lo, s5
	v_add_nc_u64_e32 v[0:1], s[18:19], v[18:19]
	v_add_nc_u64_e32 v[2:3], v[54:55], v[32:33]
	v_mov_b64_e32 v[4:5], 0
	v_cmp_le_i64_e64 s5, s[38:39], v[0:1]
	s_nor_b32 s7, s5, s0
	s_delay_alu instid0(SALU_CYCLE_1)
	s_and_saveexec_b32 s6, s7
	s_cbranch_execz .LBB93_44
; %bb.43:                               ;   in Loop: Header=BB93_10 Depth=3
	global_load_b64 v[4:5], v[2:3], off offset:-128
.LBB93_44:                              ;   in Loop: Header=BB93_10 Depth=3
	s_wait_xcnt 0x0
	s_or_b32 exec_lo, exec_lo, s6
	s_nor_b32 s5, s5, s1
	s_wait_loadcnt 0x0
	ds_store_b64 v73, v[4:5]
	s_and_saveexec_b32 s6, s5
	s_delay_alu instid0(SALU_CYCLE_1)
	s_xor_b32 s5, exec_lo, s6
	s_cbranch_execz .LBB93_46
; %bb.45:                               ;   in Loop: Header=BB93_10 Depth=3
	global_load_b64 v[2:3], v[2:3], off
	s_wait_loadcnt 0x0
	ds_store_b64 v73, v[2:3] offset:128
.LBB93_46:                              ;   in Loop: Header=BB93_10 Depth=3
	s_wait_xcnt 0x0
	s_and_not1_saveexec_b32 s5, s5
; %bb.47:                               ;   in Loop: Header=BB93_10 Depth=3
	ds_store_b64 v73, v[36:37] offset:128
; %bb.48:                               ;   in Loop: Header=BB93_10 Depth=3
	s_or_b32 exec_lo, exec_lo, s5
	v_cmp_le_i64_e64 s5, s[20:21], v[0:1]
	v_add_nc_u64_e32 v[0:1], v[54:55], v[22:23]
	v_mov_b64_e32 v[2:3], 0
	s_nor_b32 s7, s5, s0
	s_delay_alu instid0(SALU_CYCLE_1)
	s_and_saveexec_b32 s6, s7
	s_cbranch_execz .LBB93_50
; %bb.49:                               ;   in Loop: Header=BB93_10 Depth=3
	global_load_b64 v[2:3], v[0:1], off
.LBB93_50:                              ;   in Loop: Header=BB93_10 Depth=3
	s_wait_xcnt 0x0
	s_or_b32 exec_lo, exec_lo, s6
	s_nor_b32 s5, s5, s1
	s_wait_loadcnt 0x0
	ds_store_b64 v73, v[2:3] offset:4096
	s_and_saveexec_b32 s6, s5
	s_delay_alu instid0(SALU_CYCLE_1)
	s_xor_b32 s5, exec_lo, s6
	s_cbranch_execz .LBB93_52
; %bb.51:                               ;   in Loop: Header=BB93_10 Depth=3
	global_load_b64 v[0:1], v[0:1], off offset:128
	s_wait_loadcnt 0x0
	ds_store_b64 v73, v[0:1] offset:4224
.LBB93_52:                              ;   in Loop: Header=BB93_10 Depth=3
	s_wait_xcnt 0x0
	s_and_not1_saveexec_b32 s5, s5
	s_cbranch_execz .LBB93_9
; %bb.53:                               ;   in Loop: Header=BB93_10 Depth=3
	ds_store_b64 v73, v[36:37] offset:4224
	s_branch .LBB93_9
.LBB93_54:                              ;   in Loop: Header=BB93_7 Depth=2
	s_delay_alu instid0(VALU_DEP_2) | instskip(SKIP_2) | instid1(VALU_DEP_2)
	v_mul_u64_e32 v[0:1], s[24:25], v[48:49]
	v_cmp_gt_i32_e32 vcc_lo, s30, v48
	s_and_b32 s5, s2, vcc_lo
	v_lshl_add_u64 v[0:1], v[0:1], 3, s[14:15]
	s_and_saveexec_b32 s4, s5
	s_cbranch_execz .LBB93_56
; %bb.55:                               ;   in Loop: Header=BB93_7 Depth=2
	s_delay_alu instid0(VALU_DEP_1) | instskip(SKIP_4) | instid1(VALU_DEP_1)
	v_lshl_add_u64 v[2:3], v[20:21], 3, v[0:1]
	v_mov_b64_e32 v[6:7], s[22:23]
	v_mov_b64_e32 v[8:9], s[36:37]
	global_load_b64 v[4:5], v[2:3], off
	v_pk_mul_f32 v[6:7], v[76:77], v[6:7] op_sel_hi:[0,1]
	v_pk_fma_f32 v[10:11], v[74:75], v[8:9], v[6:7] op_sel_hi:[0,1,1]
	v_pk_fma_f32 v[6:7], v[74:75], v[8:9], v[6:7] neg_lo:[0,0,1] neg_hi:[0,0,1]
	s_delay_alu instid0(VALU_DEP_2) | instskip(SKIP_1) | instid1(VALU_DEP_1)
	v_mov_b32_e32 v7, v11
	s_wait_loadcnt 0x0
	v_pk_add_f32 v[4:5], v[4:5], v[6:7]
	global_store_b64 v[2:3], v[4:5], off
.LBB93_56:                              ;   in Loop: Header=BB93_7 Depth=2
	s_wait_xcnt 0x0
	s_or_b32 exec_lo, exec_lo, s4
	s_and_b32 s5, s3, vcc_lo
	s_delay_alu instid0(SALU_CYCLE_1)
	s_and_saveexec_b32 s4, s5
	s_cbranch_execz .LBB93_58
; %bb.57:                               ;   in Loop: Header=BB93_7 Depth=2
	v_lshl_add_u64 v[0:1], v[26:27], 3, v[0:1]
	v_mov_b64_e32 v[4:5], s[22:23]
	v_mov_b64_e32 v[6:7], s[36:37]
	global_load_b64 v[2:3], v[0:1], off
	v_pk_mul_f32 v[4:5], v[72:73], v[4:5] op_sel_hi:[0,1]
	s_delay_alu instid0(VALU_DEP_1) | instskip(SKIP_1) | instid1(VALU_DEP_2)
	v_pk_fma_f32 v[8:9], v[70:71], v[6:7], v[4:5] op_sel_hi:[0,1,1]
	v_pk_fma_f32 v[4:5], v[70:71], v[6:7], v[4:5] neg_lo:[0,0,1] neg_hi:[0,0,1]
	v_mov_b32_e32 v5, v9
	s_wait_loadcnt 0x0
	s_delay_alu instid0(VALU_DEP_1)
	v_pk_add_f32 v[2:3], v[2:3], v[4:5]
	global_store_b64 v[0:1], v[2:3], off
.LBB93_58:                              ;   in Loop: Header=BB93_7 Depth=2
	s_wait_xcnt 0x0
	s_or_b32 exec_lo, exec_lo, s4
	v_add_nc_u32_e32 v0, 16, v48
	s_delay_alu instid0(VALU_DEP_1) | instskip(SKIP_1) | instid1(VALU_DEP_2)
	v_ashrrev_i32_e32 v1, 31, v0
	v_cmp_gt_i32_e32 vcc_lo, s30, v0
	v_mul_u64_e32 v[2:3], s[24:25], v[0:1]
	s_and_b32 s5, s2, vcc_lo
	s_delay_alu instid0(VALU_DEP_1)
	v_lshl_add_u64 v[0:1], v[2:3], 3, s[14:15]
	s_and_saveexec_b32 s4, s5
	s_cbranch_execz .LBB93_60
; %bb.59:                               ;   in Loop: Header=BB93_7 Depth=2
	s_delay_alu instid0(VALU_DEP_1) | instskip(SKIP_4) | instid1(VALU_DEP_1)
	v_lshl_add_u64 v[2:3], v[20:21], 3, v[0:1]
	v_mov_b64_e32 v[6:7], s[22:23]
	v_mov_b64_e32 v[8:9], s[36:37]
	global_load_b64 v[4:5], v[2:3], off
	v_pk_mul_f32 v[6:7], v[68:69], v[6:7] op_sel_hi:[0,1]
	v_pk_fma_f32 v[10:11], v[66:67], v[8:9], v[6:7] op_sel_hi:[0,1,1]
	v_pk_fma_f32 v[6:7], v[66:67], v[8:9], v[6:7] neg_lo:[0,0,1] neg_hi:[0,0,1]
	s_delay_alu instid0(VALU_DEP_2) | instskip(SKIP_1) | instid1(VALU_DEP_1)
	v_mov_b32_e32 v7, v11
	s_wait_loadcnt 0x0
	v_pk_add_f32 v[4:5], v[4:5], v[6:7]
	global_store_b64 v[2:3], v[4:5], off
.LBB93_60:                              ;   in Loop: Header=BB93_7 Depth=2
	s_wait_xcnt 0x0
	s_or_b32 exec_lo, exec_lo, s4
	s_and_b32 s5, s3, vcc_lo
	s_delay_alu instid0(SALU_CYCLE_1)
	s_and_saveexec_b32 s4, s5
	s_cbranch_execz .LBB93_6
; %bb.61:                               ;   in Loop: Header=BB93_7 Depth=2
	v_lshl_add_u64 v[0:1], v[26:27], 3, v[0:1]
	v_mov_b64_e32 v[4:5], s[22:23]
	v_mov_b64_e32 v[6:7], s[36:37]
	global_load_b64 v[2:3], v[0:1], off
	v_pk_mul_f32 v[4:5], v[12:13], v[4:5] op_sel_hi:[0,1]
	s_delay_alu instid0(VALU_DEP_1) | instskip(SKIP_1) | instid1(VALU_DEP_2)
	v_pk_fma_f32 v[8:9], v[14:15], v[6:7], v[4:5] op_sel_hi:[0,1,1]
	v_pk_fma_f32 v[4:5], v[14:15], v[6:7], v[4:5] neg_lo:[0,0,1] neg_hi:[0,0,1]
	v_mov_b32_e32 v5, v9
	s_wait_loadcnt 0x0
	s_delay_alu instid0(VALU_DEP_1)
	v_pk_add_f32 v[2:3], v[2:3], v[4:5]
	global_store_b64 v[0:1], v[2:3], off
	s_branch .LBB93_6
.LBB93_62:
	s_sendmsg sendmsg(MSG_DEALLOC_VGPRS)
	s_endpgm
	.section	.rodata,"a",@progbits
	.p2align	6, 0x0
	.amdhsa_kernel _ZL30rocblas_trmm_outofplace_kernelI19rocblas_complex_numIfELi32ELi2ELb0ELb0ELb1ELb1ES1_KS1_S1_Ev17rocblas_diagonal_iiT6_lPT7_lllS6_lllPT8_llli
		.amdhsa_group_segment_fixed_size 16384
		.amdhsa_private_segment_fixed_size 0
		.amdhsa_kernarg_size 392
		.amdhsa_user_sgpr_count 2
		.amdhsa_user_sgpr_dispatch_ptr 0
		.amdhsa_user_sgpr_queue_ptr 0
		.amdhsa_user_sgpr_kernarg_segment_ptr 1
		.amdhsa_user_sgpr_dispatch_id 0
		.amdhsa_user_sgpr_kernarg_preload_length 0
		.amdhsa_user_sgpr_kernarg_preload_offset 0
		.amdhsa_user_sgpr_private_segment_size 0
		.amdhsa_wavefront_size32 1
		.amdhsa_uses_dynamic_stack 0
		.amdhsa_enable_private_segment 0
		.amdhsa_system_sgpr_workgroup_id_x 1
		.amdhsa_system_sgpr_workgroup_id_y 1
		.amdhsa_system_sgpr_workgroup_id_z 1
		.amdhsa_system_sgpr_workgroup_info 0
		.amdhsa_system_vgpr_workitem_id 1
		.amdhsa_next_free_vgpr 92
		.amdhsa_next_free_sgpr 54
		.amdhsa_named_barrier_count 0
		.amdhsa_reserve_vcc 1
		.amdhsa_float_round_mode_32 0
		.amdhsa_float_round_mode_16_64 0
		.amdhsa_float_denorm_mode_32 3
		.amdhsa_float_denorm_mode_16_64 3
		.amdhsa_fp16_overflow 0
		.amdhsa_memory_ordered 1
		.amdhsa_forward_progress 1
		.amdhsa_inst_pref_size 59
		.amdhsa_round_robin_scheduling 0
		.amdhsa_exception_fp_ieee_invalid_op 0
		.amdhsa_exception_fp_denorm_src 0
		.amdhsa_exception_fp_ieee_div_zero 0
		.amdhsa_exception_fp_ieee_overflow 0
		.amdhsa_exception_fp_ieee_underflow 0
		.amdhsa_exception_fp_ieee_inexact 0
		.amdhsa_exception_int_div_zero 0
	.end_amdhsa_kernel
	.section	.text._ZL30rocblas_trmm_outofplace_kernelI19rocblas_complex_numIfELi32ELi2ELb0ELb0ELb1ELb1ES1_KS1_S1_Ev17rocblas_diagonal_iiT6_lPT7_lllS6_lllPT8_llli,"axG",@progbits,_ZL30rocblas_trmm_outofplace_kernelI19rocblas_complex_numIfELi32ELi2ELb0ELb0ELb1ELb1ES1_KS1_S1_Ev17rocblas_diagonal_iiT6_lPT7_lllS6_lllPT8_llli,comdat
.Lfunc_end93:
	.size	_ZL30rocblas_trmm_outofplace_kernelI19rocblas_complex_numIfELi32ELi2ELb0ELb0ELb1ELb1ES1_KS1_S1_Ev17rocblas_diagonal_iiT6_lPT7_lllS6_lllPT8_llli, .Lfunc_end93-_ZL30rocblas_trmm_outofplace_kernelI19rocblas_complex_numIfELi32ELi2ELb0ELb0ELb1ELb1ES1_KS1_S1_Ev17rocblas_diagonal_iiT6_lPT7_lllS6_lllPT8_llli
                                        ; -- End function
	.set _ZL30rocblas_trmm_outofplace_kernelI19rocblas_complex_numIfELi32ELi2ELb0ELb0ELb1ELb1ES1_KS1_S1_Ev17rocblas_diagonal_iiT6_lPT7_lllS6_lllPT8_llli.num_vgpr, 92
	.set _ZL30rocblas_trmm_outofplace_kernelI19rocblas_complex_numIfELi32ELi2ELb0ELb0ELb1ELb1ES1_KS1_S1_Ev17rocblas_diagonal_iiT6_lPT7_lllS6_lllPT8_llli.num_agpr, 0
	.set _ZL30rocblas_trmm_outofplace_kernelI19rocblas_complex_numIfELi32ELi2ELb0ELb0ELb1ELb1ES1_KS1_S1_Ev17rocblas_diagonal_iiT6_lPT7_lllS6_lllPT8_llli.numbered_sgpr, 54
	.set _ZL30rocblas_trmm_outofplace_kernelI19rocblas_complex_numIfELi32ELi2ELb0ELb0ELb1ELb1ES1_KS1_S1_Ev17rocblas_diagonal_iiT6_lPT7_lllS6_lllPT8_llli.num_named_barrier, 0
	.set _ZL30rocblas_trmm_outofplace_kernelI19rocblas_complex_numIfELi32ELi2ELb0ELb0ELb1ELb1ES1_KS1_S1_Ev17rocblas_diagonal_iiT6_lPT7_lllS6_lllPT8_llli.private_seg_size, 0
	.set _ZL30rocblas_trmm_outofplace_kernelI19rocblas_complex_numIfELi32ELi2ELb0ELb0ELb1ELb1ES1_KS1_S1_Ev17rocblas_diagonal_iiT6_lPT7_lllS6_lllPT8_llli.uses_vcc, 1
	.set _ZL30rocblas_trmm_outofplace_kernelI19rocblas_complex_numIfELi32ELi2ELb0ELb0ELb1ELb1ES1_KS1_S1_Ev17rocblas_diagonal_iiT6_lPT7_lllS6_lllPT8_llli.uses_flat_scratch, 0
	.set _ZL30rocblas_trmm_outofplace_kernelI19rocblas_complex_numIfELi32ELi2ELb0ELb0ELb1ELb1ES1_KS1_S1_Ev17rocblas_diagonal_iiT6_lPT7_lllS6_lllPT8_llli.has_dyn_sized_stack, 0
	.set _ZL30rocblas_trmm_outofplace_kernelI19rocblas_complex_numIfELi32ELi2ELb0ELb0ELb1ELb1ES1_KS1_S1_Ev17rocblas_diagonal_iiT6_lPT7_lllS6_lllPT8_llli.has_recursion, 0
	.set _ZL30rocblas_trmm_outofplace_kernelI19rocblas_complex_numIfELi32ELi2ELb0ELb0ELb1ELb1ES1_KS1_S1_Ev17rocblas_diagonal_iiT6_lPT7_lllS6_lllPT8_llli.has_indirect_call, 0
	.section	.AMDGPU.csdata,"",@progbits
; Kernel info:
; codeLenInByte = 7532
; TotalNumSgprs: 56
; NumVgprs: 92
; ScratchSize: 0
; MemoryBound: 0
; FloatMode: 240
; IeeeMode: 1
; LDSByteSize: 16384 bytes/workgroup (compile time only)
; SGPRBlocks: 0
; VGPRBlocks: 5
; NumSGPRsForWavesPerEU: 56
; NumVGPRsForWavesPerEU: 92
; NamedBarCnt: 0
; Occupancy: 10
; WaveLimiterHint : 0
; COMPUTE_PGM_RSRC2:SCRATCH_EN: 0
; COMPUTE_PGM_RSRC2:USER_SGPR: 2
; COMPUTE_PGM_RSRC2:TRAP_HANDLER: 0
; COMPUTE_PGM_RSRC2:TGID_X_EN: 1
; COMPUTE_PGM_RSRC2:TGID_Y_EN: 1
; COMPUTE_PGM_RSRC2:TGID_Z_EN: 1
; COMPUTE_PGM_RSRC2:TIDIG_COMP_CNT: 1
	.section	.text._ZL30rocblas_trmm_outofplace_kernelI19rocblas_complex_numIfELi32ELi2ELb0ELb1ELb1ELb1EPKS1_S2_S1_Ev17rocblas_diagonal_iiT6_lPT7_lllS7_lllPT8_llli,"axG",@progbits,_ZL30rocblas_trmm_outofplace_kernelI19rocblas_complex_numIfELi32ELi2ELb0ELb1ELb1ELb1EPKS1_S2_S1_Ev17rocblas_diagonal_iiT6_lPT7_lllS7_lllPT8_llli,comdat
	.globl	_ZL30rocblas_trmm_outofplace_kernelI19rocblas_complex_numIfELi32ELi2ELb0ELb1ELb1ELb1EPKS1_S2_S1_Ev17rocblas_diagonal_iiT6_lPT7_lllS7_lllPT8_llli ; -- Begin function _ZL30rocblas_trmm_outofplace_kernelI19rocblas_complex_numIfELi32ELi2ELb0ELb1ELb1ELb1EPKS1_S2_S1_Ev17rocblas_diagonal_iiT6_lPT7_lllS7_lllPT8_llli
	.p2align	8
	.type	_ZL30rocblas_trmm_outofplace_kernelI19rocblas_complex_numIfELi32ELi2ELb0ELb1ELb1ELb1EPKS1_S2_S1_Ev17rocblas_diagonal_iiT6_lPT7_lllS7_lllPT8_llli,@function
_ZL30rocblas_trmm_outofplace_kernelI19rocblas_complex_numIfELi32ELi2ELb0ELb1ELb1ELb1EPKS1_S2_S1_Ev17rocblas_diagonal_iiT6_lPT7_lllS7_lllPT8_llli: ; @_ZL30rocblas_trmm_outofplace_kernelI19rocblas_complex_numIfELi32ELi2ELb0ELb1ELb1ELb1EPKS1_S2_S1_Ev17rocblas_diagonal_iiT6_lPT7_lllS7_lllPT8_llli
; %bb.0:
	s_load_b32 s11, s[0:1], 0x80
	s_bfe_u32 s2, ttmp6, 0x40014
	s_lshr_b32 s3, ttmp7, 16
	s_add_co_i32 s2, s2, 1
	s_bfe_u32 s5, ttmp6, 0x40008
	s_mul_i32 s4, s3, s2
	s_getreg_b32 s2, hwreg(HW_REG_IB_STS2, 6, 4)
	s_add_co_i32 s5, s5, s4
	s_cmp_eq_u32 s2, 0
	s_mov_b32 s35, 0
	s_cselect_b32 s34, s3, s5
	s_wait_kmcnt 0x0
	s_cmp_ge_u32 s34, s11
	s_cbranch_scc1 .LBB94_64
; %bb.1:
	s_clause 0x3
	s_load_b96 s[8:10], s[0:1], 0x0
	s_load_b512 s[12:27], s[0:1], 0x10
	s_load_b128 s[28:31], s[0:1], 0x70
	s_load_b256 s[36:43], s[0:1], 0x50
	s_bfe_u32 s4, ttmp6, 0x4000c
	s_bfe_u32 s6, ttmp6, 0x40010
	s_add_co_i32 s4, s4, 1
	s_and_b32 s3, ttmp6, 15
	s_and_b32 s5, ttmp7, 0xffff
	s_add_nc_u64 s[44:45], s[0:1], 0x88
	s_add_co_i32 s6, s6, 1
	s_wait_xcnt 0x0
	s_mul_i32 s0, ttmp9, s4
	s_bfe_u32 s7, ttmp6, 0x40004
	s_mul_i32 s1, s5, s6
	s_add_co_i32 s3, s3, s0
	s_add_co_i32 s7, s7, s1
	v_bfe_u32 v59, v0, 10, 10
	v_and_b32_e32 v2, 0x3ff, v0
	v_mov_b64_e32 v[22:23], 0
	v_mov_b64_e32 v[24:25], 0x3f800000
	s_wait_kmcnt 0x0
	s_add_co_i32 s0, s10, -1
	v_dual_lshlrev_b32 v61, 8, v59 :: v_dual_lshlrev_b32 v0, 3, v2
	s_ashr_i32 s1, s0, 31
	v_mov_b32_e32 v71, 0
	s_lshr_b32 s1, s1, 27
	s_delay_alu instid0(SALU_CYCLE_1)
	s_add_co_i32 s4, s0, s1
	s_lshl_b64 s[0:1], s[42:43], 3
	s_ashr_i32 s33, s4, 5
	s_cmp_eq_u32 s2, 0
	v_or_b32_e32 v65, 0x2000, v0
	s_cselect_b32 s2, ttmp9, s3
	s_cselect_b32 s60, s5, s7
	v_lshl_add_u32 v16, s2, 5, v2
	s_cmp_le_i32 s60, s33
	v_add_nc_u32_e32 v67, v65, v61
	s_cselect_b32 s61, -1, 0
	s_cmp_eq_u32 s8, 0x84
	v_ashrrev_i32_e32 v17, 31, v16
	s_mov_b32 s2, s9
	s_cselect_b32 s62, -1, 0
	s_ashr_i32 s3, s9, 31
	s_lshl_b32 s6, s60, 5
	s_delay_alu instid0(SALU_CYCLE_1)
	v_dual_add_nc_u32 v18, 16, v16 :: v_dual_add_nc_u32 v69, s6, v2
	v_add_nc_u32_e32 v63, v61, v0
	v_sub_nc_u64_e32 v[0:1], s[2:3], v[16:17]
	s_add_nc_u64 s[40:41], s[40:41], s[0:1]
	v_cmp_gt_i32_e64 s0, s9, v16
	v_cmp_gt_i32_e64 s3, s9, v18
	v_dual_ashrrev_i32 v19, 31, v18 :: v_dual_add_nc_u32 v70, s6, v59
	v_add_nc_u32_e32 v72, 0x800, v65
	v_cmp_gt_i64_e64 s1, 1, v[0:1]
	v_cmp_gt_i64_e64 s2, 17, v[0:1]
	v_lshlrev_b64_e32 v[0:1], 3, v[16:17]
	v_add_nc_u32_e32 v73, 0x1000, v65
	v_add_nc_u32_e32 v74, 0x1800, v65
	s_mov_b32 s42, s10
	s_ashr_i32 s43, s10, 31
	s_lshl_b64 s[4:5], s[18:19], 3
	s_lshl_b64 s[46:47], s[20:21], 8
	v_lshl_add_u64 v[20:21], s[26:27], 3, v[0:1]
	s_lshl_b64 s[48:49], s[36:37], 8
	s_add_nc_u64 s[50:51], s[42:43], -16
	s_add_nc_u64 s[16:17], s[16:17], s[4:5]
	s_lshl_b64 s[18:19], s[22:23], 3
	s_lshl_b64 s[22:23], s[20:21], 3
	s_add_nc_u64 s[26:27], s[24:25], 0x80
	s_lshl_b64 s[52:53], s[36:37], 3
	s_lshl_b64 s[38:39], s[38:39], 3
	s_branch .LBB94_4
.LBB94_2:                               ;   in Loop: Header=BB94_4 Depth=1
	s_add_co_i32 s34, s34, 0x10000
	s_delay_alu instid0(SALU_CYCLE_1)
	s_cmp_ge_u32 s34, s11
	s_cselect_b32 s4, -1, 0
.LBB94_3:                               ;   in Loop: Header=BB94_4 Depth=1
	s_delay_alu instid0(SALU_CYCLE_1)
	s_and_b32 vcc_lo, exec_lo, s4
	s_cbranch_vccnz .LBB94_64
.LBB94_4:                               ; =>This Loop Header: Depth=1
                                        ;     Child Loop BB94_8 Depth 2
                                        ;       Child Loop BB94_11 Depth 3
	s_mul_u64 s[4:5], s[14:15], s[34:35]
	s_delay_alu instid0(SALU_CYCLE_1) | instskip(NEXT) | instid1(SALU_CYCLE_1)
	s_lshl_b64 s[4:5], s[4:5], 3
	s_add_nc_u64 s[4:5], s[12:13], s[4:5]
	global_load_b64 v[26:27], v71, s[4:5]
	s_wait_xcnt 0x0
	s_mov_b32 s4, -1
	s_wait_loadcnt 0x0
	v_or_b32_e32 v0, v26, v27
	s_delay_alu instid0(VALU_DEP_1) | instskip(NEXT) | instid1(VALU_DEP_1)
	v_and_b32_e32 v0, 0x7fffffff, v0
	v_cmp_eq_u32_e32 vcc_lo, 0, v0
	s_cbranch_vccnz .LBB94_3
; %bb.5:                                ;   in Loop: Header=BB94_4 Depth=1
	s_and_not1_b32 vcc_lo, exec_lo, s61
	s_cbranch_vccnz .LBB94_2
; %bb.6:                                ;   in Loop: Header=BB94_4 Depth=1
	s_load_b32 s63, s[44:45], 0x4
	v_mad_nc_u64_u32 v[28:29], s38, s34, v[20:21]
	s_mul_u64 s[6:7], s[30:31], s[34:35]
	v_dual_mov_b32 v30, v27 :: v_dual_mov_b32 v31, v26
	v_dual_mov_b32 v32, v70 :: v_dual_mov_b32 v34, v69
	s_mul_u64 s[4:5], s[18:19], s[34:35]
	s_lshl_b64 s[6:7], s[6:7], 3
	s_add_nc_u64 s[54:55], s[16:17], s[4:5]
	s_add_nc_u64 s[56:57], s[40:41], s[6:7]
	s_mov_b32 s65, s60
	s_delay_alu instid0(VALU_DEP_3)
	v_mad_u32 v29, s39, s34, v29
	s_wait_kmcnt 0x0
	s_lshl_b32 s64, s63, 5
	s_branch .LBB94_8
.LBB94_7:                               ;   in Loop: Header=BB94_8 Depth=2
	s_wait_xcnt 0x0
	s_or_b32 exec_lo, exec_lo, s4
	v_dual_add_nc_u32 v34, s64, v34 :: v_dual_add_nc_u32 v32, s64, v32
	s_add_co_i32 s65, s63, s65
	s_delay_alu instid0(SALU_CYCLE_1)
	s_cmp_gt_i32 s65, s33
	s_cbranch_scc1 .LBB94_2
.LBB94_8:                               ;   Parent Loop BB94_4 Depth=1
                                        ; =>  This Loop Header: Depth=2
                                        ;       Child Loop BB94_11 Depth 3
	s_lshl_b32 s4, s65, 5
	s_delay_alu instid0(SALU_CYCLE_1) | instskip(SKIP_2) | instid1(SALU_CYCLE_1)
	v_dual_ashrrev_i32 v33, 31, v32 :: v_dual_add_nc_u32 v36, s4, v59
	v_ashrrev_i32_e32 v35, 31, v34
	s_sub_co_i32 s66, s10, s4
	s_cmp_lt_i32 s66, 1
	s_delay_alu instid0(VALU_DEP_2)
	v_ashrrev_i32_e32 v37, 31, v36
	s_cbranch_scc1 .LBB94_55
; %bb.9:                                ;   in Loop: Header=BB94_8 Depth=2
	v_lshlrev_b64_e32 v[38:39], 3, v[32:33]
	v_lshl_add_u64 v[2:3], v[34:35], 3, 0x80
	v_mad_nc_u64_u32 v[40:41], s22, v34, s[54:55]
	v_mad_nc_u64_u32 v[42:43], s52, v32, s[26:27]
	v_sub_nc_u64_e32 v[48:49], v[32:33], v[34:35]
	v_add_nc_u64_e32 v[50:51], 16, v[36:37]
	v_mad_nc_u64_u32 v[44:45], s20, v2, s[54:55]
	v_add_nc_u64_e32 v[0:1], 0x80, v[38:39]
	v_mov_b64_e32 v[52:53], v[28:29]
	v_dual_mov_b32 v12, 0 :: v_dual_mov_b32 v14, 0
	v_add_nc_u64_e32 v[54:55], 16, v[48:49]
	v_cmp_le_i64_e64 s4, s[42:43], v[50:51]
	v_mad_u32 v4, s23, v34, v41
	v_mad_nc_u64_u32 v[46:47], s36, v0, s[24:25]
	v_mad_u32 v5, s53, v32, v43
	v_add_nc_u64_e32 v[56:57], -16, v[48:49]
	v_mad_u32 v2, s21, v2, v45
	v_dual_mov_b32 v60, 0 :: v_dual_mov_b32 v58, 0
	v_dual_mov_b32 v64, 0 :: v_dual_mov_b32 v62, 0
	;; [unrolled: 1-line block ×3, first 2 shown]
	v_mad_u32 v41, s22, v35, v4
	v_mad_u32 v0, s37, v0, v47
	;; [unrolled: 1-line block ×3, first 2 shown]
	s_mov_b64 s[58:59], 0
	v_mad_u32 v45, s20, v3, v2
	v_cmp_le_i32_e32 vcc_lo, s10, v36
	s_delay_alu instid0(VALU_DEP_4)
	v_mad_u32 v47, s36, v1, v0
	s_branch .LBB94_11
.LBB94_10:                              ;   in Loop: Header=BB94_11 Depth=3
	s_or_b32 exec_lo, exec_lo, s5
	s_wait_dscnt 0x0
	s_barrier_signal -1
	s_barrier_wait -1
	ds_load_b128 v[76:79], v61
	ds_load_b128 v[8:11], v61 offset:16
	ds_load_b128 v[4:7], v61 offset:32
	;; [unrolled: 1-line block ×3, first 2 shown]
	ds_load_2addr_b64 v[80:83], v65 offset1:16
	ds_load_b128 v[84:87], v61 offset:4096
	v_add_nc_u64_e32 v[44:45], s[46:47], v[44:45]
	v_add_nc_u64_e32 v[40:41], s[46:47], v[40:41]
	;; [unrolled: 1-line block ×3, first 2 shown]
	s_add_nc_u64 s[58:59], s[58:59], 32
	s_delay_alu instid0(SALU_CYCLE_1) | instskip(SKIP_2) | instid1(VALU_DEP_1)
	s_cmp_ge_i32 s58, s66
	s_wait_dscnt 0x1
	v_dual_mul_f32 v13, v77, v81 :: v_dual_mul_f32 v15, v76, v81
	v_dual_fma_f32 v13, v76, v80, -v13 :: v_dual_fmac_f32 v15, v77, v80
	s_delay_alu instid0(VALU_DEP_1) | instskip(SKIP_1) | instid1(VALU_DEP_1)
	v_dual_add_f32 v66, v66, v13 :: v_dual_add_f32 v68, v68, v15
	v_dual_mul_f32 v13, v77, v83 :: v_dual_mul_f32 v15, v76, v83
	v_dual_fma_f32 v13, v76, v82, -v13 :: v_dual_fmac_f32 v15, v77, v82
	s_delay_alu instid0(VALU_DEP_1) | instskip(SKIP_2) | instid1(VALU_DEP_1)
	v_dual_add_f32 v62, v62, v13 :: v_dual_add_f32 v64, v64, v15
	s_wait_dscnt 0x0
	v_dual_mul_f32 v13, v85, v81 :: v_dual_mul_f32 v15, v84, v81
	v_dual_fma_f32 v13, v84, v80, -v13 :: v_dual_fmac_f32 v15, v85, v80
	s_delay_alu instid0(VALU_DEP_1) | instskip(SKIP_1) | instid1(VALU_DEP_1)
	v_dual_add_f32 v58, v58, v13 :: v_dual_add_f32 v60, v60, v15
	v_dual_mul_f32 v13, v85, v83 :: v_dual_mul_f32 v15, v84, v83
	v_dual_fma_f32 v13, v84, v82, -v13 :: v_dual_fmac_f32 v15, v85, v82
	s_delay_alu instid0(VALU_DEP_1) | instskip(SKIP_3) | instid1(VALU_DEP_1)
	v_dual_add_f32 v75, v14, v13 :: v_dual_add_f32 v76, v12, v15
	ds_load_2addr_b64 v[12:15], v65 offset0:32 offset1:48
	s_wait_dscnt 0x0
	v_dual_mul_f32 v77, v79, v13 :: v_dual_mul_f32 v80, v78, v13
	v_dual_fma_f32 v77, v78, v12, -v77 :: v_dual_fmac_f32 v80, v79, v12
	s_delay_alu instid0(VALU_DEP_1) | instskip(SKIP_1) | instid1(VALU_DEP_1)
	v_dual_add_f32 v66, v66, v77 :: v_dual_add_f32 v68, v68, v80
	v_mul_f32_e32 v77, v79, v15
	v_dual_fma_f32 v77, v78, v14, -v77 :: v_dual_mul_f32 v78, v78, v15
	s_delay_alu instid0(VALU_DEP_1) | instskip(SKIP_1) | instid1(VALU_DEP_1)
	v_dual_fmac_f32 v78, v79, v14 :: v_dual_add_f32 v62, v62, v77
	v_dual_mul_f32 v77, v87, v13 :: v_dual_mul_f32 v13, v86, v13
	v_dual_add_f32 v64, v64, v78 :: v_dual_fmac_f32 v13, v87, v12
	s_delay_alu instid0(VALU_DEP_2) | instskip(NEXT) | instid1(VALU_DEP_2)
	v_dual_fma_f32 v77, v86, v12, -v77 :: v_dual_mul_f32 v12, v87, v15
	v_dual_add_f32 v60, v60, v13 :: v_dual_mul_f32 v13, v86, v15
	s_delay_alu instid0(VALU_DEP_2) | instskip(NEXT) | instid1(VALU_DEP_2)
	v_fma_f32 v12, v86, v14, -v12
	v_dual_add_f32 v58, v58, v77 :: v_dual_fmac_f32 v13, v87, v14
	s_delay_alu instid0(VALU_DEP_1) | instskip(SKIP_3) | instid1(VALU_DEP_1)
	v_dual_add_f32 v75, v75, v12 :: v_dual_add_f32 v80, v76, v13
	ds_load_2addr_b64 v[76:79], v65 offset0:64 offset1:80
	s_wait_dscnt 0x0
	v_dual_mul_f32 v12, v9, v77 :: v_dual_mul_f32 v13, v8, v77
	v_dual_fma_f32 v12, v8, v76, -v12 :: v_dual_fmac_f32 v13, v9, v76
	s_delay_alu instid0(VALU_DEP_1) | instskip(SKIP_1) | instid1(VALU_DEP_1)
	v_dual_add_f32 v66, v66, v12 :: v_dual_add_f32 v68, v68, v13
	v_mul_f32_e32 v12, v9, v79
	v_dual_fma_f32 v12, v8, v78, -v12 :: v_dual_mul_f32 v8, v8, v79
	s_delay_alu instid0(VALU_DEP_1) | instskip(SKIP_3) | instid1(VALU_DEP_1)
	v_dual_fmac_f32 v8, v9, v78 :: v_dual_add_f32 v9, v62, v12
	ds_load_b128 v[12:15], v61 offset:4112
	s_wait_dscnt 0x0
	v_mul_f32_e32 v62, v13, v77
	v_fma_f32 v62, v12, v76, -v62
	v_add_f32_e32 v8, v64, v8
	s_delay_alu instid0(VALU_DEP_2) | instskip(NEXT) | instid1(VALU_DEP_1)
	v_dual_mul_f32 v64, v12, v77 :: v_dual_add_f32 v58, v58, v62
	v_dual_mul_f32 v62, v13, v79 :: v_dual_fmac_f32 v64, v13, v76
	s_delay_alu instid0(VALU_DEP_1) | instskip(NEXT) | instid1(VALU_DEP_1)
	v_dual_fma_f32 v62, v12, v78, -v62 :: v_dual_mul_f32 v12, v12, v79
	v_dual_add_f32 v60, v60, v64 :: v_dual_fmac_f32 v12, v13, v78
	ds_load_2addr_b64 v[76:79], v65 offset0:96 offset1:112
	v_dual_add_f32 v13, v75, v62 :: v_dual_add_f32 v12, v80, v12
	s_wait_dscnt 0x0
	v_dual_mul_f32 v62, v11, v77 :: v_dual_mul_f32 v64, v10, v77
	s_delay_alu instid0(VALU_DEP_1) | instskip(NEXT) | instid1(VALU_DEP_1)
	v_dual_fma_f32 v62, v10, v76, -v62 :: v_dual_fmac_f32 v64, v11, v76
	v_dual_add_f32 v62, v66, v62 :: v_dual_add_f32 v64, v68, v64
	v_mul_f32_e32 v66, v11, v79
	s_delay_alu instid0(VALU_DEP_1) | instskip(NEXT) | instid1(VALU_DEP_1)
	v_dual_fma_f32 v66, v10, v78, -v66 :: v_dual_mul_f32 v10, v10, v79
	v_fmac_f32_e32 v10, v11, v78
	s_delay_alu instid0(VALU_DEP_1) | instskip(NEXT) | instid1(VALU_DEP_3)
	v_dual_add_f32 v68, v8, v10 :: v_dual_mul_f32 v8, v15, v77
	v_dual_add_f32 v66, v9, v66 :: v_dual_mul_f32 v9, v14, v77
	s_delay_alu instid0(VALU_DEP_1) | instskip(NEXT) | instid1(VALU_DEP_1)
	v_dual_fma_f32 v8, v14, v76, -v8 :: v_dual_fmac_f32 v9, v15, v76
	v_dual_add_f32 v58, v58, v8 :: v_dual_mul_f32 v8, v15, v79
	s_delay_alu instid0(VALU_DEP_2) | instskip(NEXT) | instid1(VALU_DEP_1)
	v_dual_add_f32 v60, v60, v9 :: v_dual_mul_f32 v9, v14, v79
	v_dual_fma_f32 v8, v14, v78, -v8 :: v_dual_fmac_f32 v9, v15, v78
	s_delay_alu instid0(VALU_DEP_1) | instskip(SKIP_3) | instid1(VALU_DEP_1)
	v_dual_add_f32 v75, v13, v8 :: v_dual_add_f32 v76, v12, v9
	ds_load_2addr_b64 v[8:11], v65 offset0:128 offset1:144
	s_wait_dscnt 0x0
	v_dual_mul_f32 v12, v5, v9 :: v_dual_mul_f32 v13, v4, v9
	v_dual_fma_f32 v12, v4, v8, -v12 :: v_dual_fmac_f32 v13, v5, v8
	s_delay_alu instid0(VALU_DEP_1) | instskip(SKIP_1) | instid1(VALU_DEP_1)
	v_dual_add_f32 v62, v62, v12 :: v_dual_add_f32 v64, v64, v13
	v_mul_f32_e32 v12, v5, v11
	v_dual_fma_f32 v12, v4, v10, -v12 :: v_dual_mul_f32 v4, v4, v11
	s_delay_alu instid0(VALU_DEP_1) | instskip(SKIP_3) | instid1(VALU_DEP_1)
	v_dual_fmac_f32 v4, v5, v10 :: v_dual_add_f32 v5, v66, v12
	ds_load_b128 v[12:15], v61 offset:4128
	s_wait_dscnt 0x0
	v_dual_mul_f32 v66, v13, v9 :: v_dual_mul_f32 v9, v12, v9
	v_dual_fma_f32 v66, v12, v8, -v66 :: v_dual_fmac_f32 v9, v13, v8
	v_dual_mul_f32 v8, v13, v11 :: v_dual_add_f32 v4, v68, v4
	s_delay_alu instid0(VALU_DEP_2) | instskip(NEXT) | instid1(VALU_DEP_2)
	v_dual_add_f32 v58, v58, v66 :: v_dual_add_f32 v60, v60, v9
	v_dual_fma_f32 v8, v12, v10, -v8 :: v_dual_mul_f32 v9, v12, v11
	s_delay_alu instid0(VALU_DEP_1) | instskip(NEXT) | instid1(VALU_DEP_1)
	v_dual_fmac_f32 v9, v13, v10 :: v_dual_add_f32 v12, v75, v8
	v_add_f32_e32 v13, v76, v9
	ds_load_2addr_b64 v[8:11], v65 offset0:160 offset1:176
	s_wait_dscnt 0x0
	v_dual_mul_f32 v66, v7, v9 :: v_dual_mul_f32 v68, v6, v9
	s_delay_alu instid0(VALU_DEP_1) | instskip(NEXT) | instid1(VALU_DEP_1)
	v_dual_fma_f32 v66, v6, v8, -v66 :: v_dual_fmac_f32 v68, v7, v8
	v_dual_add_f32 v62, v62, v66 :: v_dual_add_f32 v64, v64, v68
	v_mul_f32_e32 v66, v7, v11
	s_delay_alu instid0(VALU_DEP_1) | instskip(NEXT) | instid1(VALU_DEP_1)
	v_dual_fma_f32 v66, v6, v10, -v66 :: v_dual_mul_f32 v6, v6, v11
	v_fmac_f32_e32 v6, v7, v10
	s_delay_alu instid0(VALU_DEP_1) | instskip(NEXT) | instid1(VALU_DEP_3)
	v_dual_add_f32 v68, v4, v6 :: v_dual_mul_f32 v4, v15, v9
	v_dual_add_f32 v66, v5, v66 :: v_dual_mul_f32 v5, v14, v9
	s_delay_alu instid0(VALU_DEP_1) | instskip(NEXT) | instid1(VALU_DEP_1)
	v_dual_fma_f32 v4, v14, v8, -v4 :: v_dual_fmac_f32 v5, v15, v8
	v_dual_add_f32 v58, v58, v4 :: v_dual_mul_f32 v4, v15, v11
	s_delay_alu instid0(VALU_DEP_2) | instskip(NEXT) | instid1(VALU_DEP_1)
	v_dual_add_f32 v60, v60, v5 :: v_dual_mul_f32 v5, v14, v11
	v_dual_fma_f32 v4, v14, v10, -v4 :: v_dual_fmac_f32 v5, v15, v10
	s_delay_alu instid0(VALU_DEP_1) | instskip(SKIP_3) | instid1(VALU_DEP_1)
	v_dual_add_f32 v12, v12, v4 :: v_dual_add_f32 v13, v13, v5
	ds_load_2addr_b64 v[4:7], v65 offset0:192 offset1:208
	s_wait_dscnt 0x0
	v_dual_mul_f32 v8, v1, v5 :: v_dual_mul_f32 v9, v0, v5
	v_dual_fma_f32 v8, v0, v4, -v8 :: v_dual_fmac_f32 v9, v1, v4
	s_delay_alu instid0(VALU_DEP_1) | instskip(SKIP_1) | instid1(VALU_DEP_1)
	v_dual_add_f32 v14, v62, v8 :: v_dual_add_f32 v15, v64, v9
	v_mul_f32_e32 v8, v1, v7
	v_dual_fma_f32 v8, v0, v6, -v8 :: v_dual_mul_f32 v0, v0, v7
	s_delay_alu instid0(VALU_DEP_1) | instskip(SKIP_3) | instid1(VALU_DEP_1)
	v_dual_fmac_f32 v0, v1, v6 :: v_dual_add_f32 v1, v66, v8
	ds_load_b128 v[8:11], v61 offset:4144
	s_wait_dscnt 0x0
	v_dual_mul_f32 v62, v9, v5 :: v_dual_mul_f32 v5, v8, v5
	v_dual_fma_f32 v62, v8, v4, -v62 :: v_dual_fmac_f32 v5, v9, v4
	v_dual_mul_f32 v4, v9, v7 :: v_dual_add_f32 v0, v68, v0
	s_delay_alu instid0(VALU_DEP_2) | instskip(NEXT) | instid1(VALU_DEP_2)
	v_dual_add_f32 v58, v58, v62 :: v_dual_add_f32 v60, v60, v5
	v_dual_fma_f32 v4, v8, v6, -v4 :: v_dual_mul_f32 v5, v8, v7
	s_delay_alu instid0(VALU_DEP_1) | instskip(NEXT) | instid1(VALU_DEP_1)
	v_dual_fmac_f32 v5, v9, v6 :: v_dual_add_f32 v8, v12, v4
	v_add_f32_e32 v9, v13, v5
	ds_load_2addr_b64 v[4:7], v65 offset0:224 offset1:240
	s_wait_dscnt 0x0
	v_dual_mul_f32 v12, v3, v5 :: v_dual_mul_f32 v13, v2, v5
	s_delay_alu instid0(VALU_DEP_1) | instskip(NEXT) | instid1(VALU_DEP_1)
	v_dual_fma_f32 v12, v2, v4, -v12 :: v_dual_fmac_f32 v13, v3, v4
	v_dual_add_f32 v12, v14, v12 :: v_dual_add_f32 v13, v15, v13
	v_mul_f32_e32 v14, v3, v7
	s_delay_alu instid0(VALU_DEP_1) | instskip(NEXT) | instid1(VALU_DEP_1)
	v_dual_fma_f32 v14, v2, v6, -v14 :: v_dual_mul_f32 v2, v2, v7
	v_fmac_f32_e32 v2, v3, v6
	s_delay_alu instid0(VALU_DEP_1) | instskip(NEXT) | instid1(VALU_DEP_3)
	v_dual_add_f32 v15, v0, v2 :: v_dual_mul_f32 v0, v11, v5
	v_dual_add_f32 v14, v1, v14 :: v_dual_mul_f32 v1, v10, v5
	s_delay_alu instid0(VALU_DEP_1) | instskip(NEXT) | instid1(VALU_DEP_1)
	v_dual_fma_f32 v0, v10, v4, -v0 :: v_dual_fmac_f32 v1, v11, v4
	v_dual_add_f32 v58, v58, v0 :: v_dual_mul_f32 v0, v11, v7
	s_delay_alu instid0(VALU_DEP_2) | instskip(NEXT) | instid1(VALU_DEP_1)
	v_dual_add_f32 v60, v60, v1 :: v_dual_mul_f32 v1, v10, v7
	v_dual_fma_f32 v0, v10, v6, -v0 :: v_dual_fmac_f32 v1, v11, v6
	s_delay_alu instid0(VALU_DEP_1) | instskip(SKIP_4) | instid1(VALU_DEP_1)
	v_dual_add_f32 v62, v8, v0 :: v_dual_add_f32 v64, v9, v1
	ds_load_b128 v[0:3], v61 offset:64
	ds_load_2addr_b64 v[4:7], v72 offset1:16
	s_wait_dscnt 0x0
	v_dual_mul_f32 v8, v1, v5 :: v_dual_mul_f32 v9, v0, v5
	v_dual_fma_f32 v8, v0, v4, -v8 :: v_dual_fmac_f32 v9, v1, v4
	s_delay_alu instid0(VALU_DEP_1) | instskip(SKIP_1) | instid1(VALU_DEP_1)
	v_dual_add_f32 v12, v12, v8 :: v_dual_add_f32 v13, v13, v9
	v_mul_f32_e32 v8, v1, v7
	v_dual_fma_f32 v8, v0, v6, -v8 :: v_dual_mul_f32 v0, v0, v7
	s_delay_alu instid0(VALU_DEP_1) | instskip(NEXT) | instid1(VALU_DEP_1)
	v_fmac_f32_e32 v0, v1, v6
	v_add_f32_e32 v0, v15, v0
	s_delay_alu instid0(VALU_DEP_3) | instskip(SKIP_3) | instid1(VALU_DEP_1)
	v_add_f32_e32 v1, v14, v8
	ds_load_b128 v[8:11], v61 offset:4160
	s_wait_dscnt 0x0
	v_dual_mul_f32 v14, v9, v5 :: v_dual_mul_f32 v5, v8, v5
	v_dual_fma_f32 v14, v8, v4, -v14 :: v_dual_fmac_f32 v5, v9, v4
	s_delay_alu instid0(VALU_DEP_1) | instskip(NEXT) | instid1(VALU_DEP_2)
	v_dual_mul_f32 v4, v9, v7 :: v_dual_add_f32 v14, v58, v14
	v_add_f32_e32 v15, v60, v5
	s_delay_alu instid0(VALU_DEP_2) | instskip(NEXT) | instid1(VALU_DEP_1)
	v_dual_mul_f32 v5, v8, v7 :: v_dual_fma_f32 v4, v8, v6, -v4
	v_dual_fmac_f32 v5, v9, v6 :: v_dual_add_f32 v8, v62, v4
	s_delay_alu instid0(VALU_DEP_1) | instskip(SKIP_3) | instid1(VALU_DEP_1)
	v_add_f32_e32 v9, v64, v5
	ds_load_2addr_b64 v[4:7], v72 offset0:32 offset1:48
	s_wait_dscnt 0x0
	v_dual_mul_f32 v58, v3, v5 :: v_dual_mul_f32 v60, v2, v5
	v_dual_fma_f32 v58, v2, v4, -v58 :: v_dual_fmac_f32 v60, v3, v4
	s_delay_alu instid0(VALU_DEP_1) | instskip(SKIP_1) | instid1(VALU_DEP_1)
	v_dual_add_f32 v12, v12, v58 :: v_dual_add_f32 v13, v13, v60
	v_mul_f32_e32 v58, v3, v7
	v_dual_fma_f32 v58, v2, v6, -v58 :: v_dual_mul_f32 v2, v2, v7
	s_delay_alu instid0(VALU_DEP_1) | instskip(NEXT) | instid1(VALU_DEP_1)
	v_fmac_f32_e32 v2, v3, v6
	v_dual_add_f32 v60, v0, v2 :: v_dual_mul_f32 v0, v11, v5
	s_delay_alu instid0(VALU_DEP_3) | instskip(NEXT) | instid1(VALU_DEP_1)
	v_dual_add_f32 v58, v1, v58 :: v_dual_mul_f32 v1, v10, v5
	v_dual_fma_f32 v0, v10, v4, -v0 :: v_dual_fmac_f32 v1, v11, v4
	s_delay_alu instid0(VALU_DEP_1) | instskip(NEXT) | instid1(VALU_DEP_2)
	v_dual_add_f32 v14, v14, v0 :: v_dual_mul_f32 v0, v11, v7
	v_dual_add_f32 v15, v15, v1 :: v_dual_mul_f32 v1, v10, v7
	s_delay_alu instid0(VALU_DEP_1) | instskip(NEXT) | instid1(VALU_DEP_1)
	v_dual_fma_f32 v0, v10, v6, -v0 :: v_dual_fmac_f32 v1, v11, v6
	v_dual_add_f32 v62, v8, v0 :: v_dual_add_f32 v64, v9, v1
	ds_load_b128 v[0:3], v61 offset:80
	ds_load_2addr_b64 v[4:7], v72 offset0:64 offset1:80
	s_wait_dscnt 0x0
	v_dual_mul_f32 v8, v1, v5 :: v_dual_mul_f32 v9, v0, v5
	s_delay_alu instid0(VALU_DEP_1) | instskip(NEXT) | instid1(VALU_DEP_1)
	v_dual_fma_f32 v8, v0, v4, -v8 :: v_dual_fmac_f32 v9, v1, v4
	v_dual_add_f32 v12, v12, v8 :: v_dual_add_f32 v13, v13, v9
	v_mul_f32_e32 v8, v1, v7
	s_delay_alu instid0(VALU_DEP_1) | instskip(NEXT) | instid1(VALU_DEP_1)
	v_dual_fma_f32 v8, v0, v6, -v8 :: v_dual_mul_f32 v0, v0, v7
	v_dual_fmac_f32 v0, v1, v6 :: v_dual_add_f32 v1, v58, v8
	ds_load_b128 v[8:11], v61 offset:4176
	s_wait_dscnt 0x0
	v_dual_mul_f32 v58, v9, v5 :: v_dual_mul_f32 v5, v8, v5
	s_delay_alu instid0(VALU_DEP_1) | instskip(SKIP_1) | instid1(VALU_DEP_2)
	v_dual_fma_f32 v58, v8, v4, -v58 :: v_dual_fmac_f32 v5, v9, v4
	v_dual_mul_f32 v4, v9, v7 :: v_dual_add_f32 v0, v60, v0
	v_dual_add_f32 v14, v14, v58 :: v_dual_add_f32 v15, v15, v5
	s_delay_alu instid0(VALU_DEP_2) | instskip(NEXT) | instid1(VALU_DEP_1)
	v_dual_fma_f32 v4, v8, v6, -v4 :: v_dual_mul_f32 v5, v8, v7
	v_dual_add_f32 v8, v62, v4 :: v_dual_fmac_f32 v5, v9, v6
	s_delay_alu instid0(VALU_DEP_1) | instskip(SKIP_3) | instid1(VALU_DEP_1)
	v_add_f32_e32 v9, v64, v5
	ds_load_2addr_b64 v[4:7], v72 offset0:96 offset1:112
	s_wait_dscnt 0x0
	v_mul_f32_e32 v58, v3, v5
	v_dual_fma_f32 v58, v2, v4, -v58 :: v_dual_mul_f32 v60, v2, v5
	s_delay_alu instid0(VALU_DEP_1) | instskip(NEXT) | instid1(VALU_DEP_1)
	v_dual_add_f32 v12, v12, v58 :: v_dual_fmac_f32 v60, v3, v4
	v_dual_mul_f32 v58, v3, v7 :: v_dual_add_f32 v13, v13, v60
	s_delay_alu instid0(VALU_DEP_1) | instskip(NEXT) | instid1(VALU_DEP_1)
	v_dual_fma_f32 v58, v2, v6, -v58 :: v_dual_mul_f32 v2, v2, v7
	v_add_f32_e32 v58, v1, v58
	s_delay_alu instid0(VALU_DEP_2) | instskip(NEXT) | instid1(VALU_DEP_1)
	v_dual_fmac_f32 v2, v3, v6 :: v_dual_mul_f32 v1, v10, v5
	v_dual_add_f32 v60, v0, v2 :: v_dual_mul_f32 v0, v11, v5
	s_delay_alu instid0(VALU_DEP_1) | instskip(NEXT) | instid1(VALU_DEP_1)
	v_fma_f32 v0, v10, v4, -v0
	v_dual_add_f32 v14, v14, v0 :: v_dual_mul_f32 v0, v11, v7
	s_delay_alu instid0(VALU_DEP_1) | instskip(NEXT) | instid1(VALU_DEP_1)
	v_dual_fmac_f32 v1, v11, v4 :: v_dual_fma_f32 v0, v10, v6, -v0
	v_dual_add_f32 v15, v15, v1 :: v_dual_mul_f32 v1, v10, v7
	s_delay_alu instid0(VALU_DEP_1) | instskip(NEXT) | instid1(VALU_DEP_1)
	v_dual_add_f32 v62, v8, v0 :: v_dual_fmac_f32 v1, v11, v6
	v_add_f32_e32 v64, v9, v1
	ds_load_b128 v[0:3], v61 offset:96
	ds_load_2addr_b64 v[4:7], v72 offset0:128 offset1:144
	s_wait_dscnt 0x0
	v_dual_mul_f32 v8, v1, v5 :: v_dual_mul_f32 v9, v0, v5
	s_delay_alu instid0(VALU_DEP_1) | instskip(NEXT) | instid1(VALU_DEP_1)
	v_dual_fma_f32 v8, v0, v4, -v8 :: v_dual_fmac_f32 v9, v1, v4
	v_dual_add_f32 v12, v12, v8 :: v_dual_mul_f32 v8, v1, v7
	s_delay_alu instid0(VALU_DEP_1) | instskip(SKIP_1) | instid1(VALU_DEP_1)
	v_dual_add_f32 v13, v13, v9 :: v_dual_fma_f32 v8, v0, v6, -v8
	v_mul_f32_e32 v0, v0, v7
	v_dual_fmac_f32 v0, v1, v6 :: v_dual_add_f32 v1, v58, v8
	ds_load_b128 v[8:11], v61 offset:4192
	s_wait_dscnt 0x0
	v_dual_mul_f32 v58, v9, v5 :: v_dual_mul_f32 v5, v8, v5
	s_delay_alu instid0(VALU_DEP_1) | instskip(SKIP_1) | instid1(VALU_DEP_2)
	v_dual_fma_f32 v58, v8, v4, -v58 :: v_dual_fmac_f32 v5, v9, v4
	v_dual_mul_f32 v4, v9, v7 :: v_dual_add_f32 v0, v60, v0
	v_dual_add_f32 v14, v14, v58 :: v_dual_add_f32 v15, v15, v5
	s_delay_alu instid0(VALU_DEP_2) | instskip(NEXT) | instid1(VALU_DEP_1)
	v_dual_fma_f32 v4, v8, v6, -v4 :: v_dual_mul_f32 v5, v8, v7
	v_dual_add_f32 v8, v62, v4 :: v_dual_fmac_f32 v5, v9, v6
	s_delay_alu instid0(VALU_DEP_1) | instskip(SKIP_3) | instid1(VALU_DEP_1)
	v_add_f32_e32 v9, v64, v5
	ds_load_2addr_b64 v[4:7], v72 offset0:160 offset1:176
	s_wait_dscnt 0x0
	v_mul_f32_e32 v58, v3, v5
	v_dual_fma_f32 v58, v2, v4, -v58 :: v_dual_mul_f32 v60, v2, v5
	s_delay_alu instid0(VALU_DEP_1) | instskip(NEXT) | instid1(VALU_DEP_1)
	v_dual_add_f32 v12, v12, v58 :: v_dual_fmac_f32 v60, v3, v4
	v_dual_mul_f32 v58, v3, v7 :: v_dual_add_f32 v13, v13, v60
	s_delay_alu instid0(VALU_DEP_1) | instskip(NEXT) | instid1(VALU_DEP_1)
	v_dual_fma_f32 v58, v2, v6, -v58 :: v_dual_mul_f32 v2, v2, v7
	v_add_f32_e32 v58, v1, v58
	s_delay_alu instid0(VALU_DEP_2) | instskip(NEXT) | instid1(VALU_DEP_1)
	v_dual_fmac_f32 v2, v3, v6 :: v_dual_mul_f32 v1, v10, v5
	v_dual_add_f32 v60, v0, v2 :: v_dual_mul_f32 v0, v11, v5
	s_delay_alu instid0(VALU_DEP_1) | instskip(NEXT) | instid1(VALU_DEP_1)
	v_fma_f32 v0, v10, v4, -v0
	v_dual_add_f32 v14, v14, v0 :: v_dual_mul_f32 v0, v11, v7
	s_delay_alu instid0(VALU_DEP_1) | instskip(NEXT) | instid1(VALU_DEP_1)
	v_dual_fmac_f32 v1, v11, v4 :: v_dual_fma_f32 v0, v10, v6, -v0
	v_dual_add_f32 v15, v15, v1 :: v_dual_mul_f32 v1, v10, v7
	s_delay_alu instid0(VALU_DEP_1) | instskip(NEXT) | instid1(VALU_DEP_1)
	v_dual_add_f32 v62, v8, v0 :: v_dual_fmac_f32 v1, v11, v6
	v_add_f32_e32 v64, v9, v1
	ds_load_b128 v[0:3], v61 offset:112
	ds_load_2addr_b64 v[4:7], v72 offset0:192 offset1:208
	s_wait_dscnt 0x0
	v_dual_mul_f32 v8, v1, v5 :: v_dual_mul_f32 v9, v0, v5
	s_delay_alu instid0(VALU_DEP_1) | instskip(NEXT) | instid1(VALU_DEP_1)
	v_dual_fma_f32 v8, v0, v4, -v8 :: v_dual_fmac_f32 v9, v1, v4
	v_dual_add_f32 v12, v12, v8 :: v_dual_mul_f32 v8, v1, v7
	s_delay_alu instid0(VALU_DEP_1) | instskip(SKIP_1) | instid1(VALU_DEP_1)
	v_dual_add_f32 v13, v13, v9 :: v_dual_fma_f32 v8, v0, v6, -v8
	v_mul_f32_e32 v0, v0, v7
	v_dual_fmac_f32 v0, v1, v6 :: v_dual_add_f32 v1, v58, v8
	ds_load_b128 v[8:11], v61 offset:4208
	s_wait_dscnt 0x0
	v_dual_mul_f32 v58, v9, v5 :: v_dual_mul_f32 v5, v8, v5
	s_delay_alu instid0(VALU_DEP_1) | instskip(SKIP_1) | instid1(VALU_DEP_2)
	v_dual_fma_f32 v58, v8, v4, -v58 :: v_dual_fmac_f32 v5, v9, v4
	v_dual_mul_f32 v4, v9, v7 :: v_dual_add_f32 v0, v60, v0
	v_dual_add_f32 v14, v14, v58 :: v_dual_add_f32 v15, v15, v5
	s_delay_alu instid0(VALU_DEP_2) | instskip(NEXT) | instid1(VALU_DEP_1)
	v_dual_fma_f32 v4, v8, v6, -v4 :: v_dual_mul_f32 v5, v8, v7
	v_dual_add_f32 v8, v62, v4 :: v_dual_fmac_f32 v5, v9, v6
	s_delay_alu instid0(VALU_DEP_1) | instskip(SKIP_3) | instid1(VALU_DEP_1)
	v_add_f32_e32 v9, v64, v5
	ds_load_2addr_b64 v[4:7], v72 offset0:224 offset1:240
	s_wait_dscnt 0x0
	v_mul_f32_e32 v58, v3, v5
	v_dual_fma_f32 v58, v2, v4, -v58 :: v_dual_mul_f32 v60, v2, v5
	s_delay_alu instid0(VALU_DEP_1) | instskip(NEXT) | instid1(VALU_DEP_1)
	v_dual_add_f32 v12, v12, v58 :: v_dual_fmac_f32 v60, v3, v4
	v_dual_mul_f32 v58, v3, v7 :: v_dual_add_f32 v13, v13, v60
	s_delay_alu instid0(VALU_DEP_1) | instskip(NEXT) | instid1(VALU_DEP_1)
	v_dual_fma_f32 v58, v2, v6, -v58 :: v_dual_mul_f32 v2, v2, v7
	v_add_f32_e32 v58, v1, v58
	s_delay_alu instid0(VALU_DEP_2) | instskip(NEXT) | instid1(VALU_DEP_1)
	v_dual_fmac_f32 v2, v3, v6 :: v_dual_mul_f32 v1, v10, v5
	v_dual_add_f32 v60, v0, v2 :: v_dual_mul_f32 v0, v11, v5
	s_delay_alu instid0(VALU_DEP_1) | instskip(NEXT) | instid1(VALU_DEP_1)
	v_fma_f32 v0, v10, v4, -v0
	v_dual_add_f32 v14, v14, v0 :: v_dual_mul_f32 v0, v11, v7
	s_delay_alu instid0(VALU_DEP_1) | instskip(NEXT) | instid1(VALU_DEP_1)
	v_dual_fmac_f32 v1, v11, v4 :: v_dual_fma_f32 v0, v10, v6, -v0
	v_dual_add_f32 v15, v15, v1 :: v_dual_mul_f32 v1, v10, v7
	s_delay_alu instid0(VALU_DEP_1) | instskip(NEXT) | instid1(VALU_DEP_1)
	v_dual_add_f32 v62, v8, v0 :: v_dual_fmac_f32 v1, v11, v6
	v_add_f32_e32 v64, v9, v1
	ds_load_b128 v[0:3], v61 offset:128
	ds_load_2addr_b64 v[4:7], v73 offset1:16
	s_wait_dscnt 0x0
	v_dual_mul_f32 v8, v1, v5 :: v_dual_mul_f32 v9, v0, v5
	s_delay_alu instid0(VALU_DEP_1) | instskip(NEXT) | instid1(VALU_DEP_1)
	v_dual_fma_f32 v8, v0, v4, -v8 :: v_dual_fmac_f32 v9, v1, v4
	v_dual_add_f32 v12, v12, v8 :: v_dual_mul_f32 v8, v1, v7
	s_delay_alu instid0(VALU_DEP_1) | instskip(SKIP_1) | instid1(VALU_DEP_1)
	v_dual_add_f32 v13, v13, v9 :: v_dual_fma_f32 v8, v0, v6, -v8
	v_mul_f32_e32 v0, v0, v7
	v_dual_fmac_f32 v0, v1, v6 :: v_dual_add_f32 v1, v58, v8
	ds_load_b128 v[8:11], v61 offset:4224
	s_wait_dscnt 0x0
	v_dual_mul_f32 v58, v9, v5 :: v_dual_mul_f32 v5, v8, v5
	s_delay_alu instid0(VALU_DEP_1) | instskip(SKIP_1) | instid1(VALU_DEP_2)
	v_dual_fma_f32 v58, v8, v4, -v58 :: v_dual_fmac_f32 v5, v9, v4
	v_dual_mul_f32 v4, v9, v7 :: v_dual_add_f32 v0, v60, v0
	v_dual_add_f32 v14, v14, v58 :: v_dual_add_f32 v15, v15, v5
	s_delay_alu instid0(VALU_DEP_2) | instskip(NEXT) | instid1(VALU_DEP_1)
	v_dual_fma_f32 v4, v8, v6, -v4 :: v_dual_mul_f32 v5, v8, v7
	v_dual_add_f32 v8, v62, v4 :: v_dual_fmac_f32 v5, v9, v6
	s_delay_alu instid0(VALU_DEP_1) | instskip(SKIP_3) | instid1(VALU_DEP_1)
	v_add_f32_e32 v9, v64, v5
	ds_load_2addr_b64 v[4:7], v73 offset0:32 offset1:48
	s_wait_dscnt 0x0
	v_mul_f32_e32 v58, v3, v5
	v_dual_fma_f32 v58, v2, v4, -v58 :: v_dual_mul_f32 v60, v2, v5
	s_delay_alu instid0(VALU_DEP_1) | instskip(NEXT) | instid1(VALU_DEP_1)
	v_dual_add_f32 v12, v12, v58 :: v_dual_fmac_f32 v60, v3, v4
	v_dual_mul_f32 v58, v3, v7 :: v_dual_add_f32 v13, v13, v60
	s_delay_alu instid0(VALU_DEP_1) | instskip(NEXT) | instid1(VALU_DEP_1)
	v_dual_fma_f32 v58, v2, v6, -v58 :: v_dual_mul_f32 v2, v2, v7
	v_add_f32_e32 v58, v1, v58
	s_delay_alu instid0(VALU_DEP_2) | instskip(NEXT) | instid1(VALU_DEP_1)
	v_dual_fmac_f32 v2, v3, v6 :: v_dual_mul_f32 v1, v10, v5
	v_dual_add_f32 v60, v0, v2 :: v_dual_mul_f32 v0, v11, v5
	s_delay_alu instid0(VALU_DEP_1) | instskip(NEXT) | instid1(VALU_DEP_1)
	v_fma_f32 v0, v10, v4, -v0
	v_dual_add_f32 v14, v14, v0 :: v_dual_mul_f32 v0, v11, v7
	s_delay_alu instid0(VALU_DEP_1) | instskip(NEXT) | instid1(VALU_DEP_1)
	v_dual_fmac_f32 v1, v11, v4 :: v_dual_fma_f32 v0, v10, v6, -v0
	v_dual_add_f32 v15, v15, v1 :: v_dual_mul_f32 v1, v10, v7
	s_delay_alu instid0(VALU_DEP_1) | instskip(NEXT) | instid1(VALU_DEP_1)
	v_dual_add_f32 v62, v8, v0 :: v_dual_fmac_f32 v1, v11, v6
	v_add_f32_e32 v64, v9, v1
	ds_load_b128 v[0:3], v61 offset:144
	ds_load_2addr_b64 v[4:7], v73 offset0:64 offset1:80
	s_wait_dscnt 0x0
	v_dual_mul_f32 v8, v1, v5 :: v_dual_mul_f32 v9, v0, v5
	s_delay_alu instid0(VALU_DEP_1) | instskip(NEXT) | instid1(VALU_DEP_1)
	v_dual_fma_f32 v8, v0, v4, -v8 :: v_dual_fmac_f32 v9, v1, v4
	v_dual_add_f32 v12, v12, v8 :: v_dual_mul_f32 v8, v1, v7
	s_delay_alu instid0(VALU_DEP_1) | instskip(SKIP_1) | instid1(VALU_DEP_1)
	v_dual_add_f32 v13, v13, v9 :: v_dual_fma_f32 v8, v0, v6, -v8
	v_mul_f32_e32 v0, v0, v7
	v_dual_fmac_f32 v0, v1, v6 :: v_dual_add_f32 v1, v58, v8
	ds_load_b128 v[8:11], v61 offset:4240
	s_wait_dscnt 0x0
	v_dual_mul_f32 v58, v9, v5 :: v_dual_mul_f32 v5, v8, v5
	s_delay_alu instid0(VALU_DEP_1) | instskip(SKIP_1) | instid1(VALU_DEP_2)
	v_dual_fma_f32 v58, v8, v4, -v58 :: v_dual_fmac_f32 v5, v9, v4
	v_dual_mul_f32 v4, v9, v7 :: v_dual_add_f32 v0, v60, v0
	v_dual_add_f32 v14, v14, v58 :: v_dual_add_f32 v15, v15, v5
	s_delay_alu instid0(VALU_DEP_2) | instskip(NEXT) | instid1(VALU_DEP_1)
	v_dual_fma_f32 v4, v8, v6, -v4 :: v_dual_mul_f32 v5, v8, v7
	v_dual_add_f32 v8, v62, v4 :: v_dual_fmac_f32 v5, v9, v6
	s_delay_alu instid0(VALU_DEP_1) | instskip(SKIP_3) | instid1(VALU_DEP_1)
	v_add_f32_e32 v9, v64, v5
	ds_load_2addr_b64 v[4:7], v73 offset0:96 offset1:112
	s_wait_dscnt 0x0
	v_mul_f32_e32 v58, v3, v5
	v_dual_fma_f32 v58, v2, v4, -v58 :: v_dual_mul_f32 v60, v2, v5
	s_delay_alu instid0(VALU_DEP_1) | instskip(NEXT) | instid1(VALU_DEP_1)
	v_dual_add_f32 v12, v12, v58 :: v_dual_fmac_f32 v60, v3, v4
	v_dual_mul_f32 v58, v3, v7 :: v_dual_add_f32 v13, v13, v60
	s_delay_alu instid0(VALU_DEP_1) | instskip(NEXT) | instid1(VALU_DEP_1)
	v_dual_fma_f32 v58, v2, v6, -v58 :: v_dual_mul_f32 v2, v2, v7
	v_add_f32_e32 v58, v1, v58
	s_delay_alu instid0(VALU_DEP_2) | instskip(NEXT) | instid1(VALU_DEP_1)
	v_dual_fmac_f32 v2, v3, v6 :: v_dual_mul_f32 v1, v10, v5
	v_dual_add_f32 v60, v0, v2 :: v_dual_mul_f32 v0, v11, v5
	s_delay_alu instid0(VALU_DEP_1) | instskip(NEXT) | instid1(VALU_DEP_1)
	v_fma_f32 v0, v10, v4, -v0
	v_dual_add_f32 v14, v14, v0 :: v_dual_mul_f32 v0, v11, v7
	s_delay_alu instid0(VALU_DEP_1) | instskip(NEXT) | instid1(VALU_DEP_1)
	v_dual_fmac_f32 v1, v11, v4 :: v_dual_fma_f32 v0, v10, v6, -v0
	v_dual_add_f32 v15, v15, v1 :: v_dual_mul_f32 v1, v10, v7
	s_delay_alu instid0(VALU_DEP_1) | instskip(NEXT) | instid1(VALU_DEP_1)
	v_dual_add_f32 v62, v8, v0 :: v_dual_fmac_f32 v1, v11, v6
	v_add_f32_e32 v64, v9, v1
	ds_load_b128 v[0:3], v61 offset:160
	ds_load_2addr_b64 v[4:7], v73 offset0:128 offset1:144
	;; [unrolled: 45-line block ×3, first 2 shown]
	s_wait_dscnt 0x0
	v_dual_mul_f32 v8, v1, v5 :: v_dual_mul_f32 v9, v0, v5
	s_delay_alu instid0(VALU_DEP_1) | instskip(NEXT) | instid1(VALU_DEP_1)
	v_dual_fma_f32 v8, v0, v4, -v8 :: v_dual_fmac_f32 v9, v1, v4
	v_dual_add_f32 v12, v12, v8 :: v_dual_mul_f32 v8, v1, v7
	s_delay_alu instid0(VALU_DEP_1) | instskip(SKIP_1) | instid1(VALU_DEP_1)
	v_dual_add_f32 v13, v13, v9 :: v_dual_fma_f32 v8, v0, v6, -v8
	v_mul_f32_e32 v0, v0, v7
	v_dual_fmac_f32 v0, v1, v6 :: v_dual_add_f32 v1, v58, v8
	ds_load_b128 v[8:11], v61 offset:4272
	s_wait_dscnt 0x0
	v_dual_mul_f32 v58, v9, v5 :: v_dual_mul_f32 v5, v8, v5
	s_delay_alu instid0(VALU_DEP_1) | instskip(SKIP_1) | instid1(VALU_DEP_2)
	v_dual_fma_f32 v58, v8, v4, -v58 :: v_dual_fmac_f32 v5, v9, v4
	v_dual_mul_f32 v4, v9, v7 :: v_dual_add_f32 v0, v60, v0
	v_dual_add_f32 v14, v14, v58 :: v_dual_add_f32 v15, v15, v5
	s_delay_alu instid0(VALU_DEP_2) | instskip(NEXT) | instid1(VALU_DEP_1)
	v_dual_fma_f32 v4, v8, v6, -v4 :: v_dual_mul_f32 v5, v8, v7
	v_dual_add_f32 v8, v62, v4 :: v_dual_fmac_f32 v5, v9, v6
	s_delay_alu instid0(VALU_DEP_1) | instskip(SKIP_3) | instid1(VALU_DEP_1)
	v_add_f32_e32 v9, v64, v5
	ds_load_2addr_b64 v[4:7], v73 offset0:224 offset1:240
	s_wait_dscnt 0x0
	v_mul_f32_e32 v58, v3, v5
	v_dual_fma_f32 v58, v2, v4, -v58 :: v_dual_mul_f32 v60, v2, v5
	s_delay_alu instid0(VALU_DEP_1) | instskip(NEXT) | instid1(VALU_DEP_1)
	v_dual_add_f32 v12, v12, v58 :: v_dual_fmac_f32 v60, v3, v4
	v_dual_mul_f32 v58, v3, v7 :: v_dual_add_f32 v13, v13, v60
	s_delay_alu instid0(VALU_DEP_1) | instskip(NEXT) | instid1(VALU_DEP_1)
	v_dual_fma_f32 v58, v2, v6, -v58 :: v_dual_mul_f32 v2, v2, v7
	v_add_f32_e32 v58, v1, v58
	s_delay_alu instid0(VALU_DEP_2) | instskip(NEXT) | instid1(VALU_DEP_1)
	v_dual_fmac_f32 v2, v3, v6 :: v_dual_mul_f32 v1, v10, v5
	v_dual_add_f32 v60, v0, v2 :: v_dual_mul_f32 v0, v11, v5
	s_delay_alu instid0(VALU_DEP_1) | instskip(NEXT) | instid1(VALU_DEP_1)
	v_fma_f32 v0, v10, v4, -v0
	v_dual_add_f32 v14, v14, v0 :: v_dual_mul_f32 v0, v11, v7
	s_delay_alu instid0(VALU_DEP_1) | instskip(NEXT) | instid1(VALU_DEP_1)
	v_dual_fmac_f32 v1, v11, v4 :: v_dual_fma_f32 v0, v10, v6, -v0
	v_dual_add_f32 v15, v15, v1 :: v_dual_mul_f32 v1, v10, v7
	s_delay_alu instid0(VALU_DEP_1) | instskip(NEXT) | instid1(VALU_DEP_1)
	v_dual_add_f32 v62, v8, v0 :: v_dual_fmac_f32 v1, v11, v6
	v_add_f32_e32 v64, v9, v1
	ds_load_b128 v[0:3], v61 offset:192
	ds_load_2addr_b64 v[4:7], v74 offset1:16
	s_wait_dscnt 0x0
	v_dual_mul_f32 v8, v1, v5 :: v_dual_mul_f32 v9, v0, v5
	s_delay_alu instid0(VALU_DEP_1) | instskip(NEXT) | instid1(VALU_DEP_1)
	v_dual_fma_f32 v8, v0, v4, -v8 :: v_dual_fmac_f32 v9, v1, v4
	v_dual_add_f32 v12, v12, v8 :: v_dual_mul_f32 v8, v1, v7
	s_delay_alu instid0(VALU_DEP_1) | instskip(SKIP_1) | instid1(VALU_DEP_1)
	v_dual_add_f32 v13, v13, v9 :: v_dual_fma_f32 v8, v0, v6, -v8
	v_mul_f32_e32 v0, v0, v7
	v_dual_fmac_f32 v0, v1, v6 :: v_dual_add_f32 v1, v58, v8
	ds_load_b128 v[8:11], v61 offset:4288
	s_wait_dscnt 0x0
	v_dual_mul_f32 v58, v9, v5 :: v_dual_mul_f32 v5, v8, v5
	s_delay_alu instid0(VALU_DEP_1) | instskip(SKIP_1) | instid1(VALU_DEP_2)
	v_dual_fma_f32 v58, v8, v4, -v58 :: v_dual_fmac_f32 v5, v9, v4
	v_dual_mul_f32 v4, v9, v7 :: v_dual_add_f32 v0, v60, v0
	v_dual_add_f32 v14, v14, v58 :: v_dual_add_f32 v15, v15, v5
	s_delay_alu instid0(VALU_DEP_2) | instskip(NEXT) | instid1(VALU_DEP_1)
	v_dual_fma_f32 v4, v8, v6, -v4 :: v_dual_mul_f32 v5, v8, v7
	v_dual_add_f32 v8, v62, v4 :: v_dual_fmac_f32 v5, v9, v6
	s_delay_alu instid0(VALU_DEP_1) | instskip(SKIP_3) | instid1(VALU_DEP_1)
	v_add_f32_e32 v9, v64, v5
	ds_load_2addr_b64 v[4:7], v74 offset0:32 offset1:48
	s_wait_dscnt 0x0
	v_mul_f32_e32 v58, v3, v5
	v_dual_fma_f32 v58, v2, v4, -v58 :: v_dual_mul_f32 v60, v2, v5
	s_delay_alu instid0(VALU_DEP_1) | instskip(NEXT) | instid1(VALU_DEP_1)
	v_dual_add_f32 v12, v12, v58 :: v_dual_fmac_f32 v60, v3, v4
	v_dual_mul_f32 v58, v3, v7 :: v_dual_add_f32 v13, v13, v60
	s_delay_alu instid0(VALU_DEP_1) | instskip(NEXT) | instid1(VALU_DEP_1)
	v_dual_fma_f32 v58, v2, v6, -v58 :: v_dual_mul_f32 v2, v2, v7
	v_add_f32_e32 v58, v1, v58
	s_delay_alu instid0(VALU_DEP_2) | instskip(NEXT) | instid1(VALU_DEP_1)
	v_dual_fmac_f32 v2, v3, v6 :: v_dual_mul_f32 v1, v10, v5
	v_dual_add_f32 v60, v0, v2 :: v_dual_mul_f32 v0, v11, v5
	s_delay_alu instid0(VALU_DEP_1) | instskip(NEXT) | instid1(VALU_DEP_1)
	v_fma_f32 v0, v10, v4, -v0
	v_dual_add_f32 v14, v14, v0 :: v_dual_mul_f32 v0, v11, v7
	s_delay_alu instid0(VALU_DEP_1) | instskip(NEXT) | instid1(VALU_DEP_1)
	v_dual_fmac_f32 v1, v11, v4 :: v_dual_fma_f32 v0, v10, v6, -v0
	v_dual_add_f32 v15, v15, v1 :: v_dual_mul_f32 v1, v10, v7
	s_delay_alu instid0(VALU_DEP_1) | instskip(NEXT) | instid1(VALU_DEP_1)
	v_dual_add_f32 v62, v8, v0 :: v_dual_fmac_f32 v1, v11, v6
	v_add_f32_e32 v64, v9, v1
	ds_load_b128 v[0:3], v61 offset:208
	ds_load_2addr_b64 v[4:7], v74 offset0:64 offset1:80
	s_wait_dscnt 0x0
	v_dual_mul_f32 v8, v1, v5 :: v_dual_mul_f32 v9, v0, v5
	s_delay_alu instid0(VALU_DEP_1) | instskip(NEXT) | instid1(VALU_DEP_1)
	v_dual_fma_f32 v8, v0, v4, -v8 :: v_dual_fmac_f32 v9, v1, v4
	v_dual_add_f32 v12, v12, v8 :: v_dual_mul_f32 v8, v1, v7
	s_delay_alu instid0(VALU_DEP_1) | instskip(SKIP_1) | instid1(VALU_DEP_1)
	v_dual_add_f32 v13, v13, v9 :: v_dual_fma_f32 v8, v0, v6, -v8
	v_mul_f32_e32 v0, v0, v7
	v_dual_fmac_f32 v0, v1, v6 :: v_dual_add_f32 v1, v58, v8
	ds_load_b128 v[8:11], v61 offset:4304
	s_wait_dscnt 0x0
	v_dual_mul_f32 v58, v9, v5 :: v_dual_mul_f32 v5, v8, v5
	s_delay_alu instid0(VALU_DEP_1) | instskip(SKIP_1) | instid1(VALU_DEP_2)
	v_dual_fma_f32 v58, v8, v4, -v58 :: v_dual_fmac_f32 v5, v9, v4
	v_dual_mul_f32 v4, v9, v7 :: v_dual_add_f32 v0, v60, v0
	v_dual_add_f32 v14, v14, v58 :: v_dual_add_f32 v15, v15, v5
	s_delay_alu instid0(VALU_DEP_2) | instskip(NEXT) | instid1(VALU_DEP_1)
	v_dual_fma_f32 v4, v8, v6, -v4 :: v_dual_mul_f32 v5, v8, v7
	v_dual_add_f32 v8, v62, v4 :: v_dual_fmac_f32 v5, v9, v6
	s_delay_alu instid0(VALU_DEP_1) | instskip(SKIP_3) | instid1(VALU_DEP_1)
	v_add_f32_e32 v9, v64, v5
	ds_load_2addr_b64 v[4:7], v74 offset0:96 offset1:112
	s_wait_dscnt 0x0
	v_mul_f32_e32 v58, v3, v5
	v_dual_fma_f32 v58, v2, v4, -v58 :: v_dual_mul_f32 v60, v2, v5
	s_delay_alu instid0(VALU_DEP_1) | instskip(NEXT) | instid1(VALU_DEP_1)
	v_dual_add_f32 v12, v12, v58 :: v_dual_fmac_f32 v60, v3, v4
	v_dual_mul_f32 v58, v3, v7 :: v_dual_add_f32 v13, v13, v60
	s_delay_alu instid0(VALU_DEP_1) | instskip(NEXT) | instid1(VALU_DEP_1)
	v_dual_fma_f32 v58, v2, v6, -v58 :: v_dual_mul_f32 v2, v2, v7
	v_add_f32_e32 v58, v1, v58
	s_delay_alu instid0(VALU_DEP_2) | instskip(NEXT) | instid1(VALU_DEP_1)
	v_dual_fmac_f32 v2, v3, v6 :: v_dual_mul_f32 v1, v10, v5
	v_dual_add_f32 v60, v0, v2 :: v_dual_mul_f32 v0, v11, v5
	s_delay_alu instid0(VALU_DEP_1) | instskip(NEXT) | instid1(VALU_DEP_1)
	v_fma_f32 v0, v10, v4, -v0
	v_dual_add_f32 v14, v14, v0 :: v_dual_mul_f32 v0, v11, v7
	s_delay_alu instid0(VALU_DEP_1) | instskip(NEXT) | instid1(VALU_DEP_1)
	v_dual_fmac_f32 v1, v11, v4 :: v_dual_fma_f32 v0, v10, v6, -v0
	v_dual_add_f32 v15, v15, v1 :: v_dual_mul_f32 v1, v10, v7
	s_delay_alu instid0(VALU_DEP_1) | instskip(NEXT) | instid1(VALU_DEP_1)
	v_dual_add_f32 v62, v8, v0 :: v_dual_fmac_f32 v1, v11, v6
	v_add_f32_e32 v64, v9, v1
	ds_load_b128 v[0:3], v61 offset:224
	ds_load_2addr_b64 v[4:7], v74 offset0:128 offset1:144
	;; [unrolled: 45-line block ×3, first 2 shown]
	s_wait_dscnt 0x0
	v_dual_mul_f32 v4, v1, v9 :: v_dual_mul_f32 v5, v0, v9
	s_delay_alu instid0(VALU_DEP_1) | instskip(NEXT) | instid1(VALU_DEP_1)
	v_dual_fma_f32 v4, v0, v8, -v4 :: v_dual_fmac_f32 v5, v1, v8
	v_dual_add_f32 v12, v12, v4 :: v_dual_mul_f32 v4, v1, v11
	s_delay_alu instid0(VALU_DEP_1) | instskip(SKIP_1) | instid1(VALU_DEP_1)
	v_dual_add_f32 v13, v13, v5 :: v_dual_fma_f32 v4, v0, v10, -v4
	v_mul_f32_e32 v0, v0, v11
	v_dual_fmac_f32 v0, v1, v10 :: v_dual_add_f32 v1, v58, v4
	ds_load_b128 v[4:7], v61 offset:4336
	s_wait_dscnt 0x0
	v_dual_mul_f32 v58, v5, v9 :: v_dual_mul_f32 v9, v4, v9
	s_delay_alu instid0(VALU_DEP_1) | instskip(SKIP_1) | instid1(VALU_DEP_2)
	v_dual_fma_f32 v58, v4, v8, -v58 :: v_dual_fmac_f32 v9, v5, v8
	v_dual_mul_f32 v8, v5, v11 :: v_dual_add_f32 v0, v60, v0
	v_dual_add_f32 v14, v14, v58 :: v_dual_add_f32 v15, v15, v9
	s_delay_alu instid0(VALU_DEP_2) | instskip(NEXT) | instid1(VALU_DEP_1)
	v_dual_fma_f32 v8, v4, v10, -v8 :: v_dual_mul_f32 v4, v4, v11
	v_dual_fmac_f32 v4, v5, v10 :: v_dual_add_f32 v5, v62, v8
	ds_load_2addr_b64 v[8:11], v74 offset0:224 offset1:240
	s_wait_dscnt 0x0
	s_barrier_signal -1
	s_barrier_wait -1
	v_dual_mul_f32 v58, v3, v9 :: v_dual_add_f32 v4, v64, v4
	s_delay_alu instid0(VALU_DEP_1) | instskip(NEXT) | instid1(VALU_DEP_1)
	v_dual_mul_f32 v60, v2, v9 :: v_dual_fma_f32 v58, v2, v8, -v58
	v_dual_fmac_f32 v60, v3, v8 :: v_dual_add_f32 v66, v12, v58
	s_delay_alu instid0(VALU_DEP_1) | instskip(NEXT) | instid1(VALU_DEP_1)
	v_dual_mul_f32 v12, v3, v11 :: v_dual_add_f32 v68, v13, v60
	v_dual_fma_f32 v12, v2, v10, -v12 :: v_dual_mul_f32 v2, v2, v11
	s_delay_alu instid0(VALU_DEP_1) | instskip(NEXT) | instid1(VALU_DEP_1)
	v_dual_fmac_f32 v2, v3, v10 :: v_dual_add_f32 v62, v1, v12
	v_dual_mul_f32 v1, v6, v9 :: v_dual_add_f32 v64, v0, v2
	s_delay_alu instid0(VALU_DEP_1) | instskip(NEXT) | instid1(VALU_DEP_1)
	v_dual_mul_f32 v0, v7, v9 :: v_dual_fmac_f32 v1, v7, v8
	v_dual_fma_f32 v0, v6, v8, -v0 :: v_dual_add_f32 v60, v15, v1
	v_mul_f32_e32 v1, v6, v11
	s_delay_alu instid0(VALU_DEP_2) | instskip(NEXT) | instid1(VALU_DEP_1)
	v_dual_add_f32 v58, v14, v0 :: v_dual_mul_f32 v0, v7, v11
	v_dual_fmac_f32 v1, v7, v10 :: v_dual_fma_f32 v0, v6, v10, -v0
	s_delay_alu instid0(VALU_DEP_1)
	v_dual_add_f32 v12, v4, v1 :: v_dual_add_f32 v14, v5, v0
	s_cbranch_scc1 .LBB94_56
.LBB94_11:                              ;   Parent Loop BB94_4 Depth=1
                                        ;     Parent Loop BB94_8 Depth=2
                                        ; =>    This Inner Loop Header: Depth=3
	v_add_nc_u64_e32 v[2:3], s[58:59], v[34:35]
	v_cmp_eq_u64_e64 s7, s[58:59], v[48:49]
	v_add_nc_u64_e32 v[0:1], v[40:41], v[38:39]
	s_delay_alu instid0(VALU_DEP_3) | instskip(SKIP_3) | instid1(SALU_CYCLE_1)
	v_cmp_lt_i64_e64 s5, v[2:3], v[36:37]
	v_cmp_le_i64_e64 s6, s[42:43], v[2:3]
	s_and_b32 s68, s62, s7
	s_or_b32 s8, vcc_lo, s5
	s_or_b32 s7, s6, s8
	s_delay_alu instid0(SALU_CYCLE_1) | instskip(NEXT) | instid1(SALU_CYCLE_1)
	s_nor_b32 s7, s7, s68
	s_and_saveexec_b32 s8, s7
	s_delay_alu instid0(SALU_CYCLE_1)
	s_xor_b32 s7, exec_lo, s8
	s_cbranch_execz .LBB94_13
; %bb.12:                               ;   in Loop: Header=BB94_11 Depth=3
	global_load_b64 v[4:5], v[0:1], off
	s_wait_loadcnt 0x0
	v_xor_b32_e32 v5, 0x80000000, v5
	ds_store_b64 v63, v[4:5]
.LBB94_13:                              ;   in Loop: Header=BB94_11 Depth=3
	s_wait_xcnt 0x0
	s_or_saveexec_b32 s7, s7
	s_xor_b32 s67, s68, -1
	s_xor_b32 exec_lo, exec_lo, s7
	s_cbranch_execz .LBB94_19
; %bb.14:                               ;   in Loop: Header=BB94_11 Depth=3
	s_and_saveexec_b32 s8, s67
	s_delay_alu instid0(SALU_CYCLE_1)
	s_xor_b32 s8, exec_lo, s8
; %bb.15:                               ;   in Loop: Header=BB94_11 Depth=3
	ds_store_b64 v63, v[22:23]
; %bb.16:                               ;   in Loop: Header=BB94_11 Depth=3
	s_and_not1_saveexec_b32 s8, s8
; %bb.17:                               ;   in Loop: Header=BB94_11 Depth=3
	ds_store_b64 v63, v[24:25]
; %bb.18:                               ;   in Loop: Header=BB94_11 Depth=3
	s_or_b32 exec_lo, exec_lo, s8
.LBB94_19:                              ;   in Loop: Header=BB94_11 Depth=3
	s_delay_alu instid0(SALU_CYCLE_1) | instskip(SKIP_2) | instid1(VALU_DEP_2)
	s_or_b32 exec_lo, exec_lo, s7
	v_add_nc_u64_e32 v[4:5], 16, v[2:3]
	v_cmp_eq_u64_e64 s9, s[58:59], v[56:57]
	v_cmp_lt_i64_e64 s8, v[4:5], v[36:37]
	v_cmp_le_i64_e64 s7, s[42:43], v[4:5]
	v_add_nc_u64_e32 v[4:5], v[44:45], v[38:39]
	s_and_b32 s9, s62, s9
	s_or_b32 s8, vcc_lo, s8
	s_delay_alu instid0(SALU_CYCLE_1) | instskip(NEXT) | instid1(SALU_CYCLE_1)
	s_or_b32 s8, s7, s8
	s_nor_b32 s8, s8, s9
	s_delay_alu instid0(SALU_CYCLE_1) | instskip(NEXT) | instid1(SALU_CYCLE_1)
	s_and_saveexec_b32 s69, s8
	s_xor_b32 s8, exec_lo, s69
	s_cbranch_execz .LBB94_21
; %bb.20:                               ;   in Loop: Header=BB94_11 Depth=3
	global_load_b64 v[6:7], v[4:5], off
	s_wait_loadcnt 0x0
	v_xor_b32_e32 v7, 0x80000000, v7
	ds_store_b64 v63, v[6:7] offset:128
.LBB94_21:                              ;   in Loop: Header=BB94_11 Depth=3
	s_wait_xcnt 0x0
	s_and_not1_saveexec_b32 s8, s8
	s_cbranch_execz .LBB94_27
; %bb.22:                               ;   in Loop: Header=BB94_11 Depth=3
	s_xor_b32 s9, s9, -1
	s_delay_alu instid0(SALU_CYCLE_1) | instskip(NEXT) | instid1(SALU_CYCLE_1)
	s_and_saveexec_b32 s69, s9
	s_xor_b32 s9, exec_lo, s69
; %bb.23:                               ;   in Loop: Header=BB94_11 Depth=3
	ds_store_b64 v63, v[22:23] offset:128
; %bb.24:                               ;   in Loop: Header=BB94_11 Depth=3
	s_and_not1_saveexec_b32 s9, s9
; %bb.25:                               ;   in Loop: Header=BB94_11 Depth=3
	ds_store_b64 v63, v[24:25] offset:128
; %bb.26:                               ;   in Loop: Header=BB94_11 Depth=3
	s_or_b32 exec_lo, exec_lo, s9
.LBB94_27:                              ;   in Loop: Header=BB94_11 Depth=3
	s_delay_alu instid0(SALU_CYCLE_1) | instskip(SKIP_4) | instid1(SALU_CYCLE_1)
	s_or_b32 exec_lo, exec_lo, s8
	v_cmp_eq_u64_e64 s8, s[58:59], v[54:55]
	v_cmp_lt_i64_e64 s9, v[2:3], v[50:51]
	s_and_b32 s8, s62, s8
	s_or_b32 s9, s4, s9
	s_or_b32 s9, s9, s8
	s_delay_alu instid0(SALU_CYCLE_1) | instskip(NEXT) | instid1(SALU_CYCLE_1)
	s_nor_b32 s6, s6, s9
	s_and_saveexec_b32 s9, s6
	s_delay_alu instid0(SALU_CYCLE_1)
	s_xor_b32 s6, exec_lo, s9
	s_cbranch_execz .LBB94_29
; %bb.28:                               ;   in Loop: Header=BB94_11 Depth=3
	global_load_b64 v[0:1], v[0:1], off offset:128
	s_wait_loadcnt 0x0
	s_wait_xcnt 0x0
	v_xor_b32_e32 v1, 0x80000000, v1
	ds_store_b64 v63, v[0:1] offset:4096
.LBB94_29:                              ;   in Loop: Header=BB94_11 Depth=3
	s_and_not1_saveexec_b32 s6, s6
	s_cbranch_execz .LBB94_35
; %bb.30:                               ;   in Loop: Header=BB94_11 Depth=3
	s_xor_b32 s8, s8, -1
	s_delay_alu instid0(SALU_CYCLE_1) | instskip(NEXT) | instid1(SALU_CYCLE_1)
	s_and_saveexec_b32 s9, s8
	s_xor_b32 s8, exec_lo, s9
; %bb.31:                               ;   in Loop: Header=BB94_11 Depth=3
	ds_store_b64 v63, v[22:23] offset:4096
; %bb.32:                               ;   in Loop: Header=BB94_11 Depth=3
	s_and_not1_saveexec_b32 s8, s8
; %bb.33:                               ;   in Loop: Header=BB94_11 Depth=3
	ds_store_b64 v63, v[24:25] offset:4096
; %bb.34:                               ;   in Loop: Header=BB94_11 Depth=3
	s_or_b32 exec_lo, exec_lo, s8
.LBB94_35:                              ;   in Loop: Header=BB94_11 Depth=3
	s_delay_alu instid0(SALU_CYCLE_1) | instskip(SKIP_1) | instid1(SALU_CYCLE_1)
	s_or_b32 exec_lo, exec_lo, s6
	s_or_b32 s5, s4, s5
	s_or_b32 s5, s7, s5
	s_delay_alu instid0(SALU_CYCLE_1) | instskip(NEXT) | instid1(SALU_CYCLE_1)
	s_nor_b32 s5, s5, s68
	s_and_saveexec_b32 s6, s5
	s_delay_alu instid0(SALU_CYCLE_1)
	s_xor_b32 s5, exec_lo, s6
	s_cbranch_execz .LBB94_37
; %bb.36:                               ;   in Loop: Header=BB94_11 Depth=3
	global_load_b64 v[0:1], v[4:5], off offset:128
	s_wait_loadcnt 0x0
	v_xor_b32_e32 v1, 0x80000000, v1
	ds_store_b64 v63, v[0:1] offset:4224
.LBB94_37:                              ;   in Loop: Header=BB94_11 Depth=3
	s_wait_xcnt 0x0
	s_and_not1_saveexec_b32 s5, s5
	s_cbranch_execz .LBB94_43
; %bb.38:                               ;   in Loop: Header=BB94_11 Depth=3
	s_and_saveexec_b32 s6, s67
	s_delay_alu instid0(SALU_CYCLE_1)
	s_xor_b32 s6, exec_lo, s6
; %bb.39:                               ;   in Loop: Header=BB94_11 Depth=3
	ds_store_b64 v63, v[22:23] offset:4224
; %bb.40:                               ;   in Loop: Header=BB94_11 Depth=3
	s_and_not1_saveexec_b32 s6, s6
; %bb.41:                               ;   in Loop: Header=BB94_11 Depth=3
	ds_store_b64 v63, v[24:25] offset:4224
; %bb.42:                               ;   in Loop: Header=BB94_11 Depth=3
	s_or_b32 exec_lo, exec_lo, s6
.LBB94_43:                              ;   in Loop: Header=BB94_11 Depth=3
	s_delay_alu instid0(SALU_CYCLE_1) | instskip(SKIP_3) | instid1(VALU_DEP_3)
	s_or_b32 exec_lo, exec_lo, s5
	v_add_nc_u64_e32 v[0:1], s[58:59], v[32:33]
	v_add_nc_u64_e32 v[2:3], v[42:43], v[52:53]
	v_mov_b64_e32 v[4:5], 0
	v_cmp_le_i64_e64 s5, s[42:43], v[0:1]
	s_nor_b32 s7, s5, s1
	s_delay_alu instid0(SALU_CYCLE_1)
	s_and_saveexec_b32 s6, s7
	s_cbranch_execz .LBB94_45
; %bb.44:                               ;   in Loop: Header=BB94_11 Depth=3
	global_load_b64 v[4:5], v[2:3], off offset:-128
.LBB94_45:                              ;   in Loop: Header=BB94_11 Depth=3
	s_wait_xcnt 0x0
	s_or_b32 exec_lo, exec_lo, s6
	s_nor_b32 s5, s5, s2
	s_wait_loadcnt 0x0
	ds_store_b64 v67, v[4:5]
	s_and_saveexec_b32 s6, s5
	s_delay_alu instid0(SALU_CYCLE_1)
	s_xor_b32 s5, exec_lo, s6
	s_cbranch_execz .LBB94_47
; %bb.46:                               ;   in Loop: Header=BB94_11 Depth=3
	global_load_b64 v[2:3], v[2:3], off
	s_wait_loadcnt 0x0
	ds_store_b64 v67, v[2:3] offset:128
.LBB94_47:                              ;   in Loop: Header=BB94_11 Depth=3
	s_wait_xcnt 0x0
	s_and_not1_saveexec_b32 s5, s5
; %bb.48:                               ;   in Loop: Header=BB94_11 Depth=3
	ds_store_b64 v67, v[22:23] offset:128
; %bb.49:                               ;   in Loop: Header=BB94_11 Depth=3
	s_or_b32 exec_lo, exec_lo, s5
	v_cmp_le_i64_e64 s5, s[50:51], v[0:1]
	v_add_nc_u64_e32 v[0:1], v[46:47], v[52:53]
	v_mov_b64_e32 v[2:3], 0
	s_nor_b32 s7, s5, s1
	s_delay_alu instid0(SALU_CYCLE_1)
	s_and_saveexec_b32 s6, s7
	s_cbranch_execz .LBB94_51
; %bb.50:                               ;   in Loop: Header=BB94_11 Depth=3
	global_load_b64 v[2:3], v[0:1], off
.LBB94_51:                              ;   in Loop: Header=BB94_11 Depth=3
	s_wait_xcnt 0x0
	s_or_b32 exec_lo, exec_lo, s6
	s_nor_b32 s5, s5, s2
	s_wait_loadcnt 0x0
	ds_store_b64 v67, v[2:3] offset:4096
	s_and_saveexec_b32 s6, s5
	s_delay_alu instid0(SALU_CYCLE_1)
	s_xor_b32 s5, exec_lo, s6
	s_cbranch_execz .LBB94_53
; %bb.52:                               ;   in Loop: Header=BB94_11 Depth=3
	global_load_b64 v[0:1], v[0:1], off offset:128
	s_wait_loadcnt 0x0
	ds_store_b64 v67, v[0:1] offset:4224
.LBB94_53:                              ;   in Loop: Header=BB94_11 Depth=3
	s_wait_xcnt 0x0
	s_and_not1_saveexec_b32 s5, s5
	s_cbranch_execz .LBB94_10
; %bb.54:                               ;   in Loop: Header=BB94_11 Depth=3
	ds_store_b64 v67, v[22:23] offset:4224
	s_branch .LBB94_10
.LBB94_55:                              ;   in Loop: Header=BB94_8 Depth=2
	v_dual_mov_b32 v66, 0 :: v_dual_mov_b32 v68, 0
	v_dual_mov_b32 v62, 0 :: v_dual_mov_b32 v64, 0
	;; [unrolled: 1-line block ×4, first 2 shown]
.LBB94_56:                              ;   in Loop: Header=BB94_8 Depth=2
	v_mul_u64_e32 v[0:1], s[28:29], v[36:37]
	v_cmp_gt_i32_e32 vcc_lo, s10, v36
	s_and_b32 s5, s0, vcc_lo
	s_delay_alu instid0(VALU_DEP_2)
	v_lshl_add_u64 v[0:1], v[0:1], 3, s[56:57]
	s_and_saveexec_b32 s4, s5
	s_cbranch_execz .LBB94_58
; %bb.57:                               ;   in Loop: Header=BB94_8 Depth=2
	s_delay_alu instid0(VALU_DEP_1) | instskip(SKIP_4) | instid1(VALU_DEP_2)
	v_lshl_add_u64 v[2:3], v[16:17], 3, v[0:1]
	v_pk_mul_f32 v[6:7], v[68:69], v[30:31] op_sel_hi:[0,1]
	global_load_b64 v[4:5], v[2:3], off
	v_pk_fma_f32 v[8:9], v[66:67], v[26:27], v[6:7] op_sel_hi:[0,1,1]
	v_pk_fma_f32 v[6:7], v[66:67], v[26:27], v[6:7] neg_lo:[0,0,1] neg_hi:[0,0,1]
	v_mov_b32_e32 v7, v9
	s_wait_loadcnt 0x0
	s_delay_alu instid0(VALU_DEP_1)
	v_pk_add_f32 v[4:5], v[4:5], v[6:7]
	global_store_b64 v[2:3], v[4:5], off
.LBB94_58:                              ;   in Loop: Header=BB94_8 Depth=2
	s_wait_xcnt 0x0
	s_or_b32 exec_lo, exec_lo, s4
	s_and_b32 s5, s3, vcc_lo
	s_delay_alu instid0(SALU_CYCLE_1)
	s_and_saveexec_b32 s4, s5
	s_cbranch_execz .LBB94_60
; %bb.59:                               ;   in Loop: Header=BB94_8 Depth=2
	v_lshl_add_u64 v[0:1], v[18:19], 3, v[0:1]
	v_pk_mul_f32 v[4:5], v[64:65], v[30:31] op_sel_hi:[0,1]
	global_load_b64 v[2:3], v[0:1], off
	v_pk_fma_f32 v[6:7], v[62:63], v[26:27], v[4:5] op_sel_hi:[0,1,1]
	v_pk_fma_f32 v[4:5], v[62:63], v[26:27], v[4:5] neg_lo:[0,0,1] neg_hi:[0,0,1]
	s_delay_alu instid0(VALU_DEP_2) | instskip(SKIP_1) | instid1(VALU_DEP_1)
	v_mov_b32_e32 v5, v7
	s_wait_loadcnt 0x0
	v_pk_add_f32 v[2:3], v[2:3], v[4:5]
	global_store_b64 v[0:1], v[2:3], off
.LBB94_60:                              ;   in Loop: Header=BB94_8 Depth=2
	s_wait_xcnt 0x0
	s_or_b32 exec_lo, exec_lo, s4
	v_add_nc_u32_e32 v0, 16, v36
	s_delay_alu instid0(VALU_DEP_1) | instskip(SKIP_1) | instid1(VALU_DEP_2)
	v_ashrrev_i32_e32 v1, 31, v0
	v_cmp_gt_i32_e32 vcc_lo, s10, v0
	v_mul_u64_e32 v[2:3], s[28:29], v[0:1]
	s_and_b32 s5, s0, vcc_lo
	s_delay_alu instid0(VALU_DEP_1)
	v_lshl_add_u64 v[0:1], v[2:3], 3, s[56:57]
	s_and_saveexec_b32 s4, s5
	s_cbranch_execz .LBB94_62
; %bb.61:                               ;   in Loop: Header=BB94_8 Depth=2
	s_delay_alu instid0(VALU_DEP_1) | instskip(SKIP_4) | instid1(VALU_DEP_2)
	v_lshl_add_u64 v[2:3], v[16:17], 3, v[0:1]
	v_pk_mul_f32 v[6:7], v[60:61], v[30:31] op_sel_hi:[0,1]
	global_load_b64 v[4:5], v[2:3], off
	v_pk_fma_f32 v[8:9], v[58:59], v[26:27], v[6:7] op_sel_hi:[0,1,1]
	v_pk_fma_f32 v[6:7], v[58:59], v[26:27], v[6:7] neg_lo:[0,0,1] neg_hi:[0,0,1]
	v_mov_b32_e32 v7, v9
	s_wait_loadcnt 0x0
	s_delay_alu instid0(VALU_DEP_1)
	v_pk_add_f32 v[4:5], v[4:5], v[6:7]
	global_store_b64 v[2:3], v[4:5], off
.LBB94_62:                              ;   in Loop: Header=BB94_8 Depth=2
	s_wait_xcnt 0x0
	s_or_b32 exec_lo, exec_lo, s4
	s_and_b32 s5, s3, vcc_lo
	s_delay_alu instid0(SALU_CYCLE_1)
	s_and_saveexec_b32 s4, s5
	s_cbranch_execz .LBB94_7
; %bb.63:                               ;   in Loop: Header=BB94_8 Depth=2
	v_lshl_add_u64 v[0:1], v[18:19], 3, v[0:1]
	v_pk_mul_f32 v[4:5], v[12:13], v[30:31] op_sel_hi:[0,1]
	global_load_b64 v[2:3], v[0:1], off
	v_pk_fma_f32 v[6:7], v[14:15], v[26:27], v[4:5] op_sel_hi:[0,1,1]
	v_pk_fma_f32 v[4:5], v[14:15], v[26:27], v[4:5] neg_lo:[0,0,1] neg_hi:[0,0,1]
	s_delay_alu instid0(VALU_DEP_2) | instskip(SKIP_1) | instid1(VALU_DEP_1)
	v_mov_b32_e32 v5, v7
	s_wait_loadcnt 0x0
	v_pk_add_f32 v[2:3], v[2:3], v[4:5]
	global_store_b64 v[0:1], v[2:3], off
	s_branch .LBB94_7
.LBB94_64:
	s_sendmsg sendmsg(MSG_DEALLOC_VGPRS)
	s_endpgm
	.section	.rodata,"a",@progbits
	.p2align	6, 0x0
	.amdhsa_kernel _ZL30rocblas_trmm_outofplace_kernelI19rocblas_complex_numIfELi32ELi2ELb0ELb1ELb1ELb1EPKS1_S2_S1_Ev17rocblas_diagonal_iiT6_lPT7_lllS7_lllPT8_llli
		.amdhsa_group_segment_fixed_size 16384
		.amdhsa_private_segment_fixed_size 0
		.amdhsa_kernarg_size 392
		.amdhsa_user_sgpr_count 2
		.amdhsa_user_sgpr_dispatch_ptr 0
		.amdhsa_user_sgpr_queue_ptr 0
		.amdhsa_user_sgpr_kernarg_segment_ptr 1
		.amdhsa_user_sgpr_dispatch_id 0
		.amdhsa_user_sgpr_kernarg_preload_length 0
		.amdhsa_user_sgpr_kernarg_preload_offset 0
		.amdhsa_user_sgpr_private_segment_size 0
		.amdhsa_wavefront_size32 1
		.amdhsa_uses_dynamic_stack 0
		.amdhsa_enable_private_segment 0
		.amdhsa_system_sgpr_workgroup_id_x 1
		.amdhsa_system_sgpr_workgroup_id_y 1
		.amdhsa_system_sgpr_workgroup_id_z 1
		.amdhsa_system_sgpr_workgroup_info 0
		.amdhsa_system_vgpr_workitem_id 1
		.amdhsa_next_free_vgpr 88
		.amdhsa_next_free_sgpr 70
		.amdhsa_named_barrier_count 0
		.amdhsa_reserve_vcc 1
		.amdhsa_float_round_mode_32 0
		.amdhsa_float_round_mode_16_64 0
		.amdhsa_float_denorm_mode_32 3
		.amdhsa_float_denorm_mode_16_64 3
		.amdhsa_fp16_overflow 0
		.amdhsa_memory_ordered 1
		.amdhsa_forward_progress 1
		.amdhsa_inst_pref_size 61
		.amdhsa_round_robin_scheduling 0
		.amdhsa_exception_fp_ieee_invalid_op 0
		.amdhsa_exception_fp_denorm_src 0
		.amdhsa_exception_fp_ieee_div_zero 0
		.amdhsa_exception_fp_ieee_overflow 0
		.amdhsa_exception_fp_ieee_underflow 0
		.amdhsa_exception_fp_ieee_inexact 0
		.amdhsa_exception_int_div_zero 0
	.end_amdhsa_kernel
	.section	.text._ZL30rocblas_trmm_outofplace_kernelI19rocblas_complex_numIfELi32ELi2ELb0ELb1ELb1ELb1EPKS1_S2_S1_Ev17rocblas_diagonal_iiT6_lPT7_lllS7_lllPT8_llli,"axG",@progbits,_ZL30rocblas_trmm_outofplace_kernelI19rocblas_complex_numIfELi32ELi2ELb0ELb1ELb1ELb1EPKS1_S2_S1_Ev17rocblas_diagonal_iiT6_lPT7_lllS7_lllPT8_llli,comdat
.Lfunc_end94:
	.size	_ZL30rocblas_trmm_outofplace_kernelI19rocblas_complex_numIfELi32ELi2ELb0ELb1ELb1ELb1EPKS1_S2_S1_Ev17rocblas_diagonal_iiT6_lPT7_lllS7_lllPT8_llli, .Lfunc_end94-_ZL30rocblas_trmm_outofplace_kernelI19rocblas_complex_numIfELi32ELi2ELb0ELb1ELb1ELb1EPKS1_S2_S1_Ev17rocblas_diagonal_iiT6_lPT7_lllS7_lllPT8_llli
                                        ; -- End function
	.set _ZL30rocblas_trmm_outofplace_kernelI19rocblas_complex_numIfELi32ELi2ELb0ELb1ELb1ELb1EPKS1_S2_S1_Ev17rocblas_diagonal_iiT6_lPT7_lllS7_lllPT8_llli.num_vgpr, 88
	.set _ZL30rocblas_trmm_outofplace_kernelI19rocblas_complex_numIfELi32ELi2ELb0ELb1ELb1ELb1EPKS1_S2_S1_Ev17rocblas_diagonal_iiT6_lPT7_lllS7_lllPT8_llli.num_agpr, 0
	.set _ZL30rocblas_trmm_outofplace_kernelI19rocblas_complex_numIfELi32ELi2ELb0ELb1ELb1ELb1EPKS1_S2_S1_Ev17rocblas_diagonal_iiT6_lPT7_lllS7_lllPT8_llli.numbered_sgpr, 70
	.set _ZL30rocblas_trmm_outofplace_kernelI19rocblas_complex_numIfELi32ELi2ELb0ELb1ELb1ELb1EPKS1_S2_S1_Ev17rocblas_diagonal_iiT6_lPT7_lllS7_lllPT8_llli.num_named_barrier, 0
	.set _ZL30rocblas_trmm_outofplace_kernelI19rocblas_complex_numIfELi32ELi2ELb0ELb1ELb1ELb1EPKS1_S2_S1_Ev17rocblas_diagonal_iiT6_lPT7_lllS7_lllPT8_llli.private_seg_size, 0
	.set _ZL30rocblas_trmm_outofplace_kernelI19rocblas_complex_numIfELi32ELi2ELb0ELb1ELb1ELb1EPKS1_S2_S1_Ev17rocblas_diagonal_iiT6_lPT7_lllS7_lllPT8_llli.uses_vcc, 1
	.set _ZL30rocblas_trmm_outofplace_kernelI19rocblas_complex_numIfELi32ELi2ELb0ELb1ELb1ELb1EPKS1_S2_S1_Ev17rocblas_diagonal_iiT6_lPT7_lllS7_lllPT8_llli.uses_flat_scratch, 0
	.set _ZL30rocblas_trmm_outofplace_kernelI19rocblas_complex_numIfELi32ELi2ELb0ELb1ELb1ELb1EPKS1_S2_S1_Ev17rocblas_diagonal_iiT6_lPT7_lllS7_lllPT8_llli.has_dyn_sized_stack, 0
	.set _ZL30rocblas_trmm_outofplace_kernelI19rocblas_complex_numIfELi32ELi2ELb0ELb1ELb1ELb1EPKS1_S2_S1_Ev17rocblas_diagonal_iiT6_lPT7_lllS7_lllPT8_llli.has_recursion, 0
	.set _ZL30rocblas_trmm_outofplace_kernelI19rocblas_complex_numIfELi32ELi2ELb0ELb1ELb1ELb1EPKS1_S2_S1_Ev17rocblas_diagonal_iiT6_lPT7_lllS7_lllPT8_llli.has_indirect_call, 0
	.section	.AMDGPU.csdata,"",@progbits
; Kernel info:
; codeLenInByte = 7752
; TotalNumSgprs: 72
; NumVgprs: 88
; ScratchSize: 0
; MemoryBound: 0
; FloatMode: 240
; IeeeMode: 1
; LDSByteSize: 16384 bytes/workgroup (compile time only)
; SGPRBlocks: 0
; VGPRBlocks: 5
; NumSGPRsForWavesPerEU: 72
; NumVGPRsForWavesPerEU: 88
; NamedBarCnt: 0
; Occupancy: 10
; WaveLimiterHint : 0
; COMPUTE_PGM_RSRC2:SCRATCH_EN: 0
; COMPUTE_PGM_RSRC2:USER_SGPR: 2
; COMPUTE_PGM_RSRC2:TRAP_HANDLER: 0
; COMPUTE_PGM_RSRC2:TGID_X_EN: 1
; COMPUTE_PGM_RSRC2:TGID_Y_EN: 1
; COMPUTE_PGM_RSRC2:TGID_Z_EN: 1
; COMPUTE_PGM_RSRC2:TIDIG_COMP_CNT: 1
	.section	.text._ZL30rocblas_trmm_outofplace_kernelI19rocblas_complex_numIfELi32ELi2ELb0ELb1ELb1ELb1ES1_KS1_S1_Ev17rocblas_diagonal_iiT6_lPT7_lllS6_lllPT8_llli,"axG",@progbits,_ZL30rocblas_trmm_outofplace_kernelI19rocblas_complex_numIfELi32ELi2ELb0ELb1ELb1ELb1ES1_KS1_S1_Ev17rocblas_diagonal_iiT6_lPT7_lllS6_lllPT8_llli,comdat
	.globl	_ZL30rocblas_trmm_outofplace_kernelI19rocblas_complex_numIfELi32ELi2ELb0ELb1ELb1ELb1ES1_KS1_S1_Ev17rocblas_diagonal_iiT6_lPT7_lllS6_lllPT8_llli ; -- Begin function _ZL30rocblas_trmm_outofplace_kernelI19rocblas_complex_numIfELi32ELi2ELb0ELb1ELb1ELb1ES1_KS1_S1_Ev17rocblas_diagonal_iiT6_lPT7_lllS6_lllPT8_llli
	.p2align	8
	.type	_ZL30rocblas_trmm_outofplace_kernelI19rocblas_complex_numIfELi32ELi2ELb0ELb1ELb1ELb1ES1_KS1_S1_Ev17rocblas_diagonal_iiT6_lPT7_lllS6_lllPT8_llli,@function
_ZL30rocblas_trmm_outofplace_kernelI19rocblas_complex_numIfELi32ELi2ELb0ELb1ELb1ELb1ES1_KS1_S1_Ev17rocblas_diagonal_iiT6_lPT7_lllS6_lllPT8_llli: ; @_ZL30rocblas_trmm_outofplace_kernelI19rocblas_complex_numIfELi32ELi2ELb0ELb1ELb1ELb1ES1_KS1_S1_Ev17rocblas_diagonal_iiT6_lPT7_lllS6_lllPT8_llli
; %bb.0:
	s_load_b32 s33, s[0:1], 0x80
	s_bfe_u32 s2, ttmp6, 0x40014
	s_lshr_b32 s3, ttmp7, 16
	s_add_co_i32 s2, s2, 1
	s_bfe_u32 s5, ttmp6, 0x40008
	s_mul_i32 s4, s3, s2
	s_getreg_b32 s2, hwreg(HW_REG_IB_STS2, 6, 4)
	s_add_co_i32 s5, s5, s4
	s_cmp_eq_u32 s2, 0
	s_cselect_b32 s34, s3, s5
	s_wait_kmcnt 0x0
	s_cmp_ge_u32 s34, s33
	s_cbranch_scc1 .LBB95_63
; %bb.1:
	s_load_b64 s[40:41], s[0:1], 0xc
	s_wait_kmcnt 0x0
	s_or_b32 s3, s40, s41
	s_delay_alu instid0(SALU_CYCLE_1) | instskip(NEXT) | instid1(SALU_CYCLE_1)
	s_bitset0_b32 s3, 31
	s_cmp_eq_u32 s3, 0
	s_cbranch_scc1 .LBB95_63
; %bb.2:
	s_clause 0x1
	s_load_b96 s[36:38], s[0:1], 0x0
	s_load_b512 s[8:23], s[0:1], 0x20
	s_bfe_u32 s4, ttmp6, 0x4000c
	s_and_b32 s3, ttmp6, 15
	s_add_co_i32 s4, s4, 1
	s_bfe_u32 s6, ttmp6, 0x40010
	s_add_nc_u64 s[42:43], s[0:1], 0x88
	s_load_b256 s[24:31], s[0:1], 0x60
	s_wait_xcnt 0x0
	s_mul_i32 s0, ttmp9, s4
	s_and_b32 s5, ttmp7, 0xffff
	s_add_co_i32 s6, s6, 1
	s_add_co_i32 s3, s3, s0
	s_bfe_u32 s7, ttmp6, 0x40004
	s_mul_i32 s1, s5, s6
	v_and_b32_e32 v2, 0x3ff, v0
	s_add_co_i32 s7, s7, s1
	v_bfe_u32 v59, v0, 10, 10
	v_mov_b64_e32 v[26:27], 0
	v_mov_b64_e32 v[28:29], 0x3f800000
	v_lshlrev_b32_e32 v0, 3, v2
	s_wait_kmcnt 0x0
	s_add_co_i32 s0, s38, -1
	v_lshlrev_b32_e32 v61, 8, v59
	s_ashr_i32 s4, s0, 31
	s_mov_b32 s44, s38
	s_lshr_b32 s1, s4, 27
	v_or_b32_e32 v63, 0x2000, v0
	s_add_co_i32 s0, s0, s1
	v_add_nc_u32_e32 v65, v61, v0
	s_ashr_i32 s39, s0, 5
	s_cmp_eq_u32 s2, 0
	v_add_nc_u32_e32 v67, v63, v61
	s_cselect_b32 s0, ttmp9, s3
	s_cselect_b32 s60, s5, s7
	v_lshl_add_u32 v20, s0, 5, v2
	s_cmp_le_i32 s60, s39
	s_mov_b32 s0, s37
	s_cselect_b32 s61, -1, 0
	s_cmp_eq_u32 s36, 0x84
	v_dual_ashrrev_i32 v21, 31, v20 :: v_dual_add_nc_u32 v22, 16, v20
	s_cselect_b32 s62, -1, 0
	s_ashr_i32 s1, s37, 31
	s_lshl_b64 s[2:3], s[26:27], 3
	s_delay_alu instid0(VALU_DEP_1)
	v_sub_nc_u64_e32 v[0:1], s[0:1], v[20:21]
	s_add_nc_u64 s[24:25], s[24:25], s[2:3]
	s_lshl_b32 s6, s60, 5
	v_cmp_gt_i32_e64 s0, s37, v20
	v_cmp_gt_i32_e64 s3, s37, v22
	v_dual_ashrrev_i32 v23, 31, v22 :: v_dual_add_nc_u32 v70, s6, v59
	s_delay_alu instid0(VALU_DEP_4)
	v_cmp_gt_i64_e64 s1, 1, v[0:1]
	v_cmp_gt_i64_e64 s2, 17, v[0:1]
	v_lshlrev_b64_e32 v[0:1], 3, v[20:21]
	v_add_nc_u32_e32 v69, s6, v2
	v_add_nc_u32_e32 v71, 0x800, v63
	v_add_nc_u32_e32 v72, 0x1000, v63
	v_add_nc_u32_e32 v73, 0x1800, v63
	s_ashr_i32 s45, s38, 31
	s_lshl_b64 s[4:5], s[10:11], 3
	v_lshl_add_u64 v[24:25], s[18:19], 3, v[0:1]
	s_mov_b32 s35, 0
	s_lshl_b64 s[46:47], s[12:13], 8
	s_lshl_b64 s[48:49], s[20:21], 8
	s_add_nc_u64 s[26:27], s[44:45], -16
	s_mov_b32 s36, s41
	s_mov_b32 s37, s40
	s_add_nc_u64 s[10:11], s[8:9], s[4:5]
	s_lshl_b64 s[14:15], s[14:15], 3
	s_lshl_b64 s[50:51], s[12:13], 3
	s_add_nc_u64 s[18:19], s[16:17], 0x80
	s_lshl_b64 s[52:53], s[20:21], 3
	s_lshl_b64 s[22:23], s[22:23], 3
	s_branch .LBB95_4
.LBB95_3:                               ;   in Loop: Header=BB95_4 Depth=1
	s_add_co_i32 s34, s34, 0x10000
	s_delay_alu instid0(SALU_CYCLE_1)
	s_cmp_ge_u32 s34, s33
	s_cbranch_scc1 .LBB95_63
.LBB95_4:                               ; =>This Loop Header: Depth=1
                                        ;     Child Loop BB95_7 Depth 2
                                        ;       Child Loop BB95_10 Depth 3
	s_and_not1_b32 vcc_lo, exec_lo, s61
	s_cbranch_vccnz .LBB95_3
; %bb.5:                                ;   in Loop: Header=BB95_4 Depth=1
	s_load_b32 s63, s[42:43], 0x4
	v_mad_nc_u64_u32 v[30:31], s22, s34, v[24:25]
	s_mul_u64 s[6:7], s[30:31], s[34:35]
	v_dual_mov_b32 v32, v70 :: v_dual_mov_b32 v34, v69
	s_mul_u64 s[4:5], s[14:15], s[34:35]
	s_lshl_b64 s[6:7], s[6:7], 3
	s_add_nc_u64 s[54:55], s[10:11], s[4:5]
	s_add_nc_u64 s[56:57], s[24:25], s[6:7]
	s_mov_b32 s65, s60
	s_delay_alu instid0(VALU_DEP_2)
	v_mad_u32 v31, s23, s34, v31
	s_wait_kmcnt 0x0
	s_lshl_b32 s64, s63, 5
	s_branch .LBB95_7
.LBB95_6:                               ;   in Loop: Header=BB95_7 Depth=2
	s_wait_xcnt 0x0
	s_or_b32 exec_lo, exec_lo, s4
	v_dual_add_nc_u32 v34, s64, v34 :: v_dual_add_nc_u32 v32, s64, v32
	s_add_co_i32 s65, s63, s65
	s_delay_alu instid0(SALU_CYCLE_1)
	s_cmp_gt_i32 s65, s39
	s_cbranch_scc1 .LBB95_3
.LBB95_7:                               ;   Parent Loop BB95_4 Depth=1
                                        ; =>  This Loop Header: Depth=2
                                        ;       Child Loop BB95_10 Depth 3
	s_lshl_b32 s4, s65, 5
	s_delay_alu instid0(SALU_CYCLE_1) | instskip(SKIP_2) | instid1(SALU_CYCLE_1)
	v_dual_ashrrev_i32 v33, 31, v32 :: v_dual_add_nc_u32 v36, s4, v59
	v_ashrrev_i32_e32 v35, 31, v34
	s_sub_co_i32 s66, s38, s4
	s_cmp_lt_i32 s66, 1
	s_delay_alu instid0(VALU_DEP_2)
	v_ashrrev_i32_e32 v37, 31, v36
	s_cbranch_scc1 .LBB95_54
; %bb.8:                                ;   in Loop: Header=BB95_7 Depth=2
	v_lshlrev_b64_e32 v[38:39], 3, v[32:33]
	v_lshl_add_u64 v[2:3], v[34:35], 3, 0x80
	v_mad_nc_u64_u32 v[40:41], s50, v34, s[54:55]
	v_mad_nc_u64_u32 v[42:43], s52, v32, s[18:19]
	v_sub_nc_u64_e32 v[48:49], v[32:33], v[34:35]
	v_add_nc_u64_e32 v[50:51], 16, v[36:37]
	v_mad_nc_u64_u32 v[44:45], s12, v2, s[54:55]
	v_add_nc_u64_e32 v[0:1], 0x80, v[38:39]
	v_mov_b64_e32 v[52:53], v[30:31]
	v_dual_mov_b32 v16, 0 :: v_dual_mov_b32 v18, 0
	v_add_nc_u64_e32 v[54:55], 16, v[48:49]
	v_cmp_le_i64_e64 s4, s[44:45], v[50:51]
	v_mad_u32 v4, s51, v34, v41
	v_mad_nc_u64_u32 v[46:47], s20, v0, s[16:17]
	v_mad_u32 v5, s53, v32, v43
	v_add_nc_u64_e32 v[56:57], -16, v[48:49]
	v_mad_u32 v2, s13, v2, v45
	v_dual_mov_b32 v60, 0 :: v_dual_mov_b32 v58, 0
	v_dual_mov_b32 v64, 0 :: v_dual_mov_b32 v62, 0
	;; [unrolled: 1-line block ×3, first 2 shown]
	v_mad_u32 v41, s50, v35, v4
	v_mad_u32 v0, s21, v0, v47
	;; [unrolled: 1-line block ×3, first 2 shown]
	s_mov_b64 s[58:59], 0
	v_mad_u32 v45, s12, v3, v2
	v_cmp_le_i32_e32 vcc_lo, s38, v36
	s_delay_alu instid0(VALU_DEP_4)
	v_mad_u32 v47, s20, v1, v0
	s_branch .LBB95_10
.LBB95_9:                               ;   in Loop: Header=BB95_10 Depth=3
	s_or_b32 exec_lo, exec_lo, s5
	s_wait_dscnt 0x0
	s_barrier_signal -1
	s_barrier_wait -1
	ds_load_b128 v[74:77], v61
	ds_load_2addr_b64 v[78:81], v63 offset1:16
	ds_load_b128 v[82:85], v61 offset:4096
	ds_load_b128 v[8:11], v61 offset:16
	;; [unrolled: 1-line block ×4, first 2 shown]
	ds_load_2addr_b64 v[86:89], v63 offset0:32 offset1:48
	ds_load_b128 v[12:15], v61 offset:4112
	v_add_nc_u64_e32 v[44:45], s[46:47], v[44:45]
	v_add_nc_u64_e32 v[40:41], s[46:47], v[40:41]
	;; [unrolled: 1-line block ×3, first 2 shown]
	s_add_nc_u64 s[58:59], s[58:59], 32
	s_delay_alu instid0(SALU_CYCLE_1)
	s_cmp_ge_i32 s58, s66
	s_wait_dscnt 0x6
	v_dual_mul_f32 v17, v75, v79 :: v_dual_mul_f32 v19, v74, v79
	v_dual_mul_f32 v90, v75, v81 :: v_dual_mul_f32 v91, v74, v81
	s_wait_dscnt 0x5
	v_dual_mul_f32 v92, v83, v79 :: v_dual_mul_f32 v79, v82, v79
	v_dual_mul_f32 v93, v83, v81 :: v_dual_mul_f32 v94, v82, v81
	v_dual_fma_f32 v17, v74, v78, -v17 :: v_dual_fmac_f32 v19, v75, v78
	v_dual_fma_f32 v74, v74, v80, -v90 :: v_dual_fmac_f32 v91, v75, v80
	s_delay_alu instid0(VALU_DEP_4) | instskip(NEXT) | instid1(VALU_DEP_3)
	v_dual_fma_f32 v75, v82, v78, -v92 :: v_dual_fmac_f32 v79, v83, v78
	v_dual_fma_f32 v78, v82, v80, -v93 :: v_dual_add_f32 v19, v68, v19
	s_delay_alu instid0(VALU_DEP_3) | instskip(NEXT) | instid1(VALU_DEP_3)
	v_dual_add_f32 v17, v66, v17 :: v_dual_add_f32 v64, v64, v91
	v_dual_add_f32 v62, v62, v74 :: v_dual_add_f32 v60, v60, v79
	s_delay_alu instid0(VALU_DEP_4)
	v_dual_add_f32 v58, v58, v75 :: v_dual_fmac_f32 v94, v83, v80
	s_wait_dscnt 0x1
	v_dual_mul_f32 v66, v77, v87 :: v_dual_add_f32 v18, v18, v78
	ds_load_2addr_b64 v[78:81], v63 offset0:64 offset1:80
	v_dual_mul_f32 v68, v76, v87 :: v_dual_mul_f32 v74, v77, v89
	v_add_f32_e32 v75, v16, v94
	v_dual_fma_f32 v66, v76, v86, -v66 :: v_dual_mul_f32 v16, v76, v89
	s_delay_alu instid0(VALU_DEP_3) | instskip(NEXT) | instid1(VALU_DEP_2)
	v_fmac_f32_e32 v68, v77, v86
	v_dual_add_f32 v66, v17, v66 :: v_dual_fma_f32 v17, v76, v88, -v74
	s_delay_alu instid0(VALU_DEP_2) | instskip(NEXT) | instid1(VALU_DEP_4)
	v_dual_mul_f32 v74, v85, v87 :: v_dual_add_f32 v68, v19, v68
	v_dual_fmac_f32 v16, v77, v88 :: v_dual_mul_f32 v19, v84, v87
	s_delay_alu instid0(VALU_DEP_2) | instskip(NEXT) | instid1(VALU_DEP_2)
	v_dual_add_f32 v62, v62, v17 :: v_dual_fma_f32 v17, v84, v86, -v74
	v_dual_mul_f32 v74, v85, v89 :: v_dual_add_f32 v64, v64, v16
	s_delay_alu instid0(VALU_DEP_3) | instskip(NEXT) | instid1(VALU_DEP_2)
	v_dual_fmac_f32 v19, v85, v86 :: v_dual_mul_f32 v76, v84, v89
	v_dual_add_f32 v58, v58, v17 :: v_dual_fma_f32 v16, v84, v88, -v74
	s_wait_dscnt 0x0
	v_dual_mul_f32 v17, v9, v79 :: v_dual_mul_f32 v74, v8, v79
	s_delay_alu instid0(VALU_DEP_3) | instskip(NEXT) | instid1(VALU_DEP_2)
	v_dual_add_f32 v60, v60, v19 :: v_dual_fmac_f32 v76, v85, v88
	v_dual_add_f32 v77, v18, v16 :: v_dual_fma_f32 v82, v8, v78, -v17
	s_delay_alu instid0(VALU_DEP_3) | instskip(SKIP_4) | instid1(VALU_DEP_2)
	v_dual_mul_f32 v83, v9, v81 :: v_dual_fmac_f32 v74, v9, v78
	ds_load_2addr_b64 v[16:19], v63 offset0:96 offset1:112
	v_dual_add_f32 v84, v75, v76 :: v_dual_add_f32 v66, v66, v82
	v_dual_mul_f32 v75, v8, v81 :: v_dual_fma_f32 v8, v8, v80, -v83
	v_dual_add_f32 v68, v68, v74 :: v_dual_mul_f32 v74, v13, v79
	v_dual_mul_f32 v76, v12, v79 :: v_dual_fmac_f32 v75, v9, v80
	s_delay_alu instid0(VALU_DEP_3) | instskip(NEXT) | instid1(VALU_DEP_2)
	v_dual_add_f32 v8, v62, v8 :: v_dual_mul_f32 v9, v13, v81
	v_dual_fma_f32 v62, v12, v78, -v74 :: v_dual_fmac_f32 v76, v13, v78
	v_mul_f32_e32 v78, v12, v81
	s_delay_alu instid0(VALU_DEP_4) | instskip(NEXT) | instid1(VALU_DEP_3)
	v_add_f32_e32 v64, v64, v75
	v_dual_fma_f32 v9, v12, v80, -v9 :: v_dual_add_f32 v12, v58, v62
	s_delay_alu instid0(VALU_DEP_4)
	v_add_f32_e32 v58, v60, v76
	s_wait_dscnt 0x0
	v_dual_fmac_f32 v78, v13, v80 :: v_dual_mul_f32 v60, v10, v17
	v_mul_f32_e32 v13, v11, v17
	v_dual_add_f32 v9, v77, v9 :: v_dual_mul_f32 v62, v11, v19
	ds_load_2addr_b64 v[74:77], v63 offset0:128 offset1:144
	v_dual_add_f32 v82, v84, v78 :: v_dual_fma_f32 v13, v10, v16, -v13
	v_dual_mul_f32 v78, v10, v19 :: v_dual_fmac_f32 v60, v11, v16
	v_fma_f32 v10, v10, v18, -v62
	s_delay_alu instid0(VALU_DEP_2) | instskip(NEXT) | instid1(VALU_DEP_3)
	v_dual_add_f32 v62, v66, v13 :: v_dual_fmac_f32 v78, v11, v18
	v_dual_mul_f32 v13, v15, v17 :: v_dual_add_f32 v11, v68, v60
	s_delay_alu instid0(VALU_DEP_3) | instskip(NEXT) | instid1(VALU_DEP_2)
	v_dual_add_f32 v60, v8, v10 :: v_dual_mul_f32 v8, v14, v17
	v_dual_add_f32 v17, v64, v78 :: v_dual_fma_f32 v10, v14, v16, -v13
	v_mul_f32_e32 v13, v15, v19
	ds_load_b128 v[78:81], v61 offset:4128
	v_dual_fmac_f32 v8, v15, v16 :: v_dual_add_f32 v16, v12, v10
	v_dual_mul_f32 v10, v14, v19 :: v_dual_fma_f32 v12, v14, v18, -v13
	s_wait_dscnt 0x1
	s_delay_alu instid0(VALU_DEP_2) | instskip(NEXT) | instid1(VALU_DEP_2)
	v_dual_mul_f32 v13, v5, v75 :: v_dual_add_f32 v19, v58, v8
	v_dual_mul_f32 v8, v4, v75 :: v_dual_fmac_f32 v10, v15, v18
	s_delay_alu instid0(VALU_DEP_2) | instskip(SKIP_3) | instid1(VALU_DEP_2)
	v_dual_add_f32 v18, v9, v12 :: v_dual_fma_f32 v9, v4, v74, -v13
	ds_load_2addr_b64 v[12:15], v63 offset0:160 offset1:176
	v_dual_fmac_f32 v8, v5, v74 :: v_dual_mul_f32 v58, v5, v77
	v_dual_add_f32 v64, v82, v10 :: v_dual_mul_f32 v66, v4, v77
	v_dual_add_f32 v62, v62, v9 :: v_dual_add_f32 v68, v11, v8
	ds_load_b128 v[8:11], v61 offset:4144
	s_wait_dscnt 0x2
	v_dual_fma_f32 v4, v4, v76, -v58 :: v_dual_mul_f32 v58, v79, v75
	v_dual_fmac_f32 v66, v5, v76 :: v_dual_mul_f32 v5, v78, v75
	s_delay_alu instid0(VALU_DEP_2) | instskip(NEXT) | instid1(VALU_DEP_2)
	v_dual_add_f32 v4, v60, v4 :: v_dual_mul_f32 v60, v79, v77
	v_dual_fma_f32 v58, v78, v74, -v58 :: v_dual_fmac_f32 v5, v79, v74
	s_delay_alu instid0(VALU_DEP_3) | instskip(NEXT) | instid1(VALU_DEP_2)
	v_dual_add_f32 v17, v17, v66 :: v_dual_mul_f32 v66, v78, v77
	v_dual_fma_f32 v60, v78, v76, -v60 :: v_dual_add_f32 v16, v16, v58
	s_wait_dscnt 0x1
	v_mul_f32_e32 v58, v7, v13
	s_delay_alu instid0(VALU_DEP_3) | instskip(NEXT) | instid1(VALU_DEP_3)
	v_fmac_f32_e32 v66, v79, v76
	v_dual_add_f32 v60, v18, v60 :: v_dual_add_f32 v5, v19, v5
	s_delay_alu instid0(VALU_DEP_3) | instskip(SKIP_3) | instid1(VALU_DEP_2)
	v_dual_fma_f32 v19, v6, v12, -v58 :: v_dual_mul_f32 v18, v6, v13
	ds_load_2addr_b64 v[74:77], v63 offset0:192 offset1:208
	v_dual_mul_f32 v58, v7, v15 :: v_dual_add_f32 v64, v64, v66
	v_dual_add_f32 v62, v62, v19 :: v_dual_fmac_f32 v18, v7, v12
	v_dual_mul_f32 v19, v6, v15 :: v_dual_fma_f32 v6, v6, v14, -v58
	v_dual_mul_f32 v58, v81, v13 :: v_dual_mul_f32 v13, v80, v13
	s_delay_alu instid0(VALU_DEP_3) | instskip(NEXT) | instid1(VALU_DEP_3)
	v_add_f32_e32 v66, v68, v18
	v_fmac_f32_e32 v19, v7, v14
	s_delay_alu instid0(VALU_DEP_4) | instskip(NEXT) | instid1(VALU_DEP_4)
	v_dual_add_f32 v4, v4, v6 :: v_dual_mul_f32 v7, v81, v15
	v_dual_fma_f32 v6, v80, v12, -v58 :: v_dual_fmac_f32 v13, v81, v12
	s_delay_alu instid0(VALU_DEP_3) | instskip(NEXT) | instid1(VALU_DEP_3)
	v_add_f32_e32 v12, v17, v19
	v_dual_mul_f32 v15, v80, v15 :: v_dual_fma_f32 v7, v80, v14, -v7
	s_delay_alu instid0(VALU_DEP_3)
	v_add_f32_e32 v6, v16, v6
	ds_load_2addr_b64 v[16:19], v63 offset0:224 offset1:240
	v_add_f32_e32 v5, v5, v13
	s_wait_dscnt 0x1
	v_mul_f32_e32 v13, v1, v75
	v_dual_fmac_f32 v15, v81, v14 :: v_dual_mul_f32 v14, v0, v75
	v_dual_add_f32 v7, v60, v7 :: v_dual_mul_f32 v58, v1, v77
	s_delay_alu instid0(VALU_DEP_3) | instskip(NEXT) | instid1(VALU_DEP_3)
	v_dual_fma_f32 v13, v0, v74, -v13 :: v_dual_mul_f32 v60, v0, v77
	v_dual_fmac_f32 v14, v1, v74 :: v_dual_add_f32 v64, v64, v15
	s_delay_alu instid0(VALU_DEP_2) | instskip(NEXT) | instid1(VALU_DEP_2)
	v_dual_fma_f32 v0, v0, v76, -v58 :: v_dual_add_f32 v62, v62, v13
	v_dual_fmac_f32 v60, v1, v76 :: v_dual_add_f32 v58, v66, v14
	v_dual_mul_f32 v1, v9, v75 :: v_dual_mul_f32 v13, v8, v75
	s_delay_alu instid0(VALU_DEP_3) | instskip(NEXT) | instid1(VALU_DEP_3)
	v_dual_add_f32 v0, v4, v0 :: v_dual_mul_f32 v4, v9, v77
	v_add_f32_e32 v60, v12, v60
	s_delay_alu instid0(VALU_DEP_3) | instskip(NEXT) | instid1(VALU_DEP_3)
	v_dual_fma_f32 v1, v8, v74, -v1 :: v_dual_mul_f32 v66, v8, v77
	v_dual_fmac_f32 v13, v9, v74 :: v_dual_fma_f32 v4, v8, v76, -v4
	s_wait_dscnt 0x0
	v_mul_f32_e32 v8, v3, v17
	s_delay_alu instid0(VALU_DEP_3) | instskip(NEXT) | instid1(VALU_DEP_3)
	v_dual_add_f32 v1, v6, v1 :: v_dual_fmac_f32 v66, v9, v76
	v_dual_add_f32 v68, v5, v13 :: v_dual_add_f32 v9, v7, v4
	s_delay_alu instid0(VALU_DEP_3) | instskip(NEXT) | instid1(VALU_DEP_3)
	v_dual_fma_f32 v4, v2, v16, -v8 :: v_dual_mul_f32 v5, v2, v17
	v_dual_mul_f32 v6, v3, v19 :: v_dual_add_f32 v64, v64, v66
	ds_load_b128 v[12:15], v61 offset:64
	ds_load_2addr_b64 v[74:77], v71 offset1:16
	v_dual_mul_f32 v7, v2, v19 :: v_dual_fmac_f32 v5, v3, v16
	v_dual_add_f32 v62, v62, v4 :: v_dual_mul_f32 v4, v11, v17
	s_delay_alu instid0(VALU_DEP_2) | instskip(NEXT) | instid1(VALU_DEP_3)
	v_dual_fma_f32 v2, v2, v18, -v6 :: v_dual_fmac_f32 v7, v3, v18
	v_add_f32_e32 v58, v58, v5
	v_mul_f32_e32 v3, v10, v17
	ds_load_b128 v[78:81], v61 offset:4160
	v_dual_add_f32 v17, v0, v2 :: v_dual_fma_f32 v0, v10, v16, -v4
	v_dual_mul_f32 v2, v11, v19 :: v_dual_fmac_f32 v3, v11, v16
	v_add_f32_e32 v60, v60, v7
	ds_load_b128 v[4:7], v61 offset:80
	v_dual_add_f32 v16, v1, v0 :: v_dual_fma_f32 v0, v10, v18, -v2
	v_mul_f32_e32 v1, v10, v19
	v_add_f32_e32 v19, v68, v3
	s_wait_dscnt 0x2
	v_dual_mul_f32 v2, v13, v75 :: v_dual_mul_f32 v3, v12, v75
	s_delay_alu instid0(VALU_DEP_3) | instskip(NEXT) | instid1(VALU_DEP_2)
	v_dual_fmac_f32 v1, v11, v18 :: v_dual_add_f32 v18, v9, v0
	v_fma_f32 v0, v12, v74, -v2
	ds_load_2addr_b64 v[8:11], v71 offset0:32 offset1:48
	v_dual_fmac_f32 v3, v13, v74 :: v_dual_mul_f32 v2, v13, v77
	s_wait_dscnt 0x2
	v_dual_mul_f32 v66, v12, v77 :: v_dual_mul_f32 v68, v79, v75
	v_dual_add_f32 v64, v64, v1 :: v_dual_add_f32 v62, v62, v0
	s_delay_alu instid0(VALU_DEP_3) | instskip(NEXT) | instid1(VALU_DEP_3)
	v_dual_fma_f32 v12, v12, v76, -v2 :: v_dual_add_f32 v58, v58, v3
	v_dual_fmac_f32 v66, v13, v76 :: v_dual_mul_f32 v13, v78, v75
	s_delay_alu instid0(VALU_DEP_2) | instskip(NEXT) | instid1(VALU_DEP_2)
	v_dual_fma_f32 v68, v78, v74, -v68 :: v_dual_add_f32 v12, v17, v12
	v_dual_mul_f32 v17, v79, v77 :: v_dual_add_f32 v60, v60, v66
	s_delay_alu instid0(VALU_DEP_3) | instskip(NEXT) | instid1(VALU_DEP_3)
	v_dual_mul_f32 v66, v78, v77 :: v_dual_fmac_f32 v13, v79, v74
	v_add_f32_e32 v68, v16, v68
	s_delay_alu instid0(VALU_DEP_3)
	v_fma_f32 v17, v78, v76, -v17
	ds_load_b128 v[0:3], v61 offset:4176
	s_wait_dscnt 0x1
	v_mul_f32_e32 v16, v15, v9
	v_add_f32_e32 v13, v19, v13
	v_dual_fmac_f32 v66, v79, v76 :: v_dual_add_f32 v74, v18, v17
	s_delay_alu instid0(VALU_DEP_3) | instskip(SKIP_4) | instid1(VALU_DEP_3)
	v_dual_mul_f32 v75, v14, v9 :: v_dual_fma_f32 v76, v14, v8, -v16
	ds_load_2addr_b64 v[16:19], v71 offset0:64 offset1:80
	v_dual_mul_f32 v77, v15, v11 :: v_dual_add_f32 v64, v64, v66
	v_dual_fmac_f32 v75, v15, v8 :: v_dual_mul_f32 v66, v14, v11
	v_dual_add_f32 v62, v62, v76 :: v_dual_mul_f32 v76, v81, v9
	v_dual_fma_f32 v14, v14, v10, -v77 :: v_dual_mul_f32 v9, v80, v9
	s_delay_alu instid0(VALU_DEP_3) | instskip(NEXT) | instid1(VALU_DEP_2)
	v_dual_add_f32 v58, v58, v75 :: v_dual_fmac_f32 v66, v15, v10
	v_dual_add_f32 v75, v12, v14 :: v_dual_fmac_f32 v9, v81, v8
	s_delay_alu instid0(VALU_DEP_4) | instskip(NEXT) | instid1(VALU_DEP_3)
	v_dual_fma_f32 v12, v80, v8, -v76 :: v_dual_mul_f32 v8, v81, v11
	v_add_f32_e32 v60, v60, v66
	s_delay_alu instid0(VALU_DEP_3) | instskip(SKIP_1) | instid1(VALU_DEP_3)
	v_dual_mul_f32 v11, v80, v11 :: v_dual_add_f32 v9, v13, v9
	s_wait_dscnt 0x0
	v_dual_add_f32 v66, v68, v12 :: v_dual_mul_f32 v68, v5, v17
	v_fma_f32 v8, v80, v10, -v8
	ds_load_2addr_b64 v[12:15], v71 offset0:96 offset1:112
	v_dual_fmac_f32 v11, v81, v10 :: v_dual_mul_f32 v10, v4, v17
	v_fma_f32 v68, v4, v16, -v68
	v_dual_add_f32 v8, v74, v8 :: v_dual_mul_f32 v74, v5, v19
	s_delay_alu instid0(VALU_DEP_3) | instskip(NEXT) | instid1(VALU_DEP_2)
	v_dual_fmac_f32 v10, v5, v16 :: v_dual_mul_f32 v76, v4, v19
	v_dual_add_f32 v62, v62, v68 :: v_dual_fma_f32 v4, v4, v18, -v74
	s_delay_alu instid0(VALU_DEP_2) | instskip(NEXT) | instid1(VALU_DEP_3)
	v_dual_add_f32 v64, v64, v11 :: v_dual_add_f32 v58, v58, v10
	v_fmac_f32_e32 v76, v5, v18
	v_dual_mul_f32 v5, v1, v17 :: v_dual_mul_f32 v10, v0, v17
	s_delay_alu instid0(VALU_DEP_4) | instskip(NEXT) | instid1(VALU_DEP_3)
	v_dual_add_f32 v4, v75, v4 :: v_dual_mul_f32 v11, v1, v19
	v_add_f32_e32 v60, v60, v76
	s_delay_alu instid0(VALU_DEP_3) | instskip(NEXT) | instid1(VALU_DEP_3)
	v_dual_fma_f32 v5, v0, v16, -v5 :: v_dual_fmac_f32 v10, v1, v16
	v_dual_mul_f32 v68, v0, v19 :: v_dual_fma_f32 v0, v0, v18, -v11
	s_wait_dscnt 0x0
	v_mul_f32_e32 v11, v7, v13
	s_delay_alu instid0(VALU_DEP_3) | instskip(NEXT) | instid1(VALU_DEP_3)
	v_dual_add_f32 v5, v66, v5 :: v_dual_add_f32 v66, v9, v10
	v_dual_fmac_f32 v68, v1, v18 :: v_dual_add_f32 v0, v8, v0
	s_delay_alu instid0(VALU_DEP_3)
	v_dual_fma_f32 v1, v6, v12, -v11 :: v_dual_mul_f32 v74, v6, v13
	ds_load_b128 v[8:11], v61 offset:96
	ds_load_2addr_b64 v[16:19], v71 offset0:128 offset1:144
	v_dual_mul_f32 v75, v7, v15 :: v_dual_add_f32 v64, v64, v68
	v_dual_mul_f32 v68, v6, v15 :: v_dual_fmac_f32 v74, v7, v12
	v_add_f32_e32 v1, v62, v1
	s_delay_alu instid0(VALU_DEP_3) | instskip(NEXT) | instid1(VALU_DEP_3)
	v_dual_fma_f32 v6, v6, v14, -v75 :: v_dual_mul_f32 v62, v3, v13
	v_fmac_f32_e32 v68, v7, v14
	s_delay_alu instid0(VALU_DEP_4) | instskip(NEXT) | instid1(VALU_DEP_3)
	v_add_f32_e32 v58, v58, v74
	v_dual_mul_f32 v13, v2, v13 :: v_dual_add_f32 v78, v4, v6
	s_delay_alu instid0(VALU_DEP_4) | instskip(NEXT) | instid1(VALU_DEP_4)
	v_dual_fma_f32 v4, v2, v12, -v62 :: v_dual_mul_f32 v6, v3, v15
	v_add_f32_e32 v60, v60, v68
	s_delay_alu instid0(VALU_DEP_3)
	v_fmac_f32_e32 v13, v3, v12
	ds_load_b128 v[74:77], v61 offset:4192
	v_dual_add_f32 v62, v5, v4 :: v_dual_fma_f32 v12, v2, v14, -v6
	s_wait_dscnt 0x1
	v_dual_mul_f32 v2, v2, v15 :: v_dual_mul_f32 v15, v9, v17
	v_mul_f32_e32 v68, v8, v17
	s_delay_alu instid0(VALU_DEP_3) | instskip(NEXT) | instid1(VALU_DEP_3)
	v_dual_add_f32 v66, v66, v13 :: v_dual_add_f32 v79, v0, v12
	v_dual_fmac_f32 v2, v3, v14 :: v_dual_fma_f32 v0, v8, v16, -v15
	s_delay_alu instid0(VALU_DEP_3)
	v_fmac_f32_e32 v68, v9, v16
	ds_load_2addr_b64 v[12:15], v71 offset0:160 offset1:176
	v_mul_f32_e32 v3, v9, v19
	ds_load_b128 v[4:7], v61 offset:112
	v_dual_mul_f32 v81, v8, v19 :: v_dual_add_f32 v58, v58, v68
	v_dual_add_f32 v64, v64, v2 :: v_dual_add_f32 v80, v1, v0
	s_delay_alu instid0(VALU_DEP_2) | instskip(SKIP_2) | instid1(VALU_DEP_2)
	v_dual_fma_f32 v8, v8, v18, -v3 :: v_dual_fmac_f32 v81, v9, v18
	s_wait_dscnt 0x2
	v_dual_mul_f32 v9, v74, v17 :: v_dual_mul_f32 v68, v75, v17
	v_dual_mul_f32 v17, v75, v19 :: v_dual_add_f32 v8, v78, v8
	s_delay_alu instid0(VALU_DEP_2) | instskip(NEXT) | instid1(VALU_DEP_3)
	v_dual_mul_f32 v78, v74, v19 :: v_dual_fmac_f32 v9, v75, v16
	v_dual_fma_f32 v68, v74, v16, -v68 :: v_dual_add_f32 v60, v60, v81
	s_delay_alu instid0(VALU_DEP_2) | instskip(SKIP_4) | instid1(VALU_DEP_2)
	v_dual_fma_f32 v16, v74, v18, -v17 :: v_dual_fmac_f32 v78, v75, v18
	ds_load_b128 v[0:3], v61 offset:4208
	s_wait_dscnt 0x2
	v_dual_mul_f32 v17, v11, v13 :: v_dual_add_f32 v62, v62, v68
	v_dual_add_f32 v9, v66, v9 :: v_dual_add_f32 v66, v79, v16
	v_dual_mul_f32 v68, v10, v13 :: v_dual_fma_f32 v74, v10, v12, -v17
	ds_load_2addr_b64 v[16:19], v71 offset0:192 offset1:208
	v_dual_mul_f32 v75, v11, v15 :: v_dual_add_f32 v64, v64, v78
	v_dual_fmac_f32 v68, v11, v12 :: v_dual_add_f32 v74, v80, v74
	s_delay_alu instid0(VALU_DEP_2) | instskip(SKIP_1) | instid1(VALU_DEP_2)
	v_dual_mul_f32 v78, v10, v15 :: v_dual_fma_f32 v10, v10, v14, -v75
	v_dual_mul_f32 v75, v77, v13 :: v_dual_mul_f32 v13, v76, v13
	v_dual_add_f32 v58, v58, v68 :: v_dual_fmac_f32 v78, v11, v14
	s_delay_alu instid0(VALU_DEP_3) | instskip(NEXT) | instid1(VALU_DEP_3)
	v_add_f32_e32 v8, v8, v10
	v_dual_fma_f32 v10, v76, v12, -v75 :: v_dual_mul_f32 v11, v77, v15
	s_delay_alu instid0(VALU_DEP_4) | instskip(NEXT) | instid1(VALU_DEP_4)
	v_dual_fmac_f32 v13, v77, v12 :: v_dual_mul_f32 v68, v76, v15
	v_add_f32_e32 v60, v60, v78
	s_delay_alu instid0(VALU_DEP_3) | instskip(NEXT) | instid1(VALU_DEP_3)
	v_add_f32_e32 v10, v62, v10
	v_dual_fma_f32 v11, v76, v14, -v11 :: v_dual_add_f32 v9, v9, v13
	s_wait_dscnt 0x0
	v_mul_f32_e32 v62, v5, v17
	v_dual_fmac_f32 v68, v77, v14 :: v_dual_mul_f32 v75, v4, v17
	ds_load_2addr_b64 v[12:15], v71 offset0:224 offset1:240
	v_dual_add_f32 v11, v66, v11 :: v_dual_fma_f32 v62, v4, v16, -v62
	v_dual_mul_f32 v66, v5, v19 :: v_dual_fmac_f32 v75, v5, v16
	v_mul_f32_e32 v76, v4, v19
	s_delay_alu instid0(VALU_DEP_3) | instskip(NEXT) | instid1(VALU_DEP_3)
	v_dual_add_f32 v64, v64, v68 :: v_dual_add_f32 v62, v74, v62
	v_fma_f32 v4, v4, v18, -v66
	s_delay_alu instid0(VALU_DEP_3) | instskip(SKIP_1) | instid1(VALU_DEP_3)
	v_dual_mul_f32 v66, v0, v19 :: v_dual_fmac_f32 v76, v5, v18
	v_dual_mul_f32 v5, v1, v17 :: v_dual_mul_f32 v17, v0, v17
	v_dual_add_f32 v4, v8, v4 :: v_dual_mul_f32 v8, v1, v19
	s_delay_alu instid0(VALU_DEP_3) | instskip(NEXT) | instid1(VALU_DEP_3)
	v_add_f32_e32 v60, v60, v76
	v_fma_f32 v5, v0, v16, -v5
	s_delay_alu instid0(VALU_DEP_4) | instskip(SKIP_2) | instid1(VALU_DEP_3)
	v_dual_fmac_f32 v17, v1, v16 :: v_dual_fmac_f32 v66, v1, v18
	s_wait_dscnt 0x0
	v_dual_fma_f32 v0, v0, v18, -v8 :: v_dual_mul_f32 v8, v7, v13
	v_add_f32_e32 v5, v10, v5
	s_delay_alu instid0(VALU_DEP_3) | instskip(NEXT) | instid1(VALU_DEP_3)
	v_dual_add_f32 v68, v9, v17 :: v_dual_add_f32 v58, v58, v75
	v_add_f32_e32 v0, v11, v0
	s_delay_alu instid0(VALU_DEP_4)
	v_dual_fma_f32 v1, v6, v12, -v8 :: v_dual_mul_f32 v74, v6, v13
	ds_load_b128 v[8:11], v61 offset:128
	ds_load_2addr_b64 v[16:19], v72 offset1:16
	v_dual_mul_f32 v75, v7, v15 :: v_dual_add_f32 v64, v64, v66
	v_dual_mul_f32 v66, v6, v15 :: v_dual_fmac_f32 v74, v7, v12
	v_add_f32_e32 v1, v62, v1
	s_delay_alu instid0(VALU_DEP_3) | instskip(NEXT) | instid1(VALU_DEP_3)
	v_dual_fma_f32 v6, v6, v14, -v75 :: v_dual_mul_f32 v62, v3, v13
	v_fmac_f32_e32 v66, v7, v14
	s_delay_alu instid0(VALU_DEP_4) | instskip(NEXT) | instid1(VALU_DEP_3)
	v_add_f32_e32 v58, v58, v74
	v_dual_mul_f32 v13, v2, v13 :: v_dual_add_f32 v78, v4, v6
	s_delay_alu instid0(VALU_DEP_3) | instskip(NEXT) | instid1(VALU_DEP_2)
	v_dual_fma_f32 v4, v2, v12, -v62 :: v_dual_add_f32 v60, v60, v66
	v_dual_mul_f32 v6, v3, v15 :: v_dual_fmac_f32 v13, v3, v12
	ds_load_b128 v[74:77], v61 offset:4224
	v_dual_add_f32 v62, v5, v4 :: v_dual_fma_f32 v12, v2, v14, -v6
	s_wait_dscnt 0x1
	v_dual_mul_f32 v2, v2, v15 :: v_dual_mul_f32 v15, v9, v17
	v_add_f32_e32 v66, v68, v13
	v_mul_f32_e32 v68, v8, v17
	s_delay_alu instid0(VALU_DEP_3) | instskip(NEXT) | instid1(VALU_DEP_4)
	v_dual_add_f32 v79, v0, v12 :: v_dual_fmac_f32 v2, v3, v14
	v_fma_f32 v0, v8, v16, -v15
	ds_load_2addr_b64 v[12:15], v72 offset0:32 offset1:48
	v_mul_f32_e32 v3, v9, v19
	ds_load_b128 v[4:7], v61 offset:144
	v_dual_fmac_f32 v68, v9, v16 :: v_dual_mul_f32 v81, v8, v19
	v_dual_add_f32 v64, v64, v2 :: v_dual_add_f32 v80, v1, v0
	s_delay_alu instid0(VALU_DEP_2) | instskip(SKIP_1) | instid1(VALU_DEP_3)
	v_dual_fma_f32 v8, v8, v18, -v3 :: v_dual_add_f32 v58, v58, v68
	s_wait_dscnt 0x2
	v_dual_mul_f32 v68, v75, v17 :: v_dual_fmac_f32 v81, v9, v18
	v_mul_f32_e32 v9, v74, v17
	s_delay_alu instid0(VALU_DEP_3) | instskip(NEXT) | instid1(VALU_DEP_3)
	v_dual_add_f32 v8, v78, v8 :: v_dual_mul_f32 v17, v75, v19
	v_dual_fma_f32 v68, v74, v16, -v68 :: v_dual_add_f32 v60, v60, v81
	s_delay_alu instid0(VALU_DEP_3) | instskip(NEXT) | instid1(VALU_DEP_3)
	v_dual_fmac_f32 v9, v75, v16 :: v_dual_mul_f32 v78, v74, v19
	v_fma_f32 v16, v74, v18, -v17
	s_wait_dscnt 0x1
	s_delay_alu instid0(VALU_DEP_3) | instskip(NEXT) | instid1(VALU_DEP_3)
	v_dual_add_f32 v62, v62, v68 :: v_dual_mul_f32 v17, v11, v13
	v_dual_add_f32 v9, v66, v9 :: v_dual_fmac_f32 v78, v75, v18
	s_delay_alu instid0(VALU_DEP_3) | instskip(NEXT) | instid1(VALU_DEP_3)
	v_dual_add_f32 v66, v79, v16 :: v_dual_mul_f32 v68, v10, v13
	v_fma_f32 v74, v10, v12, -v17
	ds_load_2addr_b64 v[16:19], v72 offset0:64 offset1:80
	v_dual_mul_f32 v75, v11, v15 :: v_dual_add_f32 v64, v64, v78
	v_dual_fmac_f32 v68, v11, v12 :: v_dual_add_f32 v74, v80, v74
	s_delay_alu instid0(VALU_DEP_2)
	v_dual_mul_f32 v78, v10, v15 :: v_dual_fma_f32 v10, v10, v14, -v75
	v_dual_mul_f32 v75, v77, v13 :: v_dual_mul_f32 v13, v76, v13
	ds_load_b128 v[0:3], v61 offset:4240
	v_dual_add_f32 v58, v58, v68 :: v_dual_fmac_f32 v78, v11, v14
	v_dual_add_f32 v8, v8, v10 :: v_dual_fmac_f32 v13, v77, v12
	v_dual_fma_f32 v10, v76, v12, -v75 :: v_dual_mul_f32 v11, v77, v15
	v_mul_f32_e32 v68, v76, v15
	s_delay_alu instid0(VALU_DEP_3) | instskip(NEXT) | instid1(VALU_DEP_3)
	v_dual_add_f32 v60, v60, v78 :: v_dual_add_f32 v9, v9, v13
	v_add_f32_e32 v10, v62, v10
	s_wait_dscnt 0x1
	v_dual_fma_f32 v11, v76, v14, -v11 :: v_dual_mul_f32 v62, v5, v17
	v_dual_fmac_f32 v68, v77, v14 :: v_dual_mul_f32 v75, v4, v17
	ds_load_2addr_b64 v[12:15], v72 offset0:96 offset1:112
	v_dual_add_f32 v11, v66, v11 :: v_dual_fma_f32 v62, v4, v16, -v62
	v_dual_mul_f32 v66, v5, v19 :: v_dual_fmac_f32 v75, v5, v16
	v_mul_f32_e32 v76, v4, v19
	s_delay_alu instid0(VALU_DEP_3) | instskip(NEXT) | instid1(VALU_DEP_3)
	v_dual_add_f32 v64, v64, v68 :: v_dual_add_f32 v62, v74, v62
	v_fma_f32 v4, v4, v18, -v66
	s_wait_dscnt 0x1
	s_delay_alu instid0(VALU_DEP_3) | instskip(SKIP_1) | instid1(VALU_DEP_3)
	v_dual_mul_f32 v66, v0, v19 :: v_dual_fmac_f32 v76, v5, v18
	v_dual_mul_f32 v5, v1, v17 :: v_dual_mul_f32 v17, v0, v17
	v_dual_add_f32 v4, v8, v4 :: v_dual_mul_f32 v8, v1, v19
	s_delay_alu instid0(VALU_DEP_3) | instskip(NEXT) | instid1(VALU_DEP_3)
	v_add_f32_e32 v60, v60, v76
	v_fma_f32 v5, v0, v16, -v5
	s_delay_alu instid0(VALU_DEP_4) | instskip(SKIP_2) | instid1(VALU_DEP_3)
	v_dual_fmac_f32 v17, v1, v16 :: v_dual_fmac_f32 v66, v1, v18
	s_wait_dscnt 0x0
	v_dual_fma_f32 v0, v0, v18, -v8 :: v_dual_mul_f32 v8, v7, v13
	v_add_f32_e32 v5, v10, v5
	s_delay_alu instid0(VALU_DEP_3) | instskip(NEXT) | instid1(VALU_DEP_3)
	v_dual_add_f32 v68, v9, v17 :: v_dual_add_f32 v58, v58, v75
	v_add_f32_e32 v0, v11, v0
	s_delay_alu instid0(VALU_DEP_4)
	v_dual_fma_f32 v1, v6, v12, -v8 :: v_dual_mul_f32 v74, v6, v13
	ds_load_b128 v[8:11], v61 offset:160
	ds_load_2addr_b64 v[16:19], v72 offset0:128 offset1:144
	v_dual_mul_f32 v75, v7, v15 :: v_dual_add_f32 v64, v64, v66
	v_dual_mul_f32 v66, v6, v15 :: v_dual_fmac_f32 v74, v7, v12
	v_add_f32_e32 v1, v62, v1
	s_delay_alu instid0(VALU_DEP_3) | instskip(NEXT) | instid1(VALU_DEP_3)
	v_dual_fma_f32 v6, v6, v14, -v75 :: v_dual_mul_f32 v62, v3, v13
	v_fmac_f32_e32 v66, v7, v14
	s_delay_alu instid0(VALU_DEP_4) | instskip(NEXT) | instid1(VALU_DEP_3)
	v_add_f32_e32 v58, v58, v74
	v_dual_mul_f32 v13, v2, v13 :: v_dual_add_f32 v78, v4, v6
	s_delay_alu instid0(VALU_DEP_3) | instskip(NEXT) | instid1(VALU_DEP_2)
	v_dual_fma_f32 v4, v2, v12, -v62 :: v_dual_add_f32 v60, v60, v66
	v_dual_mul_f32 v6, v3, v15 :: v_dual_fmac_f32 v13, v3, v12
	ds_load_b128 v[74:77], v61 offset:4256
	v_dual_add_f32 v62, v5, v4 :: v_dual_fma_f32 v12, v2, v14, -v6
	s_wait_dscnt 0x1
	v_dual_mul_f32 v2, v2, v15 :: v_dual_mul_f32 v15, v9, v17
	v_add_f32_e32 v66, v68, v13
	v_mul_f32_e32 v68, v8, v17
	s_delay_alu instid0(VALU_DEP_3) | instskip(NEXT) | instid1(VALU_DEP_4)
	v_dual_add_f32 v79, v0, v12 :: v_dual_fmac_f32 v2, v3, v14
	v_fma_f32 v0, v8, v16, -v15
	ds_load_2addr_b64 v[12:15], v72 offset0:160 offset1:176
	v_mul_f32_e32 v3, v9, v19
	ds_load_b128 v[4:7], v61 offset:176
	v_dual_fmac_f32 v68, v9, v16 :: v_dual_mul_f32 v81, v8, v19
	v_dual_add_f32 v64, v64, v2 :: v_dual_add_f32 v80, v1, v0
	s_delay_alu instid0(VALU_DEP_2) | instskip(SKIP_1) | instid1(VALU_DEP_3)
	v_dual_fma_f32 v8, v8, v18, -v3 :: v_dual_add_f32 v58, v58, v68
	s_wait_dscnt 0x2
	v_dual_mul_f32 v68, v75, v17 :: v_dual_fmac_f32 v81, v9, v18
	v_mul_f32_e32 v9, v74, v17
	s_delay_alu instid0(VALU_DEP_3) | instskip(NEXT) | instid1(VALU_DEP_3)
	v_dual_add_f32 v8, v78, v8 :: v_dual_mul_f32 v17, v75, v19
	v_dual_fma_f32 v68, v74, v16, -v68 :: v_dual_add_f32 v60, v60, v81
	s_delay_alu instid0(VALU_DEP_3) | instskip(NEXT) | instid1(VALU_DEP_3)
	v_dual_fmac_f32 v9, v75, v16 :: v_dual_mul_f32 v78, v74, v19
	v_fma_f32 v16, v74, v18, -v17
	s_wait_dscnt 0x1
	s_delay_alu instid0(VALU_DEP_3) | instskip(NEXT) | instid1(VALU_DEP_3)
	v_dual_add_f32 v62, v62, v68 :: v_dual_mul_f32 v17, v11, v13
	v_dual_add_f32 v9, v66, v9 :: v_dual_fmac_f32 v78, v75, v18
	s_delay_alu instid0(VALU_DEP_3) | instskip(NEXT) | instid1(VALU_DEP_3)
	v_dual_add_f32 v66, v79, v16 :: v_dual_mul_f32 v68, v10, v13
	v_fma_f32 v74, v10, v12, -v17
	ds_load_2addr_b64 v[16:19], v72 offset0:192 offset1:208
	v_dual_mul_f32 v75, v11, v15 :: v_dual_add_f32 v64, v64, v78
	v_dual_fmac_f32 v68, v11, v12 :: v_dual_add_f32 v74, v80, v74
	s_delay_alu instid0(VALU_DEP_2)
	v_dual_mul_f32 v78, v10, v15 :: v_dual_fma_f32 v10, v10, v14, -v75
	v_dual_mul_f32 v75, v77, v13 :: v_dual_mul_f32 v13, v76, v13
	ds_load_b128 v[0:3], v61 offset:4272
	v_dual_add_f32 v58, v58, v68 :: v_dual_fmac_f32 v78, v11, v14
	v_dual_add_f32 v8, v8, v10 :: v_dual_fmac_f32 v13, v77, v12
	v_dual_fma_f32 v10, v76, v12, -v75 :: v_dual_mul_f32 v11, v77, v15
	v_mul_f32_e32 v68, v76, v15
	s_delay_alu instid0(VALU_DEP_3) | instskip(NEXT) | instid1(VALU_DEP_3)
	v_dual_add_f32 v60, v60, v78 :: v_dual_add_f32 v9, v9, v13
	v_add_f32_e32 v10, v62, v10
	s_wait_dscnt 0x1
	v_dual_fma_f32 v11, v76, v14, -v11 :: v_dual_mul_f32 v62, v5, v17
	v_dual_fmac_f32 v68, v77, v14 :: v_dual_mul_f32 v75, v4, v17
	ds_load_2addr_b64 v[12:15], v72 offset0:224 offset1:240
	v_dual_add_f32 v11, v66, v11 :: v_dual_fma_f32 v62, v4, v16, -v62
	v_dual_mul_f32 v66, v5, v19 :: v_dual_fmac_f32 v75, v5, v16
	v_mul_f32_e32 v76, v4, v19
	s_delay_alu instid0(VALU_DEP_3) | instskip(NEXT) | instid1(VALU_DEP_3)
	v_dual_add_f32 v64, v64, v68 :: v_dual_add_f32 v62, v74, v62
	v_fma_f32 v4, v4, v18, -v66
	s_wait_dscnt 0x1
	s_delay_alu instid0(VALU_DEP_3) | instskip(SKIP_1) | instid1(VALU_DEP_3)
	v_dual_mul_f32 v66, v0, v19 :: v_dual_fmac_f32 v76, v5, v18
	v_dual_mul_f32 v5, v1, v17 :: v_dual_mul_f32 v17, v0, v17
	v_dual_add_f32 v4, v8, v4 :: v_dual_mul_f32 v8, v1, v19
	s_delay_alu instid0(VALU_DEP_3) | instskip(NEXT) | instid1(VALU_DEP_3)
	v_add_f32_e32 v60, v60, v76
	v_fma_f32 v5, v0, v16, -v5
	s_delay_alu instid0(VALU_DEP_4) | instskip(SKIP_2) | instid1(VALU_DEP_3)
	v_dual_fmac_f32 v17, v1, v16 :: v_dual_fmac_f32 v66, v1, v18
	s_wait_dscnt 0x0
	v_dual_fma_f32 v0, v0, v18, -v8 :: v_dual_mul_f32 v8, v7, v13
	v_add_f32_e32 v5, v10, v5
	s_delay_alu instid0(VALU_DEP_3) | instskip(NEXT) | instid1(VALU_DEP_3)
	v_dual_add_f32 v68, v9, v17 :: v_dual_add_f32 v58, v58, v75
	v_add_f32_e32 v0, v11, v0
	s_delay_alu instid0(VALU_DEP_4)
	v_dual_fma_f32 v1, v6, v12, -v8 :: v_dual_mul_f32 v74, v6, v13
	ds_load_b128 v[8:11], v61 offset:192
	ds_load_2addr_b64 v[16:19], v73 offset1:16
	v_dual_mul_f32 v75, v7, v15 :: v_dual_add_f32 v64, v64, v66
	v_dual_mul_f32 v66, v6, v15 :: v_dual_fmac_f32 v74, v7, v12
	v_add_f32_e32 v1, v62, v1
	s_delay_alu instid0(VALU_DEP_3) | instskip(NEXT) | instid1(VALU_DEP_3)
	v_dual_fma_f32 v6, v6, v14, -v75 :: v_dual_mul_f32 v62, v3, v13
	v_fmac_f32_e32 v66, v7, v14
	s_delay_alu instid0(VALU_DEP_4) | instskip(NEXT) | instid1(VALU_DEP_3)
	v_add_f32_e32 v58, v58, v74
	v_dual_mul_f32 v13, v2, v13 :: v_dual_add_f32 v78, v4, v6
	s_delay_alu instid0(VALU_DEP_3) | instskip(NEXT) | instid1(VALU_DEP_2)
	v_dual_fma_f32 v4, v2, v12, -v62 :: v_dual_add_f32 v60, v60, v66
	v_dual_mul_f32 v6, v3, v15 :: v_dual_fmac_f32 v13, v3, v12
	ds_load_b128 v[74:77], v61 offset:4288
	v_dual_add_f32 v62, v5, v4 :: v_dual_fma_f32 v12, v2, v14, -v6
	s_wait_dscnt 0x1
	v_dual_mul_f32 v2, v2, v15 :: v_dual_mul_f32 v15, v9, v17
	v_add_f32_e32 v66, v68, v13
	v_mul_f32_e32 v68, v8, v17
	s_delay_alu instid0(VALU_DEP_3) | instskip(NEXT) | instid1(VALU_DEP_4)
	v_dual_add_f32 v79, v0, v12 :: v_dual_fmac_f32 v2, v3, v14
	v_fma_f32 v0, v8, v16, -v15
	ds_load_2addr_b64 v[12:15], v73 offset0:32 offset1:48
	v_mul_f32_e32 v3, v9, v19
	ds_load_b128 v[4:7], v61 offset:208
	v_dual_fmac_f32 v68, v9, v16 :: v_dual_mul_f32 v81, v8, v19
	v_dual_add_f32 v64, v64, v2 :: v_dual_add_f32 v80, v1, v0
	s_delay_alu instid0(VALU_DEP_2) | instskip(SKIP_1) | instid1(VALU_DEP_3)
	v_dual_fma_f32 v8, v8, v18, -v3 :: v_dual_add_f32 v58, v58, v68
	s_wait_dscnt 0x2
	v_dual_mul_f32 v68, v75, v17 :: v_dual_fmac_f32 v81, v9, v18
	v_mul_f32_e32 v9, v74, v17
	s_delay_alu instid0(VALU_DEP_3) | instskip(NEXT) | instid1(VALU_DEP_3)
	v_dual_add_f32 v8, v78, v8 :: v_dual_mul_f32 v17, v75, v19
	v_dual_fma_f32 v68, v74, v16, -v68 :: v_dual_add_f32 v60, v60, v81
	s_delay_alu instid0(VALU_DEP_3) | instskip(NEXT) | instid1(VALU_DEP_3)
	v_dual_fmac_f32 v9, v75, v16 :: v_dual_mul_f32 v78, v74, v19
	v_fma_f32 v16, v74, v18, -v17
	s_wait_dscnt 0x1
	s_delay_alu instid0(VALU_DEP_3) | instskip(NEXT) | instid1(VALU_DEP_3)
	v_dual_add_f32 v62, v62, v68 :: v_dual_mul_f32 v17, v11, v13
	v_dual_add_f32 v9, v66, v9 :: v_dual_fmac_f32 v78, v75, v18
	s_delay_alu instid0(VALU_DEP_3) | instskip(NEXT) | instid1(VALU_DEP_3)
	v_dual_add_f32 v66, v79, v16 :: v_dual_mul_f32 v68, v10, v13
	v_fma_f32 v74, v10, v12, -v17
	ds_load_2addr_b64 v[16:19], v73 offset0:64 offset1:80
	v_dual_mul_f32 v75, v11, v15 :: v_dual_add_f32 v64, v64, v78
	v_dual_fmac_f32 v68, v11, v12 :: v_dual_add_f32 v74, v80, v74
	s_delay_alu instid0(VALU_DEP_2)
	v_dual_mul_f32 v78, v10, v15 :: v_dual_fma_f32 v10, v10, v14, -v75
	v_dual_mul_f32 v75, v77, v13 :: v_dual_mul_f32 v13, v76, v13
	ds_load_b128 v[0:3], v61 offset:4304
	v_dual_add_f32 v58, v58, v68 :: v_dual_fmac_f32 v78, v11, v14
	v_dual_add_f32 v8, v8, v10 :: v_dual_fmac_f32 v13, v77, v12
	v_dual_fma_f32 v10, v76, v12, -v75 :: v_dual_mul_f32 v11, v77, v15
	v_mul_f32_e32 v68, v76, v15
	s_delay_alu instid0(VALU_DEP_3) | instskip(NEXT) | instid1(VALU_DEP_3)
	v_dual_add_f32 v60, v60, v78 :: v_dual_add_f32 v9, v9, v13
	v_add_f32_e32 v10, v62, v10
	s_wait_dscnt 0x1
	v_dual_fma_f32 v11, v76, v14, -v11 :: v_dual_mul_f32 v62, v5, v17
	v_dual_fmac_f32 v68, v77, v14 :: v_dual_mul_f32 v75, v4, v17
	ds_load_2addr_b64 v[12:15], v73 offset0:96 offset1:112
	v_dual_add_f32 v11, v66, v11 :: v_dual_fma_f32 v62, v4, v16, -v62
	v_dual_mul_f32 v66, v5, v19 :: v_dual_fmac_f32 v75, v5, v16
	v_mul_f32_e32 v76, v4, v19
	s_delay_alu instid0(VALU_DEP_3) | instskip(NEXT) | instid1(VALU_DEP_3)
	v_dual_add_f32 v64, v64, v68 :: v_dual_add_f32 v62, v74, v62
	v_fma_f32 v4, v4, v18, -v66
	s_wait_dscnt 0x1
	s_delay_alu instid0(VALU_DEP_3) | instskip(SKIP_1) | instid1(VALU_DEP_3)
	v_dual_mul_f32 v66, v0, v19 :: v_dual_fmac_f32 v76, v5, v18
	v_dual_mul_f32 v5, v1, v17 :: v_dual_mul_f32 v17, v0, v17
	v_dual_add_f32 v4, v8, v4 :: v_dual_mul_f32 v8, v1, v19
	s_delay_alu instid0(VALU_DEP_3) | instskip(NEXT) | instid1(VALU_DEP_3)
	v_add_f32_e32 v60, v60, v76
	v_fma_f32 v5, v0, v16, -v5
	s_delay_alu instid0(VALU_DEP_4) | instskip(SKIP_2) | instid1(VALU_DEP_3)
	v_dual_fmac_f32 v17, v1, v16 :: v_dual_fmac_f32 v66, v1, v18
	s_wait_dscnt 0x0
	v_dual_fma_f32 v0, v0, v18, -v8 :: v_dual_mul_f32 v8, v7, v13
	v_add_f32_e32 v5, v10, v5
	s_delay_alu instid0(VALU_DEP_3) | instskip(NEXT) | instid1(VALU_DEP_3)
	v_dual_add_f32 v68, v9, v17 :: v_dual_add_f32 v58, v58, v75
	v_add_f32_e32 v0, v11, v0
	s_delay_alu instid0(VALU_DEP_4)
	v_dual_fma_f32 v1, v6, v12, -v8 :: v_dual_mul_f32 v74, v6, v13
	ds_load_b128 v[8:11], v61 offset:224
	ds_load_2addr_b64 v[16:19], v73 offset0:128 offset1:144
	v_dual_mul_f32 v75, v7, v15 :: v_dual_add_f32 v64, v64, v66
	v_dual_mul_f32 v66, v6, v15 :: v_dual_fmac_f32 v74, v7, v12
	v_add_f32_e32 v62, v62, v1
	s_delay_alu instid0(VALU_DEP_3) | instskip(NEXT) | instid1(VALU_DEP_3)
	v_dual_fma_f32 v6, v6, v14, -v75 :: v_dual_mul_f32 v1, v3, v13
	v_fmac_f32_e32 v66, v7, v14
	s_delay_alu instid0(VALU_DEP_4) | instskip(NEXT) | instid1(VALU_DEP_3)
	v_add_f32_e32 v58, v58, v74
	v_dual_mul_f32 v13, v2, v13 :: v_dual_add_f32 v78, v4, v6
	s_delay_alu instid0(VALU_DEP_3)
	v_dual_fma_f32 v1, v2, v12, -v1 :: v_dual_add_f32 v60, v60, v66
	v_mul_f32_e32 v4, v3, v15
	ds_load_b128 v[74:77], v61 offset:4320
	v_dual_fmac_f32 v13, v3, v12 :: v_dual_add_f32 v66, v5, v1
	v_dual_mul_f32 v12, v2, v15 :: v_dual_fma_f32 v1, v2, v14, -v4
	s_wait_dscnt 0x1
	v_mul_f32_e32 v2, v9, v17
	s_delay_alu instid0(VALU_DEP_3)
	v_add_f32_e32 v68, v68, v13
	ds_load_b128 v[4:7], v61 offset:240
	v_dual_fmac_f32 v12, v3, v14 :: v_dual_mul_f32 v80, v8, v17
	v_fma_f32 v13, v8, v16, -v2
	v_add_f32_e32 v79, v0, v1
	ds_load_2addr_b64 v[0:3], v73 offset0:160 offset1:176
	v_dual_mul_f32 v14, v9, v19 :: v_dual_fmac_f32 v80, v9, v16
	v_mul_f32_e32 v81, v8, v19
	v_dual_add_f32 v64, v64, v12 :: v_dual_add_f32 v62, v62, v13
	s_delay_alu instid0(VALU_DEP_3) | instskip(SKIP_1) | instid1(VALU_DEP_3)
	v_dual_fma_f32 v8, v8, v18, -v14 :: v_dual_add_f32 v58, v58, v80
	s_wait_dscnt 0x2
	v_dual_mul_f32 v82, v75, v17 :: v_dual_fmac_f32 v81, v9, v18
	v_mul_f32_e32 v9, v74, v17
	s_delay_alu instid0(VALU_DEP_3) | instskip(NEXT) | instid1(VALU_DEP_3)
	v_dual_add_f32 v8, v78, v8 :: v_dual_mul_f32 v78, v75, v19
	v_dual_fma_f32 v17, v74, v16, -v82 :: v_dual_add_f32 v60, v60, v81
	s_delay_alu instid0(VALU_DEP_3) | instskip(NEXT) | instid1(VALU_DEP_3)
	v_dual_fmac_f32 v9, v75, v16 :: v_dual_mul_f32 v80, v74, v19
	v_fma_f32 v16, v74, v18, -v78
	s_delay_alu instid0(VALU_DEP_3)
	v_add_f32_e32 v66, v66, v17
	ds_load_b128 v[12:15], v61 offset:4336
	s_wait_dscnt 0x1
	v_mul_f32_e32 v17, v11, v1
	v_dual_add_f32 v9, v68, v9 :: v_dual_add_f32 v74, v79, v16
	v_dual_fmac_f32 v80, v75, v18 :: v_dual_mul_f32 v68, v10, v1
	s_delay_alu instid0(VALU_DEP_3) | instskip(SKIP_3) | instid1(VALU_DEP_2)
	v_fma_f32 v75, v10, v0, -v17
	ds_load_2addr_b64 v[16:19], v73 offset0:192 offset1:208
	v_dual_mul_f32 v78, v11, v3 :: v_dual_add_f32 v64, v64, v80
	v_dual_fmac_f32 v68, v11, v0 :: v_dual_add_f32 v62, v62, v75
	v_dual_mul_f32 v75, v10, v3 :: v_dual_fma_f32 v10, v10, v2, -v78
	s_delay_alu instid0(VALU_DEP_2) | instskip(NEXT) | instid1(VALU_DEP_2)
	v_dual_add_f32 v58, v58, v68 :: v_dual_mul_f32 v68, v77, v1
	v_dual_mul_f32 v1, v76, v1 :: v_dual_fmac_f32 v75, v11, v2
	s_delay_alu instid0(VALU_DEP_3) | instskip(NEXT) | instid1(VALU_DEP_2)
	v_dual_add_f32 v8, v8, v10 :: v_dual_mul_f32 v10, v77, v3
	v_dual_fma_f32 v11, v76, v0, -v68 :: v_dual_fmac_f32 v1, v77, v0
	v_mul_f32_e32 v68, v76, v3
	s_delay_alu instid0(VALU_DEP_4) | instskip(NEXT) | instid1(VALU_DEP_3)
	v_add_f32_e32 v60, v60, v75
	v_dual_fma_f32 v0, v76, v2, -v10 :: v_dual_add_f32 v10, v66, v11
	s_wait_dscnt 0x0
	v_mul_f32_e32 v11, v5, v17
	v_add_f32_e32 v9, v9, v1
	s_delay_alu instid0(VALU_DEP_3) | instskip(SKIP_3) | instid1(VALU_DEP_2)
	v_dual_fmac_f32 v68, v77, v2 :: v_dual_add_f32 v66, v74, v0
	ds_load_2addr_b64 v[0:3], v73 offset0:224 offset1:240
	v_dual_mul_f32 v74, v4, v17 :: v_dual_fma_f32 v11, v4, v16, -v11
	v_dual_add_f32 v64, v64, v68 :: v_dual_mul_f32 v68, v5, v19
	v_dual_mul_f32 v75, v4, v19 :: v_dual_fmac_f32 v74, v5, v16
	s_delay_alu instid0(VALU_DEP_3) | instskip(NEXT) | instid1(VALU_DEP_2)
	v_dual_add_f32 v11, v62, v11 :: v_dual_mul_f32 v62, v13, v17
	v_dual_fma_f32 v4, v4, v18, -v68 :: v_dual_fmac_f32 v75, v5, v18
	s_delay_alu instid0(VALU_DEP_3) | instskip(NEXT) | instid1(VALU_DEP_3)
	v_dual_add_f32 v58, v58, v74 :: v_dual_mul_f32 v5, v12, v17
	v_fma_f32 v17, v12, v16, -v62
	s_delay_alu instid0(VALU_DEP_3) | instskip(NEXT) | instid1(VALU_DEP_3)
	v_dual_add_f32 v4, v8, v4 :: v_dual_mul_f32 v8, v13, v19
	v_dual_add_f32 v60, v60, v75 :: v_dual_fmac_f32 v5, v13, v16
	s_delay_alu instid0(VALU_DEP_3) | instskip(SKIP_1) | instid1(VALU_DEP_3)
	v_dual_add_f32 v10, v10, v17 :: v_dual_mul_f32 v16, v12, v19
	s_wait_dscnt 0x0
	v_dual_fma_f32 v8, v12, v18, -v8 :: v_dual_mul_f32 v12, v7, v1
	v_mul_f32_e32 v17, v6, v1
	v_add_f32_e32 v5, v9, v5
	s_delay_alu instid0(VALU_DEP_3) | instskip(NEXT) | instid1(VALU_DEP_4)
	v_dual_fmac_f32 v16, v13, v18 :: v_dual_add_f32 v8, v66, v8
	v_dual_fma_f32 v9, v6, v0, -v12 :: v_dual_mul_f32 v12, v7, v3
	s_delay_alu instid0(VALU_DEP_4) | instskip(NEXT) | instid1(VALU_DEP_2)
	v_dual_fmac_f32 v17, v7, v0 :: v_dual_mul_f32 v13, v6, v3
	v_dual_add_f32 v16, v64, v16 :: v_dual_add_f32 v66, v11, v9
	s_delay_alu instid0(VALU_DEP_3) | instskip(NEXT) | instid1(VALU_DEP_3)
	v_fma_f32 v6, v6, v2, -v12
	v_dual_add_f32 v68, v58, v17 :: v_dual_fmac_f32 v13, v7, v2
	v_dual_mul_f32 v7, v15, v1 :: v_dual_mul_f32 v1, v14, v1
	v_dual_mul_f32 v9, v15, v3 :: v_dual_mul_f32 v3, v14, v3
	s_delay_alu instid0(VALU_DEP_2) | instskip(NEXT) | instid1(VALU_DEP_3)
	v_dual_add_f32 v62, v4, v6 :: v_dual_fma_f32 v4, v14, v0, -v7
	v_fmac_f32_e32 v1, v15, v0
	s_delay_alu instid0(VALU_DEP_3) | instskip(NEXT) | instid1(VALU_DEP_3)
	v_dual_fma_f32 v0, v14, v2, -v9 :: v_dual_add_f32 v64, v60, v13
	v_dual_fmac_f32 v3, v15, v2 :: v_dual_add_f32 v58, v10, v4
	s_delay_alu instid0(VALU_DEP_2) | instskip(NEXT) | instid1(VALU_DEP_2)
	v_dual_add_f32 v60, v5, v1 :: v_dual_add_f32 v18, v8, v0
	v_add_f32_e32 v16, v16, v3
	s_barrier_signal -1
	s_barrier_wait -1
	s_cbranch_scc1 .LBB95_55
.LBB95_10:                              ;   Parent Loop BB95_4 Depth=1
                                        ;     Parent Loop BB95_7 Depth=2
                                        ; =>    This Inner Loop Header: Depth=3
	v_add_nc_u64_e32 v[2:3], s[58:59], v[34:35]
	v_cmp_eq_u64_e64 s7, s[58:59], v[48:49]
	v_add_nc_u64_e32 v[0:1], v[40:41], v[38:39]
	s_delay_alu instid0(VALU_DEP_3) | instskip(SKIP_3) | instid1(SALU_CYCLE_1)
	v_cmp_lt_i64_e64 s5, v[2:3], v[36:37]
	v_cmp_le_i64_e64 s6, s[44:45], v[2:3]
	s_and_b32 s68, s62, s7
	s_or_b32 s8, vcc_lo, s5
	s_or_b32 s7, s6, s8
	s_delay_alu instid0(SALU_CYCLE_1) | instskip(NEXT) | instid1(SALU_CYCLE_1)
	s_nor_b32 s7, s7, s68
	s_and_saveexec_b32 s8, s7
	s_delay_alu instid0(SALU_CYCLE_1)
	s_xor_b32 s7, exec_lo, s8
	s_cbranch_execz .LBB95_12
; %bb.11:                               ;   in Loop: Header=BB95_10 Depth=3
	global_load_b64 v[4:5], v[0:1], off
	s_wait_loadcnt 0x0
	v_xor_b32_e32 v5, 0x80000000, v5
	ds_store_b64 v65, v[4:5]
.LBB95_12:                              ;   in Loop: Header=BB95_10 Depth=3
	s_wait_xcnt 0x0
	s_or_saveexec_b32 s7, s7
	s_xor_b32 s67, s68, -1
	s_xor_b32 exec_lo, exec_lo, s7
	s_cbranch_execz .LBB95_18
; %bb.13:                               ;   in Loop: Header=BB95_10 Depth=3
	s_and_saveexec_b32 s8, s67
	s_delay_alu instid0(SALU_CYCLE_1)
	s_xor_b32 s8, exec_lo, s8
; %bb.14:                               ;   in Loop: Header=BB95_10 Depth=3
	ds_store_b64 v65, v[26:27]
; %bb.15:                               ;   in Loop: Header=BB95_10 Depth=3
	s_and_not1_saveexec_b32 s8, s8
; %bb.16:                               ;   in Loop: Header=BB95_10 Depth=3
	ds_store_b64 v65, v[28:29]
; %bb.17:                               ;   in Loop: Header=BB95_10 Depth=3
	s_or_b32 exec_lo, exec_lo, s8
.LBB95_18:                              ;   in Loop: Header=BB95_10 Depth=3
	s_delay_alu instid0(SALU_CYCLE_1) | instskip(SKIP_2) | instid1(VALU_DEP_2)
	s_or_b32 exec_lo, exec_lo, s7
	v_add_nc_u64_e32 v[4:5], 16, v[2:3]
	v_cmp_eq_u64_e64 s9, s[58:59], v[56:57]
	v_cmp_lt_i64_e64 s8, v[4:5], v[36:37]
	v_cmp_le_i64_e64 s7, s[44:45], v[4:5]
	v_add_nc_u64_e32 v[4:5], v[44:45], v[38:39]
	s_and_b32 s9, s62, s9
	s_or_b32 s8, vcc_lo, s8
	s_delay_alu instid0(SALU_CYCLE_1) | instskip(NEXT) | instid1(SALU_CYCLE_1)
	s_or_b32 s8, s7, s8
	s_nor_b32 s8, s8, s9
	s_delay_alu instid0(SALU_CYCLE_1) | instskip(NEXT) | instid1(SALU_CYCLE_1)
	s_and_saveexec_b32 s69, s8
	s_xor_b32 s8, exec_lo, s69
	s_cbranch_execz .LBB95_20
; %bb.19:                               ;   in Loop: Header=BB95_10 Depth=3
	global_load_b64 v[6:7], v[4:5], off
	s_wait_loadcnt 0x0
	v_xor_b32_e32 v7, 0x80000000, v7
	ds_store_b64 v65, v[6:7] offset:128
.LBB95_20:                              ;   in Loop: Header=BB95_10 Depth=3
	s_wait_xcnt 0x0
	s_and_not1_saveexec_b32 s8, s8
	s_cbranch_execz .LBB95_26
; %bb.21:                               ;   in Loop: Header=BB95_10 Depth=3
	s_xor_b32 s9, s9, -1
	s_delay_alu instid0(SALU_CYCLE_1) | instskip(NEXT) | instid1(SALU_CYCLE_1)
	s_and_saveexec_b32 s69, s9
	s_xor_b32 s9, exec_lo, s69
; %bb.22:                               ;   in Loop: Header=BB95_10 Depth=3
	ds_store_b64 v65, v[26:27] offset:128
; %bb.23:                               ;   in Loop: Header=BB95_10 Depth=3
	s_and_not1_saveexec_b32 s9, s9
; %bb.24:                               ;   in Loop: Header=BB95_10 Depth=3
	ds_store_b64 v65, v[28:29] offset:128
; %bb.25:                               ;   in Loop: Header=BB95_10 Depth=3
	s_or_b32 exec_lo, exec_lo, s9
.LBB95_26:                              ;   in Loop: Header=BB95_10 Depth=3
	s_delay_alu instid0(SALU_CYCLE_1) | instskip(SKIP_4) | instid1(SALU_CYCLE_1)
	s_or_b32 exec_lo, exec_lo, s8
	v_cmp_eq_u64_e64 s8, s[58:59], v[54:55]
	v_cmp_lt_i64_e64 s9, v[2:3], v[50:51]
	s_and_b32 s8, s62, s8
	s_or_b32 s9, s4, s9
	s_or_b32 s9, s9, s8
	s_delay_alu instid0(SALU_CYCLE_1) | instskip(NEXT) | instid1(SALU_CYCLE_1)
	s_nor_b32 s6, s6, s9
	s_and_saveexec_b32 s9, s6
	s_delay_alu instid0(SALU_CYCLE_1)
	s_xor_b32 s6, exec_lo, s9
	s_cbranch_execz .LBB95_28
; %bb.27:                               ;   in Loop: Header=BB95_10 Depth=3
	global_load_b64 v[0:1], v[0:1], off offset:128
	s_wait_loadcnt 0x0
	s_wait_xcnt 0x0
	v_xor_b32_e32 v1, 0x80000000, v1
	ds_store_b64 v65, v[0:1] offset:4096
.LBB95_28:                              ;   in Loop: Header=BB95_10 Depth=3
	s_and_not1_saveexec_b32 s6, s6
	s_cbranch_execz .LBB95_34
; %bb.29:                               ;   in Loop: Header=BB95_10 Depth=3
	s_xor_b32 s8, s8, -1
	s_delay_alu instid0(SALU_CYCLE_1) | instskip(NEXT) | instid1(SALU_CYCLE_1)
	s_and_saveexec_b32 s9, s8
	s_xor_b32 s8, exec_lo, s9
; %bb.30:                               ;   in Loop: Header=BB95_10 Depth=3
	ds_store_b64 v65, v[26:27] offset:4096
; %bb.31:                               ;   in Loop: Header=BB95_10 Depth=3
	s_and_not1_saveexec_b32 s8, s8
; %bb.32:                               ;   in Loop: Header=BB95_10 Depth=3
	ds_store_b64 v65, v[28:29] offset:4096
; %bb.33:                               ;   in Loop: Header=BB95_10 Depth=3
	s_or_b32 exec_lo, exec_lo, s8
.LBB95_34:                              ;   in Loop: Header=BB95_10 Depth=3
	s_delay_alu instid0(SALU_CYCLE_1) | instskip(SKIP_1) | instid1(SALU_CYCLE_1)
	s_or_b32 exec_lo, exec_lo, s6
	s_or_b32 s5, s4, s5
	s_or_b32 s5, s7, s5
	s_delay_alu instid0(SALU_CYCLE_1) | instskip(NEXT) | instid1(SALU_CYCLE_1)
	s_nor_b32 s5, s5, s68
	s_and_saveexec_b32 s6, s5
	s_delay_alu instid0(SALU_CYCLE_1)
	s_xor_b32 s5, exec_lo, s6
	s_cbranch_execz .LBB95_36
; %bb.35:                               ;   in Loop: Header=BB95_10 Depth=3
	global_load_b64 v[0:1], v[4:5], off offset:128
	s_wait_loadcnt 0x0
	v_xor_b32_e32 v1, 0x80000000, v1
	ds_store_b64 v65, v[0:1] offset:4224
.LBB95_36:                              ;   in Loop: Header=BB95_10 Depth=3
	s_wait_xcnt 0x0
	s_and_not1_saveexec_b32 s5, s5
	s_cbranch_execz .LBB95_42
; %bb.37:                               ;   in Loop: Header=BB95_10 Depth=3
	s_and_saveexec_b32 s6, s67
	s_delay_alu instid0(SALU_CYCLE_1)
	s_xor_b32 s6, exec_lo, s6
; %bb.38:                               ;   in Loop: Header=BB95_10 Depth=3
	ds_store_b64 v65, v[26:27] offset:4224
; %bb.39:                               ;   in Loop: Header=BB95_10 Depth=3
	s_and_not1_saveexec_b32 s6, s6
; %bb.40:                               ;   in Loop: Header=BB95_10 Depth=3
	ds_store_b64 v65, v[28:29] offset:4224
; %bb.41:                               ;   in Loop: Header=BB95_10 Depth=3
	s_or_b32 exec_lo, exec_lo, s6
.LBB95_42:                              ;   in Loop: Header=BB95_10 Depth=3
	s_delay_alu instid0(SALU_CYCLE_1) | instskip(SKIP_3) | instid1(VALU_DEP_3)
	s_or_b32 exec_lo, exec_lo, s5
	v_add_nc_u64_e32 v[0:1], s[58:59], v[32:33]
	v_add_nc_u64_e32 v[2:3], v[42:43], v[52:53]
	v_mov_b64_e32 v[4:5], 0
	v_cmp_le_i64_e64 s5, s[44:45], v[0:1]
	s_nor_b32 s7, s5, s1
	s_delay_alu instid0(SALU_CYCLE_1)
	s_and_saveexec_b32 s6, s7
	s_cbranch_execz .LBB95_44
; %bb.43:                               ;   in Loop: Header=BB95_10 Depth=3
	global_load_b64 v[4:5], v[2:3], off offset:-128
.LBB95_44:                              ;   in Loop: Header=BB95_10 Depth=3
	s_wait_xcnt 0x0
	s_or_b32 exec_lo, exec_lo, s6
	s_nor_b32 s5, s5, s2
	s_wait_loadcnt 0x0
	ds_store_b64 v67, v[4:5]
	s_and_saveexec_b32 s6, s5
	s_delay_alu instid0(SALU_CYCLE_1)
	s_xor_b32 s5, exec_lo, s6
	s_cbranch_execz .LBB95_46
; %bb.45:                               ;   in Loop: Header=BB95_10 Depth=3
	global_load_b64 v[2:3], v[2:3], off
	s_wait_loadcnt 0x0
	ds_store_b64 v67, v[2:3] offset:128
.LBB95_46:                              ;   in Loop: Header=BB95_10 Depth=3
	s_wait_xcnt 0x0
	s_and_not1_saveexec_b32 s5, s5
; %bb.47:                               ;   in Loop: Header=BB95_10 Depth=3
	ds_store_b64 v67, v[26:27] offset:128
; %bb.48:                               ;   in Loop: Header=BB95_10 Depth=3
	s_or_b32 exec_lo, exec_lo, s5
	v_cmp_le_i64_e64 s5, s[26:27], v[0:1]
	v_add_nc_u64_e32 v[0:1], v[46:47], v[52:53]
	v_mov_b64_e32 v[2:3], 0
	s_nor_b32 s7, s5, s1
	s_delay_alu instid0(SALU_CYCLE_1)
	s_and_saveexec_b32 s6, s7
	s_cbranch_execz .LBB95_50
; %bb.49:                               ;   in Loop: Header=BB95_10 Depth=3
	global_load_b64 v[2:3], v[0:1], off
.LBB95_50:                              ;   in Loop: Header=BB95_10 Depth=3
	s_wait_xcnt 0x0
	s_or_b32 exec_lo, exec_lo, s6
	s_nor_b32 s5, s5, s2
	s_wait_loadcnt 0x0
	ds_store_b64 v67, v[2:3] offset:4096
	s_and_saveexec_b32 s6, s5
	s_delay_alu instid0(SALU_CYCLE_1)
	s_xor_b32 s5, exec_lo, s6
	s_cbranch_execz .LBB95_52
; %bb.51:                               ;   in Loop: Header=BB95_10 Depth=3
	global_load_b64 v[0:1], v[0:1], off offset:128
	s_wait_loadcnt 0x0
	ds_store_b64 v67, v[0:1] offset:4224
.LBB95_52:                              ;   in Loop: Header=BB95_10 Depth=3
	s_wait_xcnt 0x0
	s_and_not1_saveexec_b32 s5, s5
	s_cbranch_execz .LBB95_9
; %bb.53:                               ;   in Loop: Header=BB95_10 Depth=3
	ds_store_b64 v67, v[26:27] offset:4224
	s_branch .LBB95_9
.LBB95_54:                              ;   in Loop: Header=BB95_7 Depth=2
	v_dual_mov_b32 v66, 0 :: v_dual_mov_b32 v68, 0
	v_dual_mov_b32 v62, 0 :: v_dual_mov_b32 v64, 0
	v_dual_mov_b32 v58, 0 :: v_dual_mov_b32 v60, 0
	v_dual_mov_b32 v18, 0 :: v_dual_mov_b32 v16, 0
.LBB95_55:                              ;   in Loop: Header=BB95_7 Depth=2
	v_mul_u64_e32 v[0:1], s[28:29], v[36:37]
	v_cmp_gt_i32_e32 vcc_lo, s38, v36
	s_and_b32 s5, s0, vcc_lo
	s_delay_alu instid0(VALU_DEP_2)
	v_lshl_add_u64 v[0:1], v[0:1], 3, s[56:57]
	s_and_saveexec_b32 s4, s5
	s_cbranch_execz .LBB95_57
; %bb.56:                               ;   in Loop: Header=BB95_7 Depth=2
	s_delay_alu instid0(VALU_DEP_1) | instskip(SKIP_4) | instid1(VALU_DEP_1)
	v_lshl_add_u64 v[2:3], v[20:21], 3, v[0:1]
	v_mov_b64_e32 v[6:7], s[36:37]
	v_mov_b64_e32 v[8:9], s[40:41]
	global_load_b64 v[4:5], v[2:3], off
	v_pk_mul_f32 v[6:7], v[68:69], v[6:7] op_sel_hi:[0,1]
	v_pk_fma_f32 v[10:11], v[66:67], v[8:9], v[6:7] op_sel_hi:[0,1,1]
	v_pk_fma_f32 v[6:7], v[66:67], v[8:9], v[6:7] neg_lo:[0,0,1] neg_hi:[0,0,1]
	s_delay_alu instid0(VALU_DEP_2) | instskip(SKIP_1) | instid1(VALU_DEP_1)
	v_mov_b32_e32 v7, v11
	s_wait_loadcnt 0x0
	v_pk_add_f32 v[4:5], v[4:5], v[6:7]
	global_store_b64 v[2:3], v[4:5], off
.LBB95_57:                              ;   in Loop: Header=BB95_7 Depth=2
	s_wait_xcnt 0x0
	s_or_b32 exec_lo, exec_lo, s4
	s_and_b32 s5, s3, vcc_lo
	s_delay_alu instid0(SALU_CYCLE_1)
	s_and_saveexec_b32 s4, s5
	s_cbranch_execz .LBB95_59
; %bb.58:                               ;   in Loop: Header=BB95_7 Depth=2
	v_lshl_add_u64 v[0:1], v[22:23], 3, v[0:1]
	v_mov_b64_e32 v[4:5], s[36:37]
	v_mov_b64_e32 v[6:7], s[40:41]
	global_load_b64 v[2:3], v[0:1], off
	v_pk_mul_f32 v[4:5], v[64:65], v[4:5] op_sel_hi:[0,1]
	s_delay_alu instid0(VALU_DEP_1) | instskip(SKIP_1) | instid1(VALU_DEP_2)
	v_pk_fma_f32 v[8:9], v[62:63], v[6:7], v[4:5] op_sel_hi:[0,1,1]
	v_pk_fma_f32 v[4:5], v[62:63], v[6:7], v[4:5] neg_lo:[0,0,1] neg_hi:[0,0,1]
	v_mov_b32_e32 v5, v9
	s_wait_loadcnt 0x0
	s_delay_alu instid0(VALU_DEP_1)
	v_pk_add_f32 v[2:3], v[2:3], v[4:5]
	global_store_b64 v[0:1], v[2:3], off
.LBB95_59:                              ;   in Loop: Header=BB95_7 Depth=2
	s_wait_xcnt 0x0
	s_or_b32 exec_lo, exec_lo, s4
	v_add_nc_u32_e32 v0, 16, v36
	s_delay_alu instid0(VALU_DEP_1) | instskip(SKIP_1) | instid1(VALU_DEP_2)
	v_ashrrev_i32_e32 v1, 31, v0
	v_cmp_gt_i32_e32 vcc_lo, s38, v0
	v_mul_u64_e32 v[2:3], s[28:29], v[0:1]
	s_and_b32 s5, s0, vcc_lo
	s_delay_alu instid0(VALU_DEP_1)
	v_lshl_add_u64 v[0:1], v[2:3], 3, s[56:57]
	s_and_saveexec_b32 s4, s5
	s_cbranch_execz .LBB95_61
; %bb.60:                               ;   in Loop: Header=BB95_7 Depth=2
	s_delay_alu instid0(VALU_DEP_1) | instskip(SKIP_4) | instid1(VALU_DEP_1)
	v_lshl_add_u64 v[2:3], v[20:21], 3, v[0:1]
	v_mov_b64_e32 v[6:7], s[36:37]
	v_mov_b64_e32 v[8:9], s[40:41]
	global_load_b64 v[4:5], v[2:3], off
	v_pk_mul_f32 v[6:7], v[60:61], v[6:7] op_sel_hi:[0,1]
	v_pk_fma_f32 v[10:11], v[58:59], v[8:9], v[6:7] op_sel_hi:[0,1,1]
	v_pk_fma_f32 v[6:7], v[58:59], v[8:9], v[6:7] neg_lo:[0,0,1] neg_hi:[0,0,1]
	s_delay_alu instid0(VALU_DEP_2) | instskip(SKIP_1) | instid1(VALU_DEP_1)
	v_mov_b32_e32 v7, v11
	s_wait_loadcnt 0x0
	v_pk_add_f32 v[4:5], v[4:5], v[6:7]
	global_store_b64 v[2:3], v[4:5], off
.LBB95_61:                              ;   in Loop: Header=BB95_7 Depth=2
	s_wait_xcnt 0x0
	s_or_b32 exec_lo, exec_lo, s4
	s_and_b32 s5, s3, vcc_lo
	s_delay_alu instid0(SALU_CYCLE_1)
	s_and_saveexec_b32 s4, s5
	s_cbranch_execz .LBB95_6
; %bb.62:                               ;   in Loop: Header=BB95_7 Depth=2
	v_lshl_add_u64 v[0:1], v[22:23], 3, v[0:1]
	v_mov_b64_e32 v[4:5], s[36:37]
	v_mov_b64_e32 v[6:7], s[40:41]
	global_load_b64 v[2:3], v[0:1], off
	v_pk_mul_f32 v[4:5], v[16:17], v[4:5] op_sel_hi:[0,1]
	s_delay_alu instid0(VALU_DEP_1) | instskip(SKIP_1) | instid1(VALU_DEP_2)
	v_pk_fma_f32 v[8:9], v[18:19], v[6:7], v[4:5] op_sel_hi:[0,1,1]
	v_pk_fma_f32 v[4:5], v[18:19], v[6:7], v[4:5] neg_lo:[0,0,1] neg_hi:[0,0,1]
	v_mov_b32_e32 v5, v9
	s_wait_loadcnt 0x0
	s_delay_alu instid0(VALU_DEP_1)
	v_pk_add_f32 v[2:3], v[2:3], v[4:5]
	global_store_b64 v[0:1], v[2:3], off
	s_branch .LBB95_6
.LBB95_63:
	s_sendmsg sendmsg(MSG_DEALLOC_VGPRS)
	s_endpgm
	.section	.rodata,"a",@progbits
	.p2align	6, 0x0
	.amdhsa_kernel _ZL30rocblas_trmm_outofplace_kernelI19rocblas_complex_numIfELi32ELi2ELb0ELb1ELb1ELb1ES1_KS1_S1_Ev17rocblas_diagonal_iiT6_lPT7_lllS6_lllPT8_llli
		.amdhsa_group_segment_fixed_size 16384
		.amdhsa_private_segment_fixed_size 0
		.amdhsa_kernarg_size 392
		.amdhsa_user_sgpr_count 2
		.amdhsa_user_sgpr_dispatch_ptr 0
		.amdhsa_user_sgpr_queue_ptr 0
		.amdhsa_user_sgpr_kernarg_segment_ptr 1
		.amdhsa_user_sgpr_dispatch_id 0
		.amdhsa_user_sgpr_kernarg_preload_length 0
		.amdhsa_user_sgpr_kernarg_preload_offset 0
		.amdhsa_user_sgpr_private_segment_size 0
		.amdhsa_wavefront_size32 1
		.amdhsa_uses_dynamic_stack 0
		.amdhsa_enable_private_segment 0
		.amdhsa_system_sgpr_workgroup_id_x 1
		.amdhsa_system_sgpr_workgroup_id_y 1
		.amdhsa_system_sgpr_workgroup_id_z 1
		.amdhsa_system_sgpr_workgroup_info 0
		.amdhsa_system_vgpr_workitem_id 1
		.amdhsa_next_free_vgpr 95
		.amdhsa_next_free_sgpr 70
		.amdhsa_named_barrier_count 0
		.amdhsa_reserve_vcc 1
		.amdhsa_float_round_mode_32 0
		.amdhsa_float_round_mode_16_64 0
		.amdhsa_float_denorm_mode_32 3
		.amdhsa_float_denorm_mode_16_64 3
		.amdhsa_fp16_overflow 0
		.amdhsa_memory_ordered 1
		.amdhsa_forward_progress 1
		.amdhsa_inst_pref_size 60
		.amdhsa_round_robin_scheduling 0
		.amdhsa_exception_fp_ieee_invalid_op 0
		.amdhsa_exception_fp_denorm_src 0
		.amdhsa_exception_fp_ieee_div_zero 0
		.amdhsa_exception_fp_ieee_overflow 0
		.amdhsa_exception_fp_ieee_underflow 0
		.amdhsa_exception_fp_ieee_inexact 0
		.amdhsa_exception_int_div_zero 0
	.end_amdhsa_kernel
	.section	.text._ZL30rocblas_trmm_outofplace_kernelI19rocblas_complex_numIfELi32ELi2ELb0ELb1ELb1ELb1ES1_KS1_S1_Ev17rocblas_diagonal_iiT6_lPT7_lllS6_lllPT8_llli,"axG",@progbits,_ZL30rocblas_trmm_outofplace_kernelI19rocblas_complex_numIfELi32ELi2ELb0ELb1ELb1ELb1ES1_KS1_S1_Ev17rocblas_diagonal_iiT6_lPT7_lllS6_lllPT8_llli,comdat
.Lfunc_end95:
	.size	_ZL30rocblas_trmm_outofplace_kernelI19rocblas_complex_numIfELi32ELi2ELb0ELb1ELb1ELb1ES1_KS1_S1_Ev17rocblas_diagonal_iiT6_lPT7_lllS6_lllPT8_llli, .Lfunc_end95-_ZL30rocblas_trmm_outofplace_kernelI19rocblas_complex_numIfELi32ELi2ELb0ELb1ELb1ELb1ES1_KS1_S1_Ev17rocblas_diagonal_iiT6_lPT7_lllS6_lllPT8_llli
                                        ; -- End function
	.set _ZL30rocblas_trmm_outofplace_kernelI19rocblas_complex_numIfELi32ELi2ELb0ELb1ELb1ELb1ES1_KS1_S1_Ev17rocblas_diagonal_iiT6_lPT7_lllS6_lllPT8_llli.num_vgpr, 95
	.set _ZL30rocblas_trmm_outofplace_kernelI19rocblas_complex_numIfELi32ELi2ELb0ELb1ELb1ELb1ES1_KS1_S1_Ev17rocblas_diagonal_iiT6_lPT7_lllS6_lllPT8_llli.num_agpr, 0
	.set _ZL30rocblas_trmm_outofplace_kernelI19rocblas_complex_numIfELi32ELi2ELb0ELb1ELb1ELb1ES1_KS1_S1_Ev17rocblas_diagonal_iiT6_lPT7_lllS6_lllPT8_llli.numbered_sgpr, 70
	.set _ZL30rocblas_trmm_outofplace_kernelI19rocblas_complex_numIfELi32ELi2ELb0ELb1ELb1ELb1ES1_KS1_S1_Ev17rocblas_diagonal_iiT6_lPT7_lllS6_lllPT8_llli.num_named_barrier, 0
	.set _ZL30rocblas_trmm_outofplace_kernelI19rocblas_complex_numIfELi32ELi2ELb0ELb1ELb1ELb1ES1_KS1_S1_Ev17rocblas_diagonal_iiT6_lPT7_lllS6_lllPT8_llli.private_seg_size, 0
	.set _ZL30rocblas_trmm_outofplace_kernelI19rocblas_complex_numIfELi32ELi2ELb0ELb1ELb1ELb1ES1_KS1_S1_Ev17rocblas_diagonal_iiT6_lPT7_lllS6_lllPT8_llli.uses_vcc, 1
	.set _ZL30rocblas_trmm_outofplace_kernelI19rocblas_complex_numIfELi32ELi2ELb0ELb1ELb1ELb1ES1_KS1_S1_Ev17rocblas_diagonal_iiT6_lPT7_lllS6_lllPT8_llli.uses_flat_scratch, 0
	.set _ZL30rocblas_trmm_outofplace_kernelI19rocblas_complex_numIfELi32ELi2ELb0ELb1ELb1ELb1ES1_KS1_S1_Ev17rocblas_diagonal_iiT6_lPT7_lllS6_lllPT8_llli.has_dyn_sized_stack, 0
	.set _ZL30rocblas_trmm_outofplace_kernelI19rocblas_complex_numIfELi32ELi2ELb0ELb1ELb1ELb1ES1_KS1_S1_Ev17rocblas_diagonal_iiT6_lPT7_lllS6_lllPT8_llli.has_recursion, 0
	.set _ZL30rocblas_trmm_outofplace_kernelI19rocblas_complex_numIfELi32ELi2ELb0ELb1ELb1ELb1ES1_KS1_S1_Ev17rocblas_diagonal_iiT6_lPT7_lllS6_lllPT8_llli.has_indirect_call, 0
	.section	.AMDGPU.csdata,"",@progbits
; Kernel info:
; codeLenInByte = 7608
; TotalNumSgprs: 72
; NumVgprs: 95
; ScratchSize: 0
; MemoryBound: 0
; FloatMode: 240
; IeeeMode: 1
; LDSByteSize: 16384 bytes/workgroup (compile time only)
; SGPRBlocks: 0
; VGPRBlocks: 5
; NumSGPRsForWavesPerEU: 72
; NumVGPRsForWavesPerEU: 95
; NamedBarCnt: 0
; Occupancy: 10
; WaveLimiterHint : 0
; COMPUTE_PGM_RSRC2:SCRATCH_EN: 0
; COMPUTE_PGM_RSRC2:USER_SGPR: 2
; COMPUTE_PGM_RSRC2:TRAP_HANDLER: 0
; COMPUTE_PGM_RSRC2:TGID_X_EN: 1
; COMPUTE_PGM_RSRC2:TGID_Y_EN: 1
; COMPUTE_PGM_RSRC2:TGID_Z_EN: 1
; COMPUTE_PGM_RSRC2:TIDIG_COMP_CNT: 1
	.section	.text._ZL23rocblas_trmm_lNx_kernelILi16E19rocblas_complex_numIfEPKS1_S2_S1_Ev13rocblas_fill_17rocblas_diagonal_iiT1_lPT2_llS8_llPT3_lli,"axG",@progbits,_ZL23rocblas_trmm_lNx_kernelILi16E19rocblas_complex_numIfEPKS1_S2_S1_Ev13rocblas_fill_17rocblas_diagonal_iiT1_lPT2_llS8_llPT3_lli,comdat
	.globl	_ZL23rocblas_trmm_lNx_kernelILi16E19rocblas_complex_numIfEPKS1_S2_S1_Ev13rocblas_fill_17rocblas_diagonal_iiT1_lPT2_llS8_llPT3_lli ; -- Begin function _ZL23rocblas_trmm_lNx_kernelILi16E19rocblas_complex_numIfEPKS1_S2_S1_Ev13rocblas_fill_17rocblas_diagonal_iiT1_lPT2_llS8_llPT3_lli
	.p2align	8
	.type	_ZL23rocblas_trmm_lNx_kernelILi16E19rocblas_complex_numIfEPKS1_S2_S1_Ev13rocblas_fill_17rocblas_diagonal_iiT1_lPT2_llS8_llPT3_lli,@function
_ZL23rocblas_trmm_lNx_kernelILi16E19rocblas_complex_numIfEPKS1_S2_S1_Ev13rocblas_fill_17rocblas_diagonal_iiT1_lPT2_llS8_llPT3_lli: ; @_ZL23rocblas_trmm_lNx_kernelILi16E19rocblas_complex_numIfEPKS1_S2_S1_Ev13rocblas_fill_17rocblas_diagonal_iiT1_lPT2_llS8_llPT3_lli
; %bb.0:
	s_load_b32 s3, s[0:1], 0x68
	s_bfe_u32 s2, ttmp6, 0x40014
	s_lshr_b32 s4, ttmp7, 16
	s_add_co_i32 s2, s2, 1
	s_bfe_u32 s6, ttmp6, 0x40008
	s_mul_i32 s5, s4, s2
	s_getreg_b32 s2, hwreg(HW_REG_IB_STS2, 6, 4)
	s_add_co_i32 s6, s6, s5
	s_cmp_eq_u32 s2, 0
	s_mov_b32 s29, 0
	s_cselect_b32 s28, s4, s6
	s_wait_kmcnt 0x0
	s_cmp_ge_u32 s28, s3
	s_cbranch_scc1 .LBB96_19
; %bb.1:
	s_clause 0x3
	s_load_b128 s[20:23], s[0:1], 0x0
	s_load_b512 s[4:19], s[0:1], 0x10
	s_load_b128 s[24:27], s[0:1], 0x50
	s_load_b64 s[30:31], s[0:1], 0x60
	v_bfe_u32 v2, v0, 10, 10
	v_mov_b32_e32 v3, 0
	s_wait_xcnt 0x0
	s_bfe_u32 s0, ttmp6, 0x4000c
	s_and_b32 s1, ttmp6, 15
	s_add_co_i32 s0, s0, 1
	v_lshlrev_b32_e32 v12, 4, v2
	s_mul_i32 s33, ttmp9, s0
	v_and_b32_e32 v14, 0x3ff, v0
	v_mov_b32_e32 v5, v3
	v_mov_b64_e32 v[0:1], 0
	s_delay_alu instid0(VALU_DEP_3)
	v_lshlrev_b32_e32 v4, 3, v14
	v_cmp_eq_u32_e32 vcc_lo, v2, v14
	v_add_lshl_u32 v16, v12, v14, 3
	v_mov_b64_e32 v[12:13], 0x3f800000
	s_wait_kmcnt 0x0
	s_add_co_i32 s34, s23, -1
	v_mul_u64_e32 v[6:7], s[10:11], v[2:3]
	v_mul_u64_e32 v[8:9], s[16:17], v[2:3]
	;; [unrolled: 1-line block ×3, first 2 shown]
	s_ashr_i32 s0, s34, 31
	v_add_nc_u32_e32 v17, 0x800, v16
	s_lshr_b32 s10, s0, 28
	v_cmp_lt_u32_e64 s0, v14, v2
	s_add_co_i32 s34, s34, s10
	s_add_co_i32 s10, s1, s33
	s_and_b32 s1, s34, -16
	s_ashr_i32 s11, s34, 4
	s_sub_co_i32 s23, s23, s1
	s_cmp_eq_u32 s2, 0
	v_cmp_gt_i32_e64 s1, s22, v2
	s_cselect_b32 s10, ttmp9, s10
	v_cmp_gt_i32_e64 s2, s22, v14
	s_cmp_ge_i32 s10, s11
	s_cselect_b32 s11, s23, 16
	s_lshl_b32 s22, s10, 4
	s_and_b32 s10, s1, s2
	s_ashr_i32 s23, s22, 31
	v_cmp_gt_i32_e64 s1, s11, v2
	s_mul_u64 s[16:17], s[16:17], s[22:23]
	s_mul_u64 s[22:23], s[26:27], s[22:23]
	s_lshl_b64 s[16:17], s[16:17], 3
	s_lshl_b64 s[22:23], s[22:23], 3
	s_add_nc_u64 s[14:15], s[14:15], s[16:17]
	s_add_nc_u64 s[16:17], s[24:25], s[22:23]
	s_and_b32 s11, s2, s1
	s_cmp_eq_u32 s21, 0x84
	s_cselect_b32 s1, -1, 0
	v_lshl_add_u64 v[6:7], v[6:7], 3, s[8:9]
	v_lshl_add_u64 v[8:9], v[8:9], 3, s[14:15]
	;; [unrolled: 1-line block ×3, first 2 shown]
	s_and_b32 s8, vcc_lo, s1
	v_cmp_gt_u32_e64 s1, v14, v2
	v_add_nc_u64_e32 v[6:7], v[6:7], v[4:5]
	v_add_nc_u64_e32 v[8:9], v[8:9], v[4:5]
	;; [unrolled: 1-line block ×3, first 2 shown]
	v_lshl_add_u32 v2, v2, 7, 0x800
	s_cmp_lg_u32 s20, 0x79
	s_cselect_b32 s9, -1, 0
	s_branch .LBB96_4
.LBB96_2:                               ;   in Loop: Header=BB96_4 Depth=1
	s_wait_xcnt 0x0
	s_or_b32 exec_lo, exec_lo, s2
.LBB96_3:                               ;   in Loop: Header=BB96_4 Depth=1
	s_add_co_i32 s28, s28, 0x10000
	s_delay_alu instid0(SALU_CYCLE_1)
	s_cmp_lt_u32 s28, s3
	s_cbranch_scc0 .LBB96_19
.LBB96_4:                               ; =>This Inner Loop Header: Depth=1
	s_wait_xcnt 0x0
	s_mul_u64 s[14:15], s[6:7], s[28:29]
	s_delay_alu instid0(SALU_CYCLE_1) | instskip(NEXT) | instid1(SALU_CYCLE_1)
	s_lshl_b64 s[14:15], s[14:15], 3
	s_add_nc_u64 s[14:15], s[4:5], s[14:15]
	global_load_b64 v[14:15], v3, s[14:15]
	s_wait_loadcnt 0x0
	v_cmp_neq_f32_e32 vcc_lo, 0, v14
	v_cmp_neq_f32_e64 s2, 0, v15
	s_or_b32 s2, vcc_lo, s2
	s_delay_alu instid0(SALU_CYCLE_1)
	s_and_not1_b32 vcc_lo, exec_lo, s2
	s_cbranch_vccnz .LBB96_3
; %bb.5:                                ;   in Loop: Header=BB96_4 Depth=1
	ds_store_b64 v16, v[0:1]
	ds_store_b64 v17, v[0:1]
	s_wait_xcnt 0x0
	s_and_saveexec_b32 s2, s10
	s_cbranch_execnz .LBB96_10
; %bb.6:                                ;   in Loop: Header=BB96_4 Depth=1
	s_or_b32 exec_lo, exec_lo, s2
	s_and_saveexec_b32 s2, s11
	s_cbranch_execnz .LBB96_11
.LBB96_7:                               ;   in Loop: Header=BB96_4 Depth=1
	s_or_b32 exec_lo, exec_lo, s2
	s_and_saveexec_b32 s2, s8
	s_cbranch_execnz .LBB96_12
.LBB96_8:                               ;   in Loop: Header=BB96_4 Depth=1
	s_or_b32 exec_lo, exec_lo, s2
	s_delay_alu instid0(SALU_CYCLE_1)
	s_and_b32 vcc_lo, exec_lo, s9
	s_cbranch_vccz .LBB96_13
.LBB96_9:                               ;   in Loop: Header=BB96_4 Depth=1
	s_and_b32 s2, s0, exec_lo
	s_cbranch_execz .LBB96_14
	s_branch .LBB96_15
.LBB96_10:                              ;   in Loop: Header=BB96_4 Depth=1
	s_mul_u64 s[14:15], s[12:13], s[28:29]
	s_delay_alu instid0(SALU_CYCLE_1)
	v_lshl_add_u64 v[18:19], s[14:15], 3, v[6:7]
	global_load_b64 v[18:19], v[18:19], off
	s_wait_loadcnt 0x0
	ds_store_b64 v16, v[18:19]
	s_wait_xcnt 0x0
	s_or_b32 exec_lo, exec_lo, s2
	s_and_saveexec_b32 s2, s11
	s_cbranch_execz .LBB96_7
.LBB96_11:                              ;   in Loop: Header=BB96_4 Depth=1
	s_mul_u64 s[14:15], s[18:19], s[28:29]
	s_delay_alu instid0(SALU_CYCLE_1)
	v_lshl_add_u64 v[18:19], s[14:15], 3, v[8:9]
	global_load_b64 v[18:19], v[18:19], off
	s_wait_loadcnt 0x0
	ds_store_b64 v17, v[18:19]
	s_wait_xcnt 0x0
	s_or_b32 exec_lo, exec_lo, s2
	s_and_saveexec_b32 s2, s8
	s_cbranch_execz .LBB96_8
.LBB96_12:                              ;   in Loop: Header=BB96_4 Depth=1
	ds_store_b64 v16, v[12:13]
	s_or_b32 exec_lo, exec_lo, s2
	s_delay_alu instid0(SALU_CYCLE_1)
	s_and_b32 vcc_lo, exec_lo, s9
	s_cbranch_vccnz .LBB96_9
.LBB96_13:                              ;   in Loop: Header=BB96_4 Depth=1
	s_mov_b32 s2, 0
.LBB96_14:                              ;   in Loop: Header=BB96_4 Depth=1
	s_delay_alu instid0(SALU_CYCLE_1) | instskip(SKIP_1) | instid1(SALU_CYCLE_1)
	s_and_not1_b32 s2, s2, exec_lo
	s_and_b32 s14, s1, exec_lo
	s_or_b32 s2, s2, s14
.LBB96_15:                              ;   in Loop: Header=BB96_4 Depth=1
	s_delay_alu instid0(SALU_CYCLE_1)
	s_and_saveexec_b32 s14, s2
; %bb.16:                               ;   in Loop: Header=BB96_4 Depth=1
	ds_store_b64 v16, v[0:1]
; %bb.17:                               ;   in Loop: Header=BB96_4 Depth=1
	s_or_b32 exec_lo, exec_lo, s14
	s_wait_dscnt 0x0
	s_barrier_signal -1
	s_barrier_wait -1
	s_and_saveexec_b32 s2, s11
	s_cbranch_execz .LBB96_2
; %bb.18:                               ;   in Loop: Header=BB96_4 Depth=1
	ds_load_2addr_b64 v[18:21], v4 offset1:16
	ds_load_b128 v[22:25], v2
	ds_load_b128 v[26:29], v2 offset:16
	ds_load_2addr_b64 v[30:33], v4 offset0:32 offset1:48
	ds_load_2addr_b64 v[34:37], v4 offset0:64 offset1:80
	ds_load_b128 v[38:41], v2 offset:32
	ds_load_b128 v[42:45], v2 offset:48
	ds_load_2addr_b64 v[46:49], v4 offset0:96 offset1:112
	ds_load_2addr_b64 v[50:53], v4 offset0:128 offset1:144
	ds_load_b128 v[54:57], v2 offset:64
	s_mul_u64 s[14:15], s[30:31], s[28:29]
	s_wait_dscnt 0x8
	v_dual_mul_f32 v5, v22, v19 :: v_dual_mul_f32 v58, v24, v21
	v_dual_mul_f32 v19, v23, v19 :: v_dual_mul_f32 v21, v25, v21
	s_wait_dscnt 0x6
	s_delay_alu instid0(VALU_DEP_2) | instskip(NEXT) | instid1(VALU_DEP_2)
	v_dual_mul_f32 v59, v26, v31 :: v_dual_fmac_f32 v5, v23, v18
	v_dual_fmac_f32 v58, v25, v20 :: v_dual_fma_f32 v60, v22, v18, -v19
	s_delay_alu instid0(VALU_DEP_3) | instskip(NEXT) | instid1(VALU_DEP_3)
	v_dual_fma_f32 v61, v24, v20, -v21 :: v_dual_mul_f32 v22, v27, v31
	v_dual_fmac_f32 v59, v27, v30 :: v_dual_add_f32 v5, 0, v5
	v_dual_mul_f32 v62, v28, v33 :: v_dual_mul_f32 v23, v29, v33
	s_wait_dscnt 0x4
	s_delay_alu instid0(VALU_DEP_3) | instskip(NEXT) | instid1(VALU_DEP_3)
	v_dual_fma_f32 v63, v26, v30, -v22 :: v_dual_mul_f32 v65, v40, v37
	v_dual_add_f32 v5, v5, v58 :: v_dual_mul_f32 v58, v38, v35
	v_dual_mul_f32 v30, v39, v35 :: v_dual_mul_f32 v31, v41, v37
	v_add_f32_e32 v35, 0, v60
	ds_load_b128 v[18:21], v2 offset:80
	v_dual_fmac_f32 v62, v29, v32 :: v_dual_fma_f32 v64, v28, v32, -v23
	ds_load_2addr_b64 v[22:25], v4 offset0:160 offset1:176
	v_dual_add_f32 v5, v5, v59 :: v_dual_fmac_f32 v58, v39, v34
	v_dual_fma_f32 v59, v38, v34, -v30 :: v_dual_add_f32 v38, v35, v61
	s_wait_dscnt 0x4
	s_delay_alu instid0(VALU_DEP_2) | instskip(SKIP_1) | instid1(VALU_DEP_3)
	v_dual_mul_f32 v61, v42, v47 :: v_dual_add_f32 v5, v5, v62
	v_dual_fmac_f32 v65, v41, v36 :: v_dual_fma_f32 v60, v40, v36, -v31
	v_dual_add_f32 v38, v38, v63 :: v_dual_mul_f32 v62, v44, v49
	v_dual_mul_f32 v39, v43, v47 :: v_dual_mul_f32 v40, v45, v49
	s_delay_alu instid0(VALU_DEP_4) | instskip(NEXT) | instid1(VALU_DEP_3)
	v_add_f32_e32 v5, v5, v58
	v_dual_fmac_f32 v61, v43, v46 :: v_dual_fmac_f32 v62, v45, v48
	s_delay_alu instid0(VALU_DEP_4)
	v_add_f32_e32 v43, v38, v64
	ds_load_2addr_b64 v[26:29], v4 offset0:192 offset1:208
	v_add_f32_e32 v5, v5, v65
	ds_load_b128 v[30:33], v2 offset:96
	v_dual_fma_f32 v42, v42, v46, -v39 :: v_dual_fma_f32 v44, v44, v48, -v40
	v_dual_add_f32 v43, v43, v59 :: v_dual_add_f32 v5, v5, v61
	s_wait_dscnt 0x4
	v_dual_mul_f32 v45, v54, v51 :: v_dual_mul_f32 v46, v56, v53
	s_wait_dscnt 0x2
	s_delay_alu instid0(VALU_DEP_2) | instskip(SKIP_1) | instid1(VALU_DEP_3)
	v_dual_mul_f32 v47, v18, v23 :: v_dual_add_f32 v43, v43, v60
	v_dual_add_f32 v5, v5, v62 :: v_dual_mul_f32 v49, v55, v51
	v_dual_fmac_f32 v45, v55, v50 :: v_dual_mul_f32 v48, v20, v25
	s_delay_alu instid0(VALU_DEP_3)
	v_dual_add_f32 v42, v43, v42 :: v_dual_fmac_f32 v46, v57, v52
	ds_load_b128 v[34:37], v2 offset:112
	ds_load_2addr_b64 v[38:41], v4 offset0:224 offset1:240
	v_dual_add_f32 v5, v5, v45 :: v_dual_fma_f32 v45, v54, v50, -v49
	v_dual_mul_f32 v43, v57, v53 :: v_dual_add_f32 v42, v42, v44
	v_dual_fmac_f32 v47, v19, v22 :: v_dual_mul_f32 v19, v19, v23
	s_delay_alu instid0(VALU_DEP_2) | instskip(NEXT) | instid1(VALU_DEP_3)
	v_dual_add_f32 v5, v5, v46 :: v_dual_fma_f32 v23, v56, v52, -v43
	v_dual_add_f32 v42, v42, v45 :: v_dual_fmac_f32 v48, v21, v24
	s_wait_dscnt 0x2
	v_dual_mul_f32 v43, v30, v27 :: v_dual_mul_f32 v21, v21, v25
	s_delay_alu instid0(VALU_DEP_3) | instskip(NEXT) | instid1(VALU_DEP_2)
	v_dual_add_f32 v5, v5, v47 :: v_dual_fma_f32 v18, v18, v22, -v19
	v_dual_add_f32 v19, v42, v23 :: v_dual_fmac_f32 v43, v31, v26
	s_delay_alu instid0(VALU_DEP_2) | instskip(NEXT) | instid1(VALU_DEP_2)
	v_dual_mul_f32 v22, v32, v29 :: v_dual_add_f32 v5, v5, v48
	v_dual_add_f32 v18, v19, v18 :: v_dual_fma_f32 v19, v20, v24, -v21
	s_delay_alu instid0(VALU_DEP_2) | instskip(NEXT) | instid1(VALU_DEP_3)
	v_dual_mul_f32 v20, v31, v27 :: v_dual_fmac_f32 v22, v33, v28
	v_add_f32_e32 v5, v5, v43
	s_wait_dscnt 0x0
	v_mul_f32_e32 v21, v34, v39
	v_add_f32_e32 v18, v18, v19
	v_dual_fma_f32 v19, v30, v26, -v20 :: v_dual_mul_f32 v20, v33, v29
	v_add_f32_e32 v5, v5, v22
	s_delay_alu instid0(VALU_DEP_4) | instskip(SKIP_1) | instid1(VALU_DEP_4)
	v_fmac_f32_e32 v21, v35, v38
	v_lshl_add_u64 v[24:25], s[14:15], 3, v[10:11]
	v_dual_add_f32 v18, v18, v19 :: v_dual_fma_f32 v19, v32, v28, -v20
	v_dual_mul_f32 v20, v35, v39 :: v_dual_mul_f32 v22, v36, v41
	s_delay_alu instid0(VALU_DEP_2) | instskip(NEXT) | instid1(VALU_DEP_2)
	v_dual_add_f32 v5, v5, v21 :: v_dual_add_f32 v18, v18, v19
	v_dual_fma_f32 v19, v34, v38, -v20 :: v_dual_mul_f32 v20, v37, v41
	s_delay_alu instid0(VALU_DEP_1) | instskip(NEXT) | instid1(VALU_DEP_1)
	v_dual_fmac_f32 v22, v37, v40 :: v_dual_add_f32 v19, v18, v19
	v_dual_fma_f32 v20, v36, v40, -v20 :: v_dual_add_f32 v18, v5, v22
	s_delay_alu instid0(VALU_DEP_1) | instskip(NEXT) | instid1(VALU_DEP_2)
	v_add_f32_e32 v20, v19, v20
	v_pk_mul_f32 v[18:19], v[14:15], v[18:19] op_sel:[1,0] op_sel_hi:[0,0]
	s_delay_alu instid0(VALU_DEP_1) | instskip(SKIP_1) | instid1(VALU_DEP_2)
	v_pk_fma_f32 v[22:23], v[14:15], v[20:21], v[18:19] op_sel_hi:[1,0,1]
	v_pk_fma_f32 v[14:15], v[14:15], v[20:21], v[18:19] neg_lo:[0,0,1] neg_hi:[0,0,1]
	v_mov_b32_e32 v15, v23
	global_store_b64 v[24:25], v[14:15], off
	s_branch .LBB96_2
.LBB96_19:
	s_sendmsg sendmsg(MSG_DEALLOC_VGPRS)
	s_endpgm
	.section	.rodata,"a",@progbits
	.p2align	6, 0x0
	.amdhsa_kernel _ZL23rocblas_trmm_lNx_kernelILi16E19rocblas_complex_numIfEPKS1_S2_S1_Ev13rocblas_fill_17rocblas_diagonal_iiT1_lPT2_llS8_llPT3_lli
		.amdhsa_group_segment_fixed_size 4096
		.amdhsa_private_segment_fixed_size 0
		.amdhsa_kernarg_size 108
		.amdhsa_user_sgpr_count 2
		.amdhsa_user_sgpr_dispatch_ptr 0
		.amdhsa_user_sgpr_queue_ptr 0
		.amdhsa_user_sgpr_kernarg_segment_ptr 1
		.amdhsa_user_sgpr_dispatch_id 0
		.amdhsa_user_sgpr_kernarg_preload_length 0
		.amdhsa_user_sgpr_kernarg_preload_offset 0
		.amdhsa_user_sgpr_private_segment_size 0
		.amdhsa_wavefront_size32 1
		.amdhsa_uses_dynamic_stack 0
		.amdhsa_enable_private_segment 0
		.amdhsa_system_sgpr_workgroup_id_x 1
		.amdhsa_system_sgpr_workgroup_id_y 0
		.amdhsa_system_sgpr_workgroup_id_z 1
		.amdhsa_system_sgpr_workgroup_info 0
		.amdhsa_system_vgpr_workitem_id 1
		.amdhsa_next_free_vgpr 66
		.amdhsa_next_free_sgpr 35
		.amdhsa_named_barrier_count 0
		.amdhsa_reserve_vcc 1
		.amdhsa_float_round_mode_32 0
		.amdhsa_float_round_mode_16_64 0
		.amdhsa_float_denorm_mode_32 3
		.amdhsa_float_denorm_mode_16_64 3
		.amdhsa_fp16_overflow 0
		.amdhsa_memory_ordered 1
		.amdhsa_forward_progress 1
		.amdhsa_inst_pref_size 13
		.amdhsa_round_robin_scheduling 0
		.amdhsa_exception_fp_ieee_invalid_op 0
		.amdhsa_exception_fp_denorm_src 0
		.amdhsa_exception_fp_ieee_div_zero 0
		.amdhsa_exception_fp_ieee_overflow 0
		.amdhsa_exception_fp_ieee_underflow 0
		.amdhsa_exception_fp_ieee_inexact 0
		.amdhsa_exception_int_div_zero 0
	.end_amdhsa_kernel
	.section	.text._ZL23rocblas_trmm_lNx_kernelILi16E19rocblas_complex_numIfEPKS1_S2_S1_Ev13rocblas_fill_17rocblas_diagonal_iiT1_lPT2_llS8_llPT3_lli,"axG",@progbits,_ZL23rocblas_trmm_lNx_kernelILi16E19rocblas_complex_numIfEPKS1_S2_S1_Ev13rocblas_fill_17rocblas_diagonal_iiT1_lPT2_llS8_llPT3_lli,comdat
.Lfunc_end96:
	.size	_ZL23rocblas_trmm_lNx_kernelILi16E19rocblas_complex_numIfEPKS1_S2_S1_Ev13rocblas_fill_17rocblas_diagonal_iiT1_lPT2_llS8_llPT3_lli, .Lfunc_end96-_ZL23rocblas_trmm_lNx_kernelILi16E19rocblas_complex_numIfEPKS1_S2_S1_Ev13rocblas_fill_17rocblas_diagonal_iiT1_lPT2_llS8_llPT3_lli
                                        ; -- End function
	.set _ZL23rocblas_trmm_lNx_kernelILi16E19rocblas_complex_numIfEPKS1_S2_S1_Ev13rocblas_fill_17rocblas_diagonal_iiT1_lPT2_llS8_llPT3_lli.num_vgpr, 66
	.set _ZL23rocblas_trmm_lNx_kernelILi16E19rocblas_complex_numIfEPKS1_S2_S1_Ev13rocblas_fill_17rocblas_diagonal_iiT1_lPT2_llS8_llPT3_lli.num_agpr, 0
	.set _ZL23rocblas_trmm_lNx_kernelILi16E19rocblas_complex_numIfEPKS1_S2_S1_Ev13rocblas_fill_17rocblas_diagonal_iiT1_lPT2_llS8_llPT3_lli.numbered_sgpr, 35
	.set _ZL23rocblas_trmm_lNx_kernelILi16E19rocblas_complex_numIfEPKS1_S2_S1_Ev13rocblas_fill_17rocblas_diagonal_iiT1_lPT2_llS8_llPT3_lli.num_named_barrier, 0
	.set _ZL23rocblas_trmm_lNx_kernelILi16E19rocblas_complex_numIfEPKS1_S2_S1_Ev13rocblas_fill_17rocblas_diagonal_iiT1_lPT2_llS8_llPT3_lli.private_seg_size, 0
	.set _ZL23rocblas_trmm_lNx_kernelILi16E19rocblas_complex_numIfEPKS1_S2_S1_Ev13rocblas_fill_17rocblas_diagonal_iiT1_lPT2_llS8_llPT3_lli.uses_vcc, 1
	.set _ZL23rocblas_trmm_lNx_kernelILi16E19rocblas_complex_numIfEPKS1_S2_S1_Ev13rocblas_fill_17rocblas_diagonal_iiT1_lPT2_llS8_llPT3_lli.uses_flat_scratch, 0
	.set _ZL23rocblas_trmm_lNx_kernelILi16E19rocblas_complex_numIfEPKS1_S2_S1_Ev13rocblas_fill_17rocblas_diagonal_iiT1_lPT2_llS8_llPT3_lli.has_dyn_sized_stack, 0
	.set _ZL23rocblas_trmm_lNx_kernelILi16E19rocblas_complex_numIfEPKS1_S2_S1_Ev13rocblas_fill_17rocblas_diagonal_iiT1_lPT2_llS8_llPT3_lli.has_recursion, 0
	.set _ZL23rocblas_trmm_lNx_kernelILi16E19rocblas_complex_numIfEPKS1_S2_S1_Ev13rocblas_fill_17rocblas_diagonal_iiT1_lPT2_llS8_llPT3_lli.has_indirect_call, 0
	.section	.AMDGPU.csdata,"",@progbits
; Kernel info:
; codeLenInByte = 1584
; TotalNumSgprs: 37
; NumVgprs: 66
; ScratchSize: 0
; MemoryBound: 0
; FloatMode: 240
; IeeeMode: 1
; LDSByteSize: 4096 bytes/workgroup (compile time only)
; SGPRBlocks: 0
; VGPRBlocks: 4
; NumSGPRsForWavesPerEU: 37
; NumVGPRsForWavesPerEU: 66
; NamedBarCnt: 0
; Occupancy: 12
; WaveLimiterHint : 0
; COMPUTE_PGM_RSRC2:SCRATCH_EN: 0
; COMPUTE_PGM_RSRC2:USER_SGPR: 2
; COMPUTE_PGM_RSRC2:TRAP_HANDLER: 0
; COMPUTE_PGM_RSRC2:TGID_X_EN: 1
; COMPUTE_PGM_RSRC2:TGID_Y_EN: 0
; COMPUTE_PGM_RSRC2:TGID_Z_EN: 1
; COMPUTE_PGM_RSRC2:TIDIG_COMP_CNT: 1
	.section	.text._ZL23rocblas_trmm_lNx_kernelILi16E19rocblas_complex_numIfES1_KS1_S1_Ev13rocblas_fill_17rocblas_diagonal_iiT1_lPT2_llS7_llPT3_lli,"axG",@progbits,_ZL23rocblas_trmm_lNx_kernelILi16E19rocblas_complex_numIfES1_KS1_S1_Ev13rocblas_fill_17rocblas_diagonal_iiT1_lPT2_llS7_llPT3_lli,comdat
	.globl	_ZL23rocblas_trmm_lNx_kernelILi16E19rocblas_complex_numIfES1_KS1_S1_Ev13rocblas_fill_17rocblas_diagonal_iiT1_lPT2_llS7_llPT3_lli ; -- Begin function _ZL23rocblas_trmm_lNx_kernelILi16E19rocblas_complex_numIfES1_KS1_S1_Ev13rocblas_fill_17rocblas_diagonal_iiT1_lPT2_llS7_llPT3_lli
	.p2align	8
	.type	_ZL23rocblas_trmm_lNx_kernelILi16E19rocblas_complex_numIfES1_KS1_S1_Ev13rocblas_fill_17rocblas_diagonal_iiT1_lPT2_llS7_llPT3_lli,@function
_ZL23rocblas_trmm_lNx_kernelILi16E19rocblas_complex_numIfES1_KS1_S1_Ev13rocblas_fill_17rocblas_diagonal_iiT1_lPT2_llS7_llPT3_lli: ; @_ZL23rocblas_trmm_lNx_kernelILi16E19rocblas_complex_numIfES1_KS1_S1_Ev13rocblas_fill_17rocblas_diagonal_iiT1_lPT2_llS7_llPT3_lli
; %bb.0:
	s_load_b32 s30, s[0:1], 0x68
	s_bfe_u32 s2, ttmp6, 0x40014
	s_lshr_b32 s3, ttmp7, 16
	s_add_co_i32 s2, s2, 1
	s_bfe_u32 s5, ttmp6, 0x40008
	s_mul_i32 s4, s3, s2
	s_getreg_b32 s2, hwreg(HW_REG_IB_STS2, 6, 4)
	s_add_co_i32 s5, s5, s4
	s_cmp_eq_u32 s2, 0
	s_mov_b32 s25, 0
	s_cselect_b32 s24, s3, s5
	s_wait_kmcnt 0x0
	s_cmp_ge_u32 s24, s30
	s_cbranch_scc1 .LBB97_19
; %bb.1:
	s_clause 0x2
	s_load_b64 s[26:27], s[0:1], 0x10
	s_load_b512 s[4:19], s[0:1], 0x20
	s_load_b128 s[20:23], s[0:1], 0x0
	v_bfe_u32 v14, v0, 10, 10
	v_and_b32_e32 v8, 0x3ff, v0
	v_mov_b32_e32 v15, 0
	s_load_b64 s[28:29], s[0:1], 0x60
	v_mov_b64_e32 v[10:11], 0x3f800000
	s_delay_alu instid0(VALU_DEP_3) | instskip(NEXT) | instid1(VALU_DEP_3)
	v_dual_lshlrev_b32 v2, 4, v14 :: v_dual_lshlrev_b32 v0, 3, v8
	v_mov_b32_e32 v1, v15
	v_cmp_eq_u32_e32 vcc_lo, v14, v8
	s_wait_xcnt 0x0
	v_cmp_lt_u32_e64 s0, v8, v14
	v_add_lshl_u32 v12, v2, v8, 3
	v_cmp_gt_u32_e64 s1, v8, v14
	s_delay_alu instid0(VALU_DEP_2)
	v_add_nc_u32_e32 v13, 0x800, v12
	s_wait_kmcnt 0x0
	s_cmp_neq_f32 s26, 0
	v_mul_u64_e32 v[2:3], s[6:7], v[14:15]
	v_mul_u64_e32 v[4:5], s[12:13], v[14:15]
	;; [unrolled: 1-line block ×3, first 2 shown]
	s_cselect_b32 s3, -1, 0
	s_cmp_neq_f32 s27, 0
	s_cselect_b32 s6, -1, 0
	s_add_co_i32 s7, s23, -1
	s_or_b32 s6, s3, s6
	s_ashr_i32 s3, s7, 31
	s_bfe_u32 s33, ttmp6, 0x4000c
	s_lshr_b32 s3, s3, 28
	s_add_co_i32 s33, s33, 1
	s_add_co_i32 s7, s7, s3
	s_and_b32 s31, ttmp6, 15
	s_mul_i32 s33, ttmp9, s33
	s_and_b32 s3, s7, -16
	s_add_co_i32 s31, s31, s33
	s_ashr_i32 s7, s7, 4
	s_sub_co_i32 s23, s23, s3
	s_cmp_eq_u32 s2, 0
	v_cmp_gt_i32_e64 s2, s22, v14
	s_cselect_b32 s31, ttmp9, s31
	v_cmp_gt_i32_e64 s3, s22, v8
	s_cmp_ge_i32 s31, s7
	v_mov_b64_e32 v[8:9], 0
	s_cselect_b32 s33, s23, 16
	s_lshl_b32 s22, s31, 4
	s_and_b32 s7, s2, s3
	s_ashr_i32 s23, s22, 31
	v_cmp_gt_i32_e64 s2, s33, v14
	s_mul_u64 s[12:13], s[12:13], s[22:23]
	s_mul_u64 s[18:19], s[18:19], s[22:23]
	s_lshl_b64 s[12:13], s[12:13], 3
	s_lshl_b64 s[18:19], s[18:19], 3
	v_lshl_add_u64 v[2:3], v[2:3], 3, s[4:5]
	s_and_b32 s4, s3, s2
	s_add_nc_u64 s[2:3], s[10:11], s[12:13]
	s_add_nc_u64 s[10:11], s[16:17], s[18:19]
	v_lshl_add_u64 v[4:5], v[4:5], 3, s[2:3]
	v_lshl_add_u64 v[6:7], v[6:7], 3, s[10:11]
	s_cmp_eq_u32 s21, 0x84
	v_add_nc_u64_e32 v[2:3], v[2:3], v[0:1]
	s_cselect_b32 s2, -1, 0
	v_add_nc_u64_e32 v[4:5], v[4:5], v[0:1]
	v_add_nc_u64_e32 v[6:7], v[6:7], v[0:1]
	s_and_b32 s5, vcc_lo, s2
	v_lshl_add_u32 v1, v14, 7, 0x800
	s_cmp_lg_u32 s20, 0x79
	s_mov_b32 s2, s27
	s_cselect_b32 s10, -1, 0
	s_mov_b32 s3, s26
	s_branch .LBB97_4
.LBB97_2:                               ;   in Loop: Header=BB97_4 Depth=1
	s_wait_xcnt 0x0
	s_or_b32 exec_lo, exec_lo, s11
.LBB97_3:                               ;   in Loop: Header=BB97_4 Depth=1
	s_add_co_i32 s24, s24, 0x10000
	s_delay_alu instid0(SALU_CYCLE_1)
	s_cmp_lt_u32 s24, s30
	s_cbranch_scc0 .LBB97_19
.LBB97_4:                               ; =>This Inner Loop Header: Depth=1
	s_and_not1_b32 vcc_lo, exec_lo, s6
	s_cbranch_vccnz .LBB97_3
; %bb.5:                                ;   in Loop: Header=BB97_4 Depth=1
	ds_store_b64 v12, v[8:9]
	ds_store_b64 v13, v[8:9]
	s_and_saveexec_b32 s11, s7
	s_cbranch_execnz .LBB97_10
; %bb.6:                                ;   in Loop: Header=BB97_4 Depth=1
	s_or_b32 exec_lo, exec_lo, s11
	s_and_saveexec_b32 s11, s4
	s_cbranch_execnz .LBB97_11
.LBB97_7:                               ;   in Loop: Header=BB97_4 Depth=1
	s_or_b32 exec_lo, exec_lo, s11
	s_and_saveexec_b32 s11, s5
	s_cbranch_execnz .LBB97_12
.LBB97_8:                               ;   in Loop: Header=BB97_4 Depth=1
	s_or_b32 exec_lo, exec_lo, s11
	s_delay_alu instid0(SALU_CYCLE_1)
	s_and_b32 vcc_lo, exec_lo, s10
	s_cbranch_vccz .LBB97_13
.LBB97_9:                               ;   in Loop: Header=BB97_4 Depth=1
	s_and_b32 s11, s0, exec_lo
	s_cbranch_execz .LBB97_14
	s_branch .LBB97_15
.LBB97_10:                              ;   in Loop: Header=BB97_4 Depth=1
	s_mul_u64 s[12:13], s[8:9], s[24:25]
	s_delay_alu instid0(SALU_CYCLE_1)
	v_lshl_add_u64 v[14:15], s[12:13], 3, v[2:3]
	global_load_b64 v[14:15], v[14:15], off
	s_wait_loadcnt 0x0
	ds_store_b64 v12, v[14:15]
	s_wait_xcnt 0x0
	s_or_b32 exec_lo, exec_lo, s11
	s_and_saveexec_b32 s11, s4
	s_cbranch_execz .LBB97_7
.LBB97_11:                              ;   in Loop: Header=BB97_4 Depth=1
	s_mul_u64 s[12:13], s[14:15], s[24:25]
	s_delay_alu instid0(SALU_CYCLE_1)
	v_lshl_add_u64 v[14:15], s[12:13], 3, v[4:5]
	global_load_b64 v[14:15], v[14:15], off
	s_wait_loadcnt 0x0
	ds_store_b64 v13, v[14:15]
	s_wait_xcnt 0x0
	s_or_b32 exec_lo, exec_lo, s11
	s_and_saveexec_b32 s11, s5
	s_cbranch_execz .LBB97_8
.LBB97_12:                              ;   in Loop: Header=BB97_4 Depth=1
	ds_store_b64 v12, v[10:11]
	s_or_b32 exec_lo, exec_lo, s11
	s_delay_alu instid0(SALU_CYCLE_1)
	s_and_b32 vcc_lo, exec_lo, s10
	s_cbranch_vccnz .LBB97_9
.LBB97_13:                              ;   in Loop: Header=BB97_4 Depth=1
	s_mov_b32 s11, 0
.LBB97_14:                              ;   in Loop: Header=BB97_4 Depth=1
	s_delay_alu instid0(SALU_CYCLE_1) | instskip(SKIP_1) | instid1(SALU_CYCLE_1)
	s_and_not1_b32 s11, s11, exec_lo
	s_and_b32 s12, s1, exec_lo
	s_or_b32 s11, s11, s12
.LBB97_15:                              ;   in Loop: Header=BB97_4 Depth=1
	s_delay_alu instid0(SALU_CYCLE_1)
	s_and_saveexec_b32 s12, s11
; %bb.16:                               ;   in Loop: Header=BB97_4 Depth=1
	ds_store_b64 v12, v[8:9]
; %bb.17:                               ;   in Loop: Header=BB97_4 Depth=1
	s_or_b32 exec_lo, exec_lo, s12
	s_wait_dscnt 0x0
	s_barrier_signal -1
	s_barrier_wait -1
	s_and_saveexec_b32 s11, s4
	s_cbranch_execz .LBB97_2
; %bb.18:                               ;   in Loop: Header=BB97_4 Depth=1
	ds_load_2addr_b64 v[14:17], v0 offset1:16
	ds_load_b128 v[18:21], v1
	ds_load_b128 v[22:25], v1 offset:16
	ds_load_2addr_b64 v[26:29], v0 offset0:32 offset1:48
	ds_load_b128 v[30:33], v1 offset:32
	ds_load_b128 v[34:37], v1 offset:48
	ds_load_2addr_b64 v[38:41], v0 offset0:64 offset1:80
	ds_load_2addr_b64 v[42:45], v0 offset0:96 offset1:112
	;; [unrolled: 1-line block ×3, first 2 shown]
	ds_load_b128 v[50:53], v1 offset:64
	ds_load_b128 v[54:57], v1 offset:80
	s_mul_u64 s[12:13], s[28:29], s[24:25]
	s_wait_dscnt 0x9
	v_dual_mul_f32 v58, v18, v15 :: v_dual_mul_f32 v59, v20, v17
	v_dual_mul_f32 v15, v19, v15 :: v_dual_mul_f32 v17, v21, v17
	s_wait_dscnt 0x7
	v_dual_mul_f32 v62, v22, v27 :: v_dual_mul_f32 v63, v24, v29
	s_delay_alu instid0(VALU_DEP_3) | instskip(NEXT) | instid1(VALU_DEP_3)
	v_dual_fmac_f32 v58, v19, v14 :: v_dual_fmac_f32 v59, v21, v16
	v_dual_fma_f32 v60, v18, v14, -v15 :: v_dual_fma_f32 v61, v20, v16, -v17
	v_dual_mul_f32 v18, v23, v27 :: v_dual_mul_f32 v19, v25, v29
	s_delay_alu instid0(VALU_DEP_4) | instskip(SKIP_2) | instid1(VALU_DEP_3)
	v_dual_fmac_f32 v62, v23, v26 :: v_dual_fmac_f32 v63, v25, v28
	s_wait_dscnt 0x4
	v_dual_mul_f32 v66, v32, v41 :: v_dual_mul_f32 v23, v31, v39
	v_dual_fma_f32 v64, v22, v26, -v18 :: v_dual_fma_f32 v65, v24, v28, -v19
	v_dual_add_f32 v22, 0, v58 :: v_dual_mul_f32 v58, v30, v39
	v_dual_add_f32 v25, 0, v60 :: v_dual_mul_f32 v24, v33, v41
	ds_load_2addr_b64 v[14:17], v0 offset0:160 offset1:176
	v_dual_add_f32 v22, v22, v59 :: v_dual_fmac_f32 v58, v31, v38
	v_dual_fmac_f32 v66, v33, v40 :: v_dual_fma_f32 v38, v30, v38, -v23
	s_delay_alu instid0(VALU_DEP_2)
	v_dual_add_f32 v30, v25, v61 :: v_dual_add_f32 v26, v22, v62
	s_wait_dscnt 0x4
	v_dual_fma_f32 v39, v32, v40, -v24 :: v_dual_mul_f32 v59, v34, v43
	s_wait_dscnt 0x2
	v_dual_mul_f32 v60, v50, v47 :: v_dual_mul_f32 v61, v52, v49
	v_add_f32_e32 v40, v26, v63
	v_add_f32_e32 v41, v30, v64
	ds_load_2addr_b64 v[18:21], v0 offset0:192 offset1:208
	ds_load_b128 v[22:25], v1 offset:96
	ds_load_b128 v[26:29], v1 offset:112
	v_dual_add_f32 v40, v40, v58 :: v_dual_add_f32 v41, v41, v65
	v_dual_mul_f32 v58, v36, v45 :: v_dual_fmac_f32 v59, v35, v42
	s_delay_alu instid0(VALU_DEP_2) | instskip(NEXT) | instid1(VALU_DEP_3)
	v_dual_mul_f32 v35, v35, v43 :: v_dual_add_f32 v40, v40, v66
	v_add_f32_e32 v38, v41, v38
	s_wait_dscnt 0x3
	s_delay_alu instid0(VALU_DEP_3) | instskip(NEXT) | instid1(VALU_DEP_3)
	v_dual_fmac_f32 v58, v37, v44 :: v_dual_mul_f32 v41, v54, v15
	v_dual_mul_f32 v37, v37, v45 :: v_dual_add_f32 v40, v40, v59
	s_delay_alu instid0(VALU_DEP_3) | instskip(SKIP_1) | instid1(VALU_DEP_3)
	v_add_f32_e32 v38, v38, v39
	v_dual_fma_f32 v34, v34, v42, -v35 :: v_dual_mul_f32 v39, v56, v17
	v_dual_fmac_f32 v60, v51, v46 :: v_dual_fma_f32 v36, v36, v44, -v37
	s_delay_alu instid0(VALU_DEP_4) | instskip(NEXT) | instid1(VALU_DEP_3)
	v_dual_add_f32 v35, v40, v58 :: v_dual_mul_f32 v37, v51, v47
	v_dual_add_f32 v34, v38, v34 :: v_dual_fmac_f32 v61, v53, v48
	ds_load_2addr_b64 v[30:33], v0 offset0:224 offset1:240
	v_dual_add_f32 v35, v35, v60 :: v_dual_mul_f32 v38, v53, v49
	v_fma_f32 v37, v50, v46, -v37
	v_dual_add_f32 v34, v34, v36 :: v_dual_fmac_f32 v41, v55, v14
	s_delay_alu instid0(VALU_DEP_3) | instskip(NEXT) | instid1(VALU_DEP_4)
	v_add_f32_e32 v35, v35, v61
	v_dual_mul_f32 v15, v55, v15 :: v_dual_fma_f32 v36, v52, v48, -v38
	s_delay_alu instid0(VALU_DEP_3) | instskip(SKIP_1) | instid1(VALU_DEP_3)
	v_dual_add_f32 v34, v34, v37 :: v_dual_fmac_f32 v39, v57, v16
	s_wait_dscnt 0x2
	v_dual_add_f32 v35, v35, v41 :: v_dual_mul_f32 v37, v22, v19
	s_delay_alu instid0(VALU_DEP_3) | instskip(NEXT) | instid1(VALU_DEP_2)
	v_dual_fma_f32 v14, v54, v14, -v15 :: v_dual_mul_f32 v17, v57, v17
	v_dual_add_f32 v15, v34, v36 :: v_dual_add_f32 v34, v35, v39
	s_delay_alu instid0(VALU_DEP_3) | instskip(NEXT) | instid1(VALU_DEP_2)
	v_dual_fmac_f32 v37, v23, v18 :: v_dual_mul_f32 v35, v24, v21
	v_dual_add_f32 v14, v15, v14 :: v_dual_fma_f32 v15, v56, v16, -v17
	s_delay_alu instid0(VALU_DEP_2) | instskip(SKIP_1) | instid1(VALU_DEP_3)
	v_dual_mul_f32 v16, v23, v19 :: v_dual_add_f32 v17, v34, v37
	s_wait_dscnt 0x0
	v_dual_fmac_f32 v35, v25, v20 :: v_dual_mul_f32 v19, v26, v31
	s_delay_alu instid0(VALU_DEP_3) | instskip(NEXT) | instid1(VALU_DEP_3)
	v_add_f32_e32 v14, v14, v15
	v_dual_fma_f32 v15, v22, v18, -v16 :: v_dual_mul_f32 v16, v25, v21
	s_delay_alu instid0(VALU_DEP_3) | instskip(NEXT) | instid1(VALU_DEP_2)
	v_dual_add_f32 v17, v17, v35 :: v_dual_fmac_f32 v19, v27, v30
	v_dual_mul_f32 v18, v28, v33 :: v_dual_add_f32 v14, v14, v15
	s_delay_alu instid0(VALU_DEP_3) | instskip(SKIP_1) | instid1(VALU_DEP_3)
	v_dual_fma_f32 v15, v24, v20, -v16 :: v_dual_mul_f32 v16, v27, v31
	v_lshl_add_u64 v[22:23], s[12:13], 3, v[6:7]
	v_fmac_f32_e32 v18, v29, v32
	v_add_f32_e32 v17, v17, v19
	s_delay_alu instid0(VALU_DEP_4) | instskip(SKIP_1) | instid1(VALU_DEP_2)
	v_dual_add_f32 v15, v14, v15 :: v_dual_mul_f32 v19, v29, v33
	v_fma_f32 v16, v26, v30, -v16
	v_dual_add_f32 v14, v17, v18 :: v_dual_fma_f32 v18, v28, v32, -v19
	s_delay_alu instid0(VALU_DEP_2) | instskip(SKIP_1) | instid1(VALU_DEP_2)
	v_add_f32_e32 v15, v15, v16
	v_mov_b64_e32 v[16:17], s[2:3]
	v_add_f32_e32 v18, v15, v18
	s_delay_alu instid0(VALU_DEP_2) | instskip(SKIP_1) | instid1(VALU_DEP_1)
	v_pk_mul_f32 v[14:15], v[16:17], v[14:15] op_sel_hi:[1,0]
	v_mov_b64_e32 v[16:17], s[26:27]
	v_pk_fma_f32 v[20:21], v[16:17], v[18:19], v[14:15] op_sel_hi:[1,0,1]
	v_pk_fma_f32 v[14:15], v[16:17], v[18:19], v[14:15] neg_lo:[0,0,1] neg_hi:[0,0,1]
	s_delay_alu instid0(VALU_DEP_2)
	v_mov_b32_e32 v15, v21
	global_store_b64 v[22:23], v[14:15], off
	s_branch .LBB97_2
.LBB97_19:
	s_sendmsg sendmsg(MSG_DEALLOC_VGPRS)
	s_endpgm
	.section	.rodata,"a",@progbits
	.p2align	6, 0x0
	.amdhsa_kernel _ZL23rocblas_trmm_lNx_kernelILi16E19rocblas_complex_numIfES1_KS1_S1_Ev13rocblas_fill_17rocblas_diagonal_iiT1_lPT2_llS7_llPT3_lli
		.amdhsa_group_segment_fixed_size 4096
		.amdhsa_private_segment_fixed_size 0
		.amdhsa_kernarg_size 108
		.amdhsa_user_sgpr_count 2
		.amdhsa_user_sgpr_dispatch_ptr 0
		.amdhsa_user_sgpr_queue_ptr 0
		.amdhsa_user_sgpr_kernarg_segment_ptr 1
		.amdhsa_user_sgpr_dispatch_id 0
		.amdhsa_user_sgpr_kernarg_preload_length 0
		.amdhsa_user_sgpr_kernarg_preload_offset 0
		.amdhsa_user_sgpr_private_segment_size 0
		.amdhsa_wavefront_size32 1
		.amdhsa_uses_dynamic_stack 0
		.amdhsa_enable_private_segment 0
		.amdhsa_system_sgpr_workgroup_id_x 1
		.amdhsa_system_sgpr_workgroup_id_y 0
		.amdhsa_system_sgpr_workgroup_id_z 1
		.amdhsa_system_sgpr_workgroup_info 0
		.amdhsa_system_vgpr_workitem_id 1
		.amdhsa_next_free_vgpr 67
		.amdhsa_next_free_sgpr 34
		.amdhsa_named_barrier_count 0
		.amdhsa_reserve_vcc 1
		.amdhsa_float_round_mode_32 0
		.amdhsa_float_round_mode_16_64 0
		.amdhsa_float_denorm_mode_32 3
		.amdhsa_float_denorm_mode_16_64 3
		.amdhsa_fp16_overflow 0
		.amdhsa_memory_ordered 1
		.amdhsa_forward_progress 1
		.amdhsa_inst_pref_size 13
		.amdhsa_round_robin_scheduling 0
		.amdhsa_exception_fp_ieee_invalid_op 0
		.amdhsa_exception_fp_denorm_src 0
		.amdhsa_exception_fp_ieee_div_zero 0
		.amdhsa_exception_fp_ieee_overflow 0
		.amdhsa_exception_fp_ieee_underflow 0
		.amdhsa_exception_fp_ieee_inexact 0
		.amdhsa_exception_int_div_zero 0
	.end_amdhsa_kernel
	.section	.text._ZL23rocblas_trmm_lNx_kernelILi16E19rocblas_complex_numIfES1_KS1_S1_Ev13rocblas_fill_17rocblas_diagonal_iiT1_lPT2_llS7_llPT3_lli,"axG",@progbits,_ZL23rocblas_trmm_lNx_kernelILi16E19rocblas_complex_numIfES1_KS1_S1_Ev13rocblas_fill_17rocblas_diagonal_iiT1_lPT2_llS7_llPT3_lli,comdat
.Lfunc_end97:
	.size	_ZL23rocblas_trmm_lNx_kernelILi16E19rocblas_complex_numIfES1_KS1_S1_Ev13rocblas_fill_17rocblas_diagonal_iiT1_lPT2_llS7_llPT3_lli, .Lfunc_end97-_ZL23rocblas_trmm_lNx_kernelILi16E19rocblas_complex_numIfES1_KS1_S1_Ev13rocblas_fill_17rocblas_diagonal_iiT1_lPT2_llS7_llPT3_lli
                                        ; -- End function
	.set _ZL23rocblas_trmm_lNx_kernelILi16E19rocblas_complex_numIfES1_KS1_S1_Ev13rocblas_fill_17rocblas_diagonal_iiT1_lPT2_llS7_llPT3_lli.num_vgpr, 67
	.set _ZL23rocblas_trmm_lNx_kernelILi16E19rocblas_complex_numIfES1_KS1_S1_Ev13rocblas_fill_17rocblas_diagonal_iiT1_lPT2_llS7_llPT3_lli.num_agpr, 0
	.set _ZL23rocblas_trmm_lNx_kernelILi16E19rocblas_complex_numIfES1_KS1_S1_Ev13rocblas_fill_17rocblas_diagonal_iiT1_lPT2_llS7_llPT3_lli.numbered_sgpr, 34
	.set _ZL23rocblas_trmm_lNx_kernelILi16E19rocblas_complex_numIfES1_KS1_S1_Ev13rocblas_fill_17rocblas_diagonal_iiT1_lPT2_llS7_llPT3_lli.num_named_barrier, 0
	.set _ZL23rocblas_trmm_lNx_kernelILi16E19rocblas_complex_numIfES1_KS1_S1_Ev13rocblas_fill_17rocblas_diagonal_iiT1_lPT2_llS7_llPT3_lli.private_seg_size, 0
	.set _ZL23rocblas_trmm_lNx_kernelILi16E19rocblas_complex_numIfES1_KS1_S1_Ev13rocblas_fill_17rocblas_diagonal_iiT1_lPT2_llS7_llPT3_lli.uses_vcc, 1
	.set _ZL23rocblas_trmm_lNx_kernelILi16E19rocblas_complex_numIfES1_KS1_S1_Ev13rocblas_fill_17rocblas_diagonal_iiT1_lPT2_llS7_llPT3_lli.uses_flat_scratch, 0
	.set _ZL23rocblas_trmm_lNx_kernelILi16E19rocblas_complex_numIfES1_KS1_S1_Ev13rocblas_fill_17rocblas_diagonal_iiT1_lPT2_llS7_llPT3_lli.has_dyn_sized_stack, 0
	.set _ZL23rocblas_trmm_lNx_kernelILi16E19rocblas_complex_numIfES1_KS1_S1_Ev13rocblas_fill_17rocblas_diagonal_iiT1_lPT2_llS7_llPT3_lli.has_recursion, 0
	.set _ZL23rocblas_trmm_lNx_kernelILi16E19rocblas_complex_numIfES1_KS1_S1_Ev13rocblas_fill_17rocblas_diagonal_iiT1_lPT2_llS7_llPT3_lli.has_indirect_call, 0
	.section	.AMDGPU.csdata,"",@progbits
; Kernel info:
; codeLenInByte = 1556
; TotalNumSgprs: 36
; NumVgprs: 67
; ScratchSize: 0
; MemoryBound: 0
; FloatMode: 240
; IeeeMode: 1
; LDSByteSize: 4096 bytes/workgroup (compile time only)
; SGPRBlocks: 0
; VGPRBlocks: 4
; NumSGPRsForWavesPerEU: 36
; NumVGPRsForWavesPerEU: 67
; NamedBarCnt: 0
; Occupancy: 12
; WaveLimiterHint : 0
; COMPUTE_PGM_RSRC2:SCRATCH_EN: 0
; COMPUTE_PGM_RSRC2:USER_SGPR: 2
; COMPUTE_PGM_RSRC2:TRAP_HANDLER: 0
; COMPUTE_PGM_RSRC2:TGID_X_EN: 1
; COMPUTE_PGM_RSRC2:TGID_Y_EN: 0
; COMPUTE_PGM_RSRC2:TGID_Z_EN: 1
; COMPUTE_PGM_RSRC2:TIDIG_COMP_CNT: 1
	.section	.text._ZL23rocblas_trmm_lTx_kernelILi16ELb0E19rocblas_complex_numIfEPKS1_S2_S1_Ev13rocblas_fill_17rocblas_diagonal_iiT2_lPT3_llS8_llPT4_lli,"axG",@progbits,_ZL23rocblas_trmm_lTx_kernelILi16ELb0E19rocblas_complex_numIfEPKS1_S2_S1_Ev13rocblas_fill_17rocblas_diagonal_iiT2_lPT3_llS8_llPT4_lli,comdat
	.globl	_ZL23rocblas_trmm_lTx_kernelILi16ELb0E19rocblas_complex_numIfEPKS1_S2_S1_Ev13rocblas_fill_17rocblas_diagonal_iiT2_lPT3_llS8_llPT4_lli ; -- Begin function _ZL23rocblas_trmm_lTx_kernelILi16ELb0E19rocblas_complex_numIfEPKS1_S2_S1_Ev13rocblas_fill_17rocblas_diagonal_iiT2_lPT3_llS8_llPT4_lli
	.p2align	8
	.type	_ZL23rocblas_trmm_lTx_kernelILi16ELb0E19rocblas_complex_numIfEPKS1_S2_S1_Ev13rocblas_fill_17rocblas_diagonal_iiT2_lPT3_llS8_llPT4_lli,@function
_ZL23rocblas_trmm_lTx_kernelILi16ELb0E19rocblas_complex_numIfEPKS1_S2_S1_Ev13rocblas_fill_17rocblas_diagonal_iiT2_lPT3_llS8_llPT4_lli: ; @_ZL23rocblas_trmm_lTx_kernelILi16ELb0E19rocblas_complex_numIfEPKS1_S2_S1_Ev13rocblas_fill_17rocblas_diagonal_iiT2_lPT3_llS8_llPT4_lli
; %bb.0:
	s_load_b32 s33, s[0:1], 0x68
	s_bfe_u32 s2, ttmp6, 0x40014
	s_lshr_b32 s3, ttmp7, 16
	s_add_co_i32 s2, s2, 1
	s_bfe_u32 s5, ttmp6, 0x40008
	s_mul_i32 s4, s3, s2
	s_getreg_b32 s2, hwreg(HW_REG_IB_STS2, 6, 4)
	s_add_co_i32 s5, s5, s4
	s_cmp_eq_u32 s2, 0
	s_mov_b32 s29, 0
	s_cselect_b32 s28, s3, s5
	s_wait_kmcnt 0x0
	s_cmp_ge_u32 s28, s33
	s_cbranch_scc1 .LBB98_19
; %bb.1:
	s_clause 0x3
	s_load_b128 s[20:23], s[0:1], 0x0
	s_load_b512 s[4:19], s[0:1], 0x10
	s_load_b128 s[24:27], s[0:1], 0x50
	s_load_b64 s[30:31], s[0:1], 0x60
	v_bfe_u32 v2, v0, 10, 10
	v_mov_b32_e32 v3, 0
	s_wait_xcnt 0x0
	s_bfe_u32 s0, ttmp6, 0x4000c
	s_and_b32 s3, ttmp6, 15
	s_add_co_i32 s0, s0, 1
	v_lshlrev_b32_e32 v12, 3, v2
	s_mul_i32 s34, ttmp9, s0
	v_and_b32_e32 v10, 0x3ff, v0
	s_add_co_i32 s3, s3, s34
	v_dual_lshlrev_b32 v11, 4, v2 :: v_dual_mov_b32 v1, v3
	s_delay_alu instid0(VALU_DEP_2) | instskip(SKIP_1) | instid1(VALU_DEP_3)
	v_dual_lshlrev_b32 v0, 3, v10 :: v_dual_lshlrev_b32 v13, 7, v10
	v_cmp_eq_u32_e32 vcc_lo, v2, v10
	v_add_lshl_u32 v14, v11, v10, 3
	s_wait_kmcnt 0x0
	s_add_co_i32 s35, s23, -1
	v_mul_u64_e32 v[4:5], s[10:11], v[2:3]
	v_mul_u64_e32 v[6:7], s[16:17], v[2:3]
	;; [unrolled: 1-line block ×3, first 2 shown]
	s_ashr_i32 s1, s35, 31
	v_cmp_lt_u32_e64 s0, v10, v2
	s_lshr_b32 s10, s1, 28
	v_cmp_gt_u32_e64 s1, v10, v2
	s_add_co_i32 s35, s35, s10
	v_add_nc_u32_e32 v15, 0x800, v14
	s_and_b32 s10, s35, -16
	s_ashr_i32 s11, s35, 4
	s_sub_co_i32 s10, s23, s10
	s_cmp_eq_u32 s2, 0
	v_cmp_gt_i32_e64 s2, s22, v2
	s_cselect_b32 s23, ttmp9, s3
	v_cmp_gt_i32_e64 s3, s22, v10
	s_cmp_ge_i32 s23, s11
	v_mov_b64_e32 v[10:11], 0
	s_cselect_b32 s11, s10, 16
	s_lshl_b32 s22, s23, 4
	s_and_b32 s10, s2, s3
	s_ashr_i32 s23, s22, 31
	v_cmp_gt_i32_e64 s2, s11, v2
	s_mul_u64 s[16:17], s[16:17], s[22:23]
	s_mul_u64 s[22:23], s[26:27], s[22:23]
	s_lshl_b64 s[16:17], s[16:17], 3
	s_lshl_b64 s[22:23], s[22:23], 3
	s_add_nc_u64 s[14:15], s[14:15], s[16:17]
	s_add_nc_u64 s[16:17], s[24:25], s[22:23]
	s_and_b32 s3, s3, s2
	s_cmp_eq_u32 s21, 0x84
	s_cselect_b32 s2, -1, 0
	v_lshl_add_u64 v[4:5], v[4:5], 3, s[8:9]
	v_lshl_add_u64 v[6:7], v[6:7], 3, s[14:15]
	;; [unrolled: 1-line block ×3, first 2 shown]
	s_and_b32 s8, vcc_lo, s2
	s_cmp_lg_u32 s20, 0x7a
	v_add_nc_u64_e32 v[4:5], v[4:5], v[0:1]
	v_add_nc_u64_e32 v[6:7], v[6:7], v[0:1]
	;; [unrolled: 1-line block ×3, first 2 shown]
	v_lshl_add_u32 v1, v2, 7, 0x800
	v_add_nc_u32_e32 v2, v12, v13
	s_cselect_b32 s9, -1, 0
	s_branch .LBB98_4
.LBB98_2:                               ;   in Loop: Header=BB98_4 Depth=1
	s_wait_xcnt 0x0
	s_or_b32 exec_lo, exec_lo, s2
.LBB98_3:                               ;   in Loop: Header=BB98_4 Depth=1
	s_add_co_i32 s28, s28, 0x10000
	s_delay_alu instid0(SALU_CYCLE_1)
	s_cmp_lt_u32 s28, s33
	s_cbranch_scc0 .LBB98_19
.LBB98_4:                               ; =>This Inner Loop Header: Depth=1
	s_wait_xcnt 0x0
	s_mul_u64 s[14:15], s[6:7], s[28:29]
	s_delay_alu instid0(SALU_CYCLE_1) | instskip(NEXT) | instid1(SALU_CYCLE_1)
	s_lshl_b64 s[14:15], s[14:15], 3
	s_add_nc_u64 s[14:15], s[4:5], s[14:15]
	global_load_b64 v[12:13], v3, s[14:15]
	s_wait_loadcnt 0x0
	v_cmp_neq_f32_e32 vcc_lo, 0, v12
	v_cmp_neq_f32_e64 s2, 0, v13
	s_or_b32 s2, vcc_lo, s2
	s_delay_alu instid0(SALU_CYCLE_1)
	s_and_not1_b32 vcc_lo, exec_lo, s2
	s_cbranch_vccnz .LBB98_3
; %bb.5:                                ;   in Loop: Header=BB98_4 Depth=1
	ds_store_b64 v14, v[10:11]
	ds_store_b64 v15, v[10:11]
	s_wait_dscnt 0x0
	s_barrier_signal -1
	s_barrier_wait -1
	s_wait_xcnt 0x0
	s_and_saveexec_b32 s2, s10
	s_cbranch_execnz .LBB98_11
; %bb.6:                                ;   in Loop: Header=BB98_4 Depth=1
	s_or_b32 exec_lo, exec_lo, s2
	s_and_saveexec_b32 s2, s3
	s_cbranch_execnz .LBB98_12
.LBB98_7:                               ;   in Loop: Header=BB98_4 Depth=1
	s_or_b32 exec_lo, exec_lo, s2
	s_and_saveexec_b32 s2, s8
.LBB98_8:                               ;   in Loop: Header=BB98_4 Depth=1
	v_mov_b64_e32 v[16:17], 0x3f800000
	ds_store_b64 v14, v[16:17]
.LBB98_9:                               ;   in Loop: Header=BB98_4 Depth=1
	s_or_b32 exec_lo, exec_lo, s2
	s_delay_alu instid0(SALU_CYCLE_1)
	s_and_b32 vcc_lo, exec_lo, s9
	s_wait_dscnt 0x0
	s_barrier_signal -1
	s_barrier_wait -1
	s_cbranch_vccz .LBB98_13
; %bb.10:                               ;   in Loop: Header=BB98_4 Depth=1
	s_and_b32 s2, s0, exec_lo
	s_cbranch_execz .LBB98_14
	s_branch .LBB98_15
.LBB98_11:                              ;   in Loop: Header=BB98_4 Depth=1
	s_mul_u64 s[14:15], s[12:13], s[28:29]
	s_delay_alu instid0(SALU_CYCLE_1)
	v_lshl_add_u64 v[16:17], s[14:15], 3, v[4:5]
	global_load_b64 v[16:17], v[16:17], off
	s_wait_loadcnt 0x0
	ds_store_b64 v2, v[16:17]
	s_wait_xcnt 0x0
	s_or_b32 exec_lo, exec_lo, s2
	s_and_saveexec_b32 s2, s3
	s_cbranch_execz .LBB98_7
.LBB98_12:                              ;   in Loop: Header=BB98_4 Depth=1
	s_mul_u64 s[14:15], s[18:19], s[28:29]
	s_delay_alu instid0(SALU_CYCLE_1)
	v_lshl_add_u64 v[16:17], s[14:15], 3, v[6:7]
	global_load_b64 v[16:17], v[16:17], off
	s_wait_loadcnt 0x0
	ds_store_b64 v15, v[16:17]
	s_wait_xcnt 0x0
	s_or_b32 exec_lo, exec_lo, s2
	s_and_saveexec_b32 s2, s8
	s_cbranch_execnz .LBB98_8
	s_branch .LBB98_9
.LBB98_13:                              ;   in Loop: Header=BB98_4 Depth=1
	s_mov_b32 s2, 0
.LBB98_14:                              ;   in Loop: Header=BB98_4 Depth=1
	s_delay_alu instid0(SALU_CYCLE_1) | instskip(SKIP_1) | instid1(SALU_CYCLE_1)
	s_and_not1_b32 s2, s2, exec_lo
	s_and_b32 s11, s1, exec_lo
	s_or_b32 s2, s2, s11
.LBB98_15:                              ;   in Loop: Header=BB98_4 Depth=1
	s_delay_alu instid0(SALU_CYCLE_1)
	s_and_saveexec_b32 s11, s2
; %bb.16:                               ;   in Loop: Header=BB98_4 Depth=1
	ds_store_b64 v14, v[10:11]
; %bb.17:                               ;   in Loop: Header=BB98_4 Depth=1
	s_or_b32 exec_lo, exec_lo, s11
	s_wait_dscnt 0x0
	s_barrier_signal -1
	s_barrier_wait -1
	s_and_saveexec_b32 s2, s3
	s_cbranch_execz .LBB98_2
; %bb.18:                               ;   in Loop: Header=BB98_4 Depth=1
	ds_load_2addr_b64 v[16:19], v0 offset1:16
	ds_load_b128 v[20:23], v1
	ds_load_b128 v[24:27], v1 offset:16
	ds_load_2addr_b64 v[28:31], v0 offset0:32 offset1:48
	ds_load_2addr_b64 v[32:35], v0 offset0:64 offset1:80
	ds_load_b128 v[36:39], v1 offset:32
	ds_load_b128 v[40:43], v1 offset:48
	ds_load_2addr_b64 v[44:47], v0 offset0:96 offset1:112
	ds_load_2addr_b64 v[48:51], v0 offset0:128 offset1:144
	ds_load_b128 v[52:55], v1 offset:64
	s_mul_u64 s[14:15], s[30:31], s[28:29]
	s_wait_dscnt 0x8
	v_dual_mul_f32 v56, v20, v17 :: v_dual_mul_f32 v57, v22, v19
	v_dual_mul_f32 v17, v21, v17 :: v_dual_mul_f32 v19, v23, v19
	s_wait_dscnt 0x6
	s_delay_alu instid0(VALU_DEP_2) | instskip(NEXT) | instid1(VALU_DEP_3)
	v_dual_mul_f32 v58, v24, v29 :: v_dual_fmac_f32 v56, v21, v16
	v_fmac_f32_e32 v57, v23, v18
	s_delay_alu instid0(VALU_DEP_3) | instskip(SKIP_1) | instid1(VALU_DEP_4)
	v_dual_fma_f32 v59, v20, v16, -v17 :: v_dual_mul_f32 v61, v26, v31
	v_dual_mul_f32 v20, v25, v29 :: v_dual_mul_f32 v21, v27, v31
	v_fmac_f32_e32 v58, v25, v28
	v_dual_add_f32 v25, 0, v56 :: v_dual_fma_f32 v60, v22, v18, -v19
	s_delay_alu instid0(VALU_DEP_4) | instskip(NEXT) | instid1(VALU_DEP_4)
	v_fmac_f32_e32 v61, v27, v30
	v_dual_fma_f32 v62, v26, v30, -v21 :: v_dual_fma_f32 v56, v24, v28, -v20
	s_delay_alu instid0(VALU_DEP_3)
	v_add_f32_e32 v28, v25, v57
	s_wait_dscnt 0x4
	v_dual_mul_f32 v57, v36, v33 :: v_dual_mul_f32 v63, v38, v35
	v_dual_mul_f32 v29, v37, v33 :: v_dual_add_f32 v33, 0, v59
	ds_load_b128 v[16:19], v1 offset:80
	ds_load_2addr_b64 v[20:23], v0 offset0:160 offset1:176
	v_dual_add_f32 v58, v28, v58 :: v_dual_mul_f32 v28, v39, v35
	v_dual_fmac_f32 v57, v37, v32 :: v_dual_fmac_f32 v63, v39, v34
	v_fma_f32 v59, v36, v32, -v29
	s_delay_alu instid0(VALU_DEP_3) | instskip(SKIP_2) | instid1(VALU_DEP_2)
	v_dual_add_f32 v36, v33, v60 :: v_dual_add_f32 v37, v58, v61
	s_wait_dscnt 0x4
	v_dual_mul_f32 v58, v40, v45 :: v_dual_mul_f32 v60, v42, v47
	v_dual_fma_f32 v64, v38, v34, -v28 :: v_dual_add_f32 v36, v36, v56
	v_mul_f32_e32 v38, v41, v45
	v_dual_add_f32 v37, v37, v57 :: v_dual_mul_f32 v39, v43, v47
	s_delay_alu instid0(VALU_DEP_4) | instskip(NEXT) | instid1(VALU_DEP_2)
	v_dual_fmac_f32 v58, v41, v44 :: v_dual_fmac_f32 v60, v43, v46
	v_dual_add_f32 v41, v36, v62 :: v_dual_add_f32 v43, v37, v63
	ds_load_2addr_b64 v[24:27], v0 offset0:192 offset1:208
	ds_load_b128 v[28:31], v1 offset:96
	v_dual_fma_f32 v40, v40, v44, -v38 :: v_dual_fma_f32 v42, v42, v46, -v39
	s_wait_dscnt 0x4
	v_dual_add_f32 v41, v41, v59 :: v_dual_mul_f32 v44, v52, v49
	v_dual_add_f32 v43, v43, v58 :: v_dual_mul_f32 v45, v54, v51
	s_wait_dscnt 0x2
	s_delay_alu instid0(VALU_DEP_2) | instskip(NEXT) | instid1(VALU_DEP_3)
	v_dual_mul_f32 v46, v16, v21 :: v_dual_add_f32 v41, v41, v64
	v_dual_fmac_f32 v44, v53, v48 :: v_dual_mul_f32 v47, v18, v23
	s_delay_alu instid0(VALU_DEP_3) | instskip(NEXT) | instid1(VALU_DEP_3)
	v_dual_add_f32 v43, v43, v60 :: v_dual_mul_f32 v49, v53, v49
	v_dual_add_f32 v40, v41, v40 :: v_dual_fmac_f32 v45, v55, v50
	ds_load_b128 v[32:35], v1 offset:112
	ds_load_2addr_b64 v[36:39], v0 offset0:224 offset1:240
	v_dual_add_f32 v41, v43, v44 :: v_dual_add_f32 v40, v40, v42
	v_dual_mul_f32 v43, v55, v51 :: v_dual_fma_f32 v44, v52, v48, -v49
	v_dual_fmac_f32 v46, v17, v20 :: v_dual_mul_f32 v17, v17, v21
	s_delay_alu instid0(VALU_DEP_2) | instskip(NEXT) | instid1(VALU_DEP_3)
	v_dual_add_f32 v41, v41, v45 :: v_dual_fma_f32 v21, v54, v50, -v43
	v_dual_add_f32 v40, v40, v44 :: v_dual_fmac_f32 v47, v19, v22
	s_wait_dscnt 0x2
	s_delay_alu instid0(VALU_DEP_2) | instskip(SKIP_1) | instid1(VALU_DEP_2)
	v_dual_mul_f32 v42, v28, v25 :: v_dual_add_f32 v41, v41, v46
	v_dual_fma_f32 v16, v16, v20, -v17 :: v_dual_mul_f32 v19, v19, v23
	v_dual_add_f32 v17, v40, v21 :: v_dual_fmac_f32 v42, v29, v24
	v_mul_f32_e32 v21, v30, v27
	s_delay_alu instid0(VALU_DEP_4) | instskip(NEXT) | instid1(VALU_DEP_3)
	v_add_f32_e32 v20, v41, v47
	v_dual_add_f32 v16, v17, v16 :: v_dual_fma_f32 v17, v18, v22, -v19
	s_delay_alu instid0(VALU_DEP_2) | instskip(SKIP_2) | instid1(VALU_DEP_3)
	v_dual_mul_f32 v18, v29, v25 :: v_dual_add_f32 v19, v20, v42
	s_wait_dscnt 0x0
	v_dual_fmac_f32 v21, v31, v26 :: v_dual_mul_f32 v20, v32, v37
	v_add_f32_e32 v16, v16, v17
	s_delay_alu instid0(VALU_DEP_3) | instskip(NEXT) | instid1(VALU_DEP_3)
	v_dual_fma_f32 v17, v28, v24, -v18 :: v_dual_mul_f32 v18, v31, v27
	v_dual_add_f32 v19, v19, v21 :: v_dual_fmac_f32 v20, v33, v36
	v_lshl_add_u64 v[22:23], s[14:15], 3, v[8:9]
	s_delay_alu instid0(VALU_DEP_3) | instskip(SKIP_1) | instid1(VALU_DEP_2)
	v_dual_add_f32 v16, v16, v17 :: v_dual_fma_f32 v17, v30, v26, -v18
	v_dual_mul_f32 v18, v33, v37 :: v_dual_mul_f32 v21, v34, v39
	v_dual_add_f32 v19, v19, v20 :: v_dual_add_f32 v16, v16, v17
	s_delay_alu instid0(VALU_DEP_2) | instskip(NEXT) | instid1(VALU_DEP_1)
	v_dual_fma_f32 v17, v32, v36, -v18 :: v_dual_fmac_f32 v21, v35, v38
	v_dual_mul_f32 v18, v35, v39 :: v_dual_add_f32 v17, v16, v17
	s_delay_alu instid0(VALU_DEP_1) | instskip(NEXT) | instid1(VALU_DEP_1)
	v_dual_fma_f32 v18, v34, v38, -v18 :: v_dual_add_f32 v16, v19, v21
	v_add_f32_e32 v18, v17, v18
	s_delay_alu instid0(VALU_DEP_2) | instskip(NEXT) | instid1(VALU_DEP_1)
	v_pk_mul_f32 v[16:17], v[12:13], v[16:17] op_sel:[1,0] op_sel_hi:[0,0]
	v_pk_fma_f32 v[20:21], v[12:13], v[18:19], v[16:17] op_sel_hi:[1,0,1]
	v_pk_fma_f32 v[12:13], v[12:13], v[18:19], v[16:17] neg_lo:[0,0,1] neg_hi:[0,0,1]
	s_delay_alu instid0(VALU_DEP_2)
	v_mov_b32_e32 v13, v21
	global_store_b64 v[22:23], v[12:13], off
	s_branch .LBB98_2
.LBB98_19:
	s_sendmsg sendmsg(MSG_DEALLOC_VGPRS)
	s_endpgm
	.section	.rodata,"a",@progbits
	.p2align	6, 0x0
	.amdhsa_kernel _ZL23rocblas_trmm_lTx_kernelILi16ELb0E19rocblas_complex_numIfEPKS1_S2_S1_Ev13rocblas_fill_17rocblas_diagonal_iiT2_lPT3_llS8_llPT4_lli
		.amdhsa_group_segment_fixed_size 4096
		.amdhsa_private_segment_fixed_size 0
		.amdhsa_kernarg_size 108
		.amdhsa_user_sgpr_count 2
		.amdhsa_user_sgpr_dispatch_ptr 0
		.amdhsa_user_sgpr_queue_ptr 0
		.amdhsa_user_sgpr_kernarg_segment_ptr 1
		.amdhsa_user_sgpr_dispatch_id 0
		.amdhsa_user_sgpr_kernarg_preload_length 0
		.amdhsa_user_sgpr_kernarg_preload_offset 0
		.amdhsa_user_sgpr_private_segment_size 0
		.amdhsa_wavefront_size32 1
		.amdhsa_uses_dynamic_stack 0
		.amdhsa_enable_private_segment 0
		.amdhsa_system_sgpr_workgroup_id_x 1
		.amdhsa_system_sgpr_workgroup_id_y 0
		.amdhsa_system_sgpr_workgroup_id_z 1
		.amdhsa_system_sgpr_workgroup_info 0
		.amdhsa_system_vgpr_workitem_id 1
		.amdhsa_next_free_vgpr 65
		.amdhsa_next_free_sgpr 36
		.amdhsa_named_barrier_count 0
		.amdhsa_reserve_vcc 1
		.amdhsa_float_round_mode_32 0
		.amdhsa_float_round_mode_16_64 0
		.amdhsa_float_denorm_mode_32 3
		.amdhsa_float_denorm_mode_16_64 3
		.amdhsa_fp16_overflow 0
		.amdhsa_memory_ordered 1
		.amdhsa_forward_progress 1
		.amdhsa_inst_pref_size 13
		.amdhsa_round_robin_scheduling 0
		.amdhsa_exception_fp_ieee_invalid_op 0
		.amdhsa_exception_fp_denorm_src 0
		.amdhsa_exception_fp_ieee_div_zero 0
		.amdhsa_exception_fp_ieee_overflow 0
		.amdhsa_exception_fp_ieee_underflow 0
		.amdhsa_exception_fp_ieee_inexact 0
		.amdhsa_exception_int_div_zero 0
	.end_amdhsa_kernel
	.section	.text._ZL23rocblas_trmm_lTx_kernelILi16ELb0E19rocblas_complex_numIfEPKS1_S2_S1_Ev13rocblas_fill_17rocblas_diagonal_iiT2_lPT3_llS8_llPT4_lli,"axG",@progbits,_ZL23rocblas_trmm_lTx_kernelILi16ELb0E19rocblas_complex_numIfEPKS1_S2_S1_Ev13rocblas_fill_17rocblas_diagonal_iiT2_lPT3_llS8_llPT4_lli,comdat
.Lfunc_end98:
	.size	_ZL23rocblas_trmm_lTx_kernelILi16ELb0E19rocblas_complex_numIfEPKS1_S2_S1_Ev13rocblas_fill_17rocblas_diagonal_iiT2_lPT3_llS8_llPT4_lli, .Lfunc_end98-_ZL23rocblas_trmm_lTx_kernelILi16ELb0E19rocblas_complex_numIfEPKS1_S2_S1_Ev13rocblas_fill_17rocblas_diagonal_iiT2_lPT3_llS8_llPT4_lli
                                        ; -- End function
	.set _ZL23rocblas_trmm_lTx_kernelILi16ELb0E19rocblas_complex_numIfEPKS1_S2_S1_Ev13rocblas_fill_17rocblas_diagonal_iiT2_lPT3_llS8_llPT4_lli.num_vgpr, 65
	.set _ZL23rocblas_trmm_lTx_kernelILi16ELb0E19rocblas_complex_numIfEPKS1_S2_S1_Ev13rocblas_fill_17rocblas_diagonal_iiT2_lPT3_llS8_llPT4_lli.num_agpr, 0
	.set _ZL23rocblas_trmm_lTx_kernelILi16ELb0E19rocblas_complex_numIfEPKS1_S2_S1_Ev13rocblas_fill_17rocblas_diagonal_iiT2_lPT3_llS8_llPT4_lli.numbered_sgpr, 36
	.set _ZL23rocblas_trmm_lTx_kernelILi16ELb0E19rocblas_complex_numIfEPKS1_S2_S1_Ev13rocblas_fill_17rocblas_diagonal_iiT2_lPT3_llS8_llPT4_lli.num_named_barrier, 0
	.set _ZL23rocblas_trmm_lTx_kernelILi16ELb0E19rocblas_complex_numIfEPKS1_S2_S1_Ev13rocblas_fill_17rocblas_diagonal_iiT2_lPT3_llS8_llPT4_lli.private_seg_size, 0
	.set _ZL23rocblas_trmm_lTx_kernelILi16ELb0E19rocblas_complex_numIfEPKS1_S2_S1_Ev13rocblas_fill_17rocblas_diagonal_iiT2_lPT3_llS8_llPT4_lli.uses_vcc, 1
	.set _ZL23rocblas_trmm_lTx_kernelILi16ELb0E19rocblas_complex_numIfEPKS1_S2_S1_Ev13rocblas_fill_17rocblas_diagonal_iiT2_lPT3_llS8_llPT4_lli.uses_flat_scratch, 0
	.set _ZL23rocblas_trmm_lTx_kernelILi16ELb0E19rocblas_complex_numIfEPKS1_S2_S1_Ev13rocblas_fill_17rocblas_diagonal_iiT2_lPT3_llS8_llPT4_lli.has_dyn_sized_stack, 0
	.set _ZL23rocblas_trmm_lTx_kernelILi16ELb0E19rocblas_complex_numIfEPKS1_S2_S1_Ev13rocblas_fill_17rocblas_diagonal_iiT2_lPT3_llS8_llPT4_lli.has_recursion, 0
	.set _ZL23rocblas_trmm_lTx_kernelILi16ELb0E19rocblas_complex_numIfEPKS1_S2_S1_Ev13rocblas_fill_17rocblas_diagonal_iiT2_lPT3_llS8_llPT4_lli.has_indirect_call, 0
	.section	.AMDGPU.csdata,"",@progbits
; Kernel info:
; codeLenInByte = 1600
; TotalNumSgprs: 38
; NumVgprs: 65
; ScratchSize: 0
; MemoryBound: 0
; FloatMode: 240
; IeeeMode: 1
; LDSByteSize: 4096 bytes/workgroup (compile time only)
; SGPRBlocks: 0
; VGPRBlocks: 4
; NumSGPRsForWavesPerEU: 38
; NumVGPRsForWavesPerEU: 65
; NamedBarCnt: 0
; Occupancy: 12
; WaveLimiterHint : 0
; COMPUTE_PGM_RSRC2:SCRATCH_EN: 0
; COMPUTE_PGM_RSRC2:USER_SGPR: 2
; COMPUTE_PGM_RSRC2:TRAP_HANDLER: 0
; COMPUTE_PGM_RSRC2:TGID_X_EN: 1
; COMPUTE_PGM_RSRC2:TGID_Y_EN: 0
; COMPUTE_PGM_RSRC2:TGID_Z_EN: 1
; COMPUTE_PGM_RSRC2:TIDIG_COMP_CNT: 1
	.section	.text._ZL23rocblas_trmm_lTx_kernelILi16ELb0E19rocblas_complex_numIfES1_KS1_S1_Ev13rocblas_fill_17rocblas_diagonal_iiT2_lPT3_llS7_llPT4_lli,"axG",@progbits,_ZL23rocblas_trmm_lTx_kernelILi16ELb0E19rocblas_complex_numIfES1_KS1_S1_Ev13rocblas_fill_17rocblas_diagonal_iiT2_lPT3_llS7_llPT4_lli,comdat
	.globl	_ZL23rocblas_trmm_lTx_kernelILi16ELb0E19rocblas_complex_numIfES1_KS1_S1_Ev13rocblas_fill_17rocblas_diagonal_iiT2_lPT3_llS7_llPT4_lli ; -- Begin function _ZL23rocblas_trmm_lTx_kernelILi16ELb0E19rocblas_complex_numIfES1_KS1_S1_Ev13rocblas_fill_17rocblas_diagonal_iiT2_lPT3_llS7_llPT4_lli
	.p2align	8
	.type	_ZL23rocblas_trmm_lTx_kernelILi16ELb0E19rocblas_complex_numIfES1_KS1_S1_Ev13rocblas_fill_17rocblas_diagonal_iiT2_lPT3_llS7_llPT4_lli,@function
_ZL23rocblas_trmm_lTx_kernelILi16ELb0E19rocblas_complex_numIfES1_KS1_S1_Ev13rocblas_fill_17rocblas_diagonal_iiT2_lPT3_llS7_llPT4_lli: ; @_ZL23rocblas_trmm_lTx_kernelILi16ELb0E19rocblas_complex_numIfES1_KS1_S1_Ev13rocblas_fill_17rocblas_diagonal_iiT2_lPT3_llS7_llPT4_lli
; %bb.0:
	s_load_b32 s28, s[0:1], 0x68
	s_bfe_u32 s2, ttmp6, 0x40014
	s_lshr_b32 s3, ttmp7, 16
	s_add_co_i32 s2, s2, 1
	s_bfe_u32 s4, ttmp6, 0x40008
	s_mul_i32 s2, s3, s2
	s_getreg_b32 s29, hwreg(HW_REG_IB_STS2, 6, 4)
	s_add_co_i32 s4, s4, s2
	s_cmp_eq_u32 s29, 0
	s_cselect_b32 s2, s3, s4
	s_mov_b32 s3, 0
	s_wait_kmcnt 0x0
	s_cmp_ge_u32 s2, s28
	s_cbranch_scc1 .LBB99_19
; %bb.1:
	s_clause 0x2
	s_load_b64 s[24:25], s[0:1], 0x10
	s_load_b512 s[4:19], s[0:1], 0x20
	s_load_b128 s[20:23], s[0:1], 0x0
	v_bfe_u32 v6, v0, 10, 10
	v_and_b32_e32 v12, 0x3ff, v0
	v_mov_b32_e32 v7, 0
	s_load_b64 s[26:27], s[0:1], 0x60
	s_delay_alu instid0(VALU_DEP_2) | instskip(NEXT) | instid1(VALU_DEP_2)
	v_dual_lshlrev_b32 v2, 4, v6 :: v_dual_lshlrev_b32 v0, 3, v12
	v_dual_lshlrev_b32 v13, 3, v6 :: v_dual_mov_b32 v1, v7
	v_lshlrev_b32_e32 v14, 7, v12
	s_delay_alu instid0(VALU_DEP_3) | instskip(SKIP_1) | instid1(VALU_DEP_2)
	v_add_lshl_u32 v10, v2, v12, 3
	v_cmp_eq_u32_e32 vcc_lo, v6, v12
	v_add_nc_u32_e32 v11, 0x800, v10
	s_wait_kmcnt 0x0
	s_cmp_neq_f32 s24, 0
	v_mul_u64_e32 v[2:3], s[6:7], v[6:7]
	v_mul_u64_e32 v[4:5], s[12:13], v[6:7]
	v_mul_u64_e32 v[8:9], s[18:19], v[6:7]
	s_cselect_b32 s0, -1, 0
	s_cmp_neq_f32 s25, 0
	s_cselect_b32 s1, -1, 0
	s_add_co_i32 s7, s23, -1
	s_or_b32 s6, s0, s1
	s_ashr_i32 s0, s7, 31
	s_bfe_u32 s31, ttmp6, 0x4000c
	s_lshr_b32 s0, s0, 28
	s_add_co_i32 s31, s31, 1
	s_add_co_i32 s7, s7, s0
	s_and_b32 s30, ttmp6, 15
	s_mul_i32 s1, ttmp9, s31
	s_and_b32 s0, s7, -16
	s_add_co_i32 s30, s30, s1
	s_ashr_i32 s7, s7, 4
	s_sub_co_i32 s23, s23, s0
	s_cmp_eq_u32 s29, 0
	v_cmp_gt_i32_e64 s0, s22, v6
	s_cselect_b32 s29, ttmp9, s30
	v_cmp_gt_i32_e64 s1, s22, v12
	s_cmp_ge_i32 s29, s7
	s_cselect_b32 s30, s23, 16
	s_lshl_b32 s22, s29, 4
	s_and_b32 s7, s0, s1
	s_ashr_i32 s23, s22, 31
	v_cmp_gt_i32_e64 s0, s30, v6
	s_mul_u64 s[12:13], s[12:13], s[22:23]
	s_mul_u64 s[18:19], s[18:19], s[22:23]
	s_lshl_b64 s[22:23], s[12:13], 3
	s_lshl_b64 s[18:19], s[18:19], 3
	v_lshl_add_u64 v[2:3], v[2:3], 3, s[4:5]
	s_and_b32 s12, s1, s0
	s_add_nc_u64 s[0:1], s[10:11], s[22:23]
	s_add_nc_u64 s[4:5], s[16:17], s[18:19]
	v_lshl_add_u64 v[4:5], v[4:5], 3, s[0:1]
	v_lshl_add_u64 v[8:9], v[8:9], 3, s[4:5]
	s_cmp_eq_u32 s21, 0x84
	v_add_nc_u64_e32 v[2:3], v[2:3], v[0:1]
	s_cselect_b32 s0, -1, 0
	v_add_nc_u64_e32 v[4:5], v[4:5], v[0:1]
	s_and_b32 s10, vcc_lo, s0
	v_cmp_lt_u32_e64 s0, v12, v6
	v_cmp_gt_u32_e64 s1, v12, v6
	v_lshl_add_u32 v12, v6, 7, 0x800
	v_add_nc_u64_e32 v[6:7], v[8:9], v[0:1]
	v_mov_b64_e32 v[8:9], 0
	v_add_nc_u32_e32 v1, v13, v14
	s_cmp_lg_u32 s20, 0x7a
	s_mov_b32 s4, s25
	s_cselect_b32 s11, -1, 0
	s_mov_b32 s5, s24
	s_branch .LBB99_4
.LBB99_2:                               ;   in Loop: Header=BB99_4 Depth=1
	s_wait_xcnt 0x0
	s_or_b32 exec_lo, exec_lo, s13
.LBB99_3:                               ;   in Loop: Header=BB99_4 Depth=1
	s_add_co_i32 s2, s2, 0x10000
	s_delay_alu instid0(SALU_CYCLE_1)
	s_cmp_lt_u32 s2, s28
	s_cbranch_scc0 .LBB99_19
.LBB99_4:                               ; =>This Inner Loop Header: Depth=1
	s_and_not1_b32 vcc_lo, exec_lo, s6
	s_cbranch_vccnz .LBB99_3
; %bb.5:                                ;   in Loop: Header=BB99_4 Depth=1
	ds_store_b64 v10, v[8:9]
	ds_store_b64 v11, v[8:9]
	s_wait_dscnt 0x0
	s_barrier_signal -1
	s_barrier_wait -1
	s_and_saveexec_b32 s13, s7
	s_cbranch_execnz .LBB99_11
; %bb.6:                                ;   in Loop: Header=BB99_4 Depth=1
	s_or_b32 exec_lo, exec_lo, s13
	s_and_saveexec_b32 s13, s12
	s_cbranch_execnz .LBB99_12
.LBB99_7:                               ;   in Loop: Header=BB99_4 Depth=1
	s_or_b32 exec_lo, exec_lo, s13
	s_and_saveexec_b32 s13, s10
.LBB99_8:                               ;   in Loop: Header=BB99_4 Depth=1
	v_mov_b64_e32 v[14:15], 0x3f800000
	ds_store_b64 v10, v[14:15]
.LBB99_9:                               ;   in Loop: Header=BB99_4 Depth=1
	s_or_b32 exec_lo, exec_lo, s13
	s_delay_alu instid0(SALU_CYCLE_1)
	s_and_b32 vcc_lo, exec_lo, s11
	s_wait_dscnt 0x0
	s_barrier_signal -1
	s_barrier_wait -1
	s_cbranch_vccz .LBB99_13
; %bb.10:                               ;   in Loop: Header=BB99_4 Depth=1
	s_and_b32 s13, s0, exec_lo
	s_cbranch_execz .LBB99_14
	s_branch .LBB99_15
.LBB99_11:                              ;   in Loop: Header=BB99_4 Depth=1
	s_mul_u64 s[16:17], s[8:9], s[2:3]
	s_delay_alu instid0(SALU_CYCLE_1)
	v_lshl_add_u64 v[14:15], s[16:17], 3, v[2:3]
	global_load_b64 v[14:15], v[14:15], off
	s_wait_loadcnt 0x0
	ds_store_b64 v1, v[14:15]
	s_wait_xcnt 0x0
	s_or_b32 exec_lo, exec_lo, s13
	s_and_saveexec_b32 s13, s12
	s_cbranch_execz .LBB99_7
.LBB99_12:                              ;   in Loop: Header=BB99_4 Depth=1
	s_mul_u64 s[16:17], s[14:15], s[2:3]
	s_delay_alu instid0(SALU_CYCLE_1)
	v_lshl_add_u64 v[14:15], s[16:17], 3, v[4:5]
	global_load_b64 v[14:15], v[14:15], off
	s_wait_loadcnt 0x0
	ds_store_b64 v11, v[14:15]
	s_wait_xcnt 0x0
	s_or_b32 exec_lo, exec_lo, s13
	s_and_saveexec_b32 s13, s10
	s_cbranch_execnz .LBB99_8
	s_branch .LBB99_9
.LBB99_13:                              ;   in Loop: Header=BB99_4 Depth=1
	s_mov_b32 s13, 0
.LBB99_14:                              ;   in Loop: Header=BB99_4 Depth=1
	s_delay_alu instid0(SALU_CYCLE_1) | instskip(SKIP_1) | instid1(SALU_CYCLE_1)
	s_and_not1_b32 s13, s13, exec_lo
	s_and_b32 s16, s1, exec_lo
	s_or_b32 s13, s13, s16
.LBB99_15:                              ;   in Loop: Header=BB99_4 Depth=1
	s_delay_alu instid0(SALU_CYCLE_1)
	s_and_saveexec_b32 s16, s13
; %bb.16:                               ;   in Loop: Header=BB99_4 Depth=1
	ds_store_b64 v10, v[8:9]
; %bb.17:                               ;   in Loop: Header=BB99_4 Depth=1
	s_or_b32 exec_lo, exec_lo, s16
	s_wait_dscnt 0x0
	s_barrier_signal -1
	s_barrier_wait -1
	s_and_saveexec_b32 s13, s12
	s_cbranch_execz .LBB99_2
; %bb.18:                               ;   in Loop: Header=BB99_4 Depth=1
	ds_load_2addr_b64 v[14:17], v0 offset1:16
	ds_load_b128 v[18:21], v12
	ds_load_b128 v[22:25], v12 offset:16
	ds_load_2addr_b64 v[26:29], v0 offset0:32 offset1:48
	ds_load_b128 v[30:33], v12 offset:32
	ds_load_b128 v[34:37], v12 offset:48
	ds_load_2addr_b64 v[38:41], v0 offset0:64 offset1:80
	ds_load_2addr_b64 v[42:45], v0 offset0:96 offset1:112
	;; [unrolled: 1-line block ×3, first 2 shown]
	ds_load_b128 v[50:53], v12 offset:64
	ds_load_b128 v[54:57], v12 offset:80
	s_mul_u64 s[16:17], s[26:27], s[2:3]
	s_wait_dscnt 0x9
	v_dual_mul_f32 v13, v18, v15 :: v_dual_mul_f32 v58, v20, v17
	v_dual_mul_f32 v15, v19, v15 :: v_dual_mul_f32 v17, v21, v17
	s_wait_dscnt 0x7
	v_dual_mul_f32 v61, v22, v27 :: v_dual_mul_f32 v62, v24, v29
	s_delay_alu instid0(VALU_DEP_3) | instskip(NEXT) | instid1(VALU_DEP_3)
	v_dual_fmac_f32 v13, v19, v14 :: v_dual_fmac_f32 v58, v21, v16
	v_dual_fma_f32 v59, v18, v14, -v15 :: v_dual_fma_f32 v60, v20, v16, -v17
	v_dual_mul_f32 v18, v23, v27 :: v_dual_mul_f32 v19, v25, v29
	s_wait_dscnt 0x4
	s_delay_alu instid0(VALU_DEP_3) | instskip(SKIP_1) | instid1(VALU_DEP_3)
	v_dual_add_f32 v13, 0, v13 :: v_dual_mul_f32 v65, v30, v39
	v_dual_fmac_f32 v61, v23, v26 :: v_dual_fmac_f32 v62, v25, v28
	v_dual_fma_f32 v63, v22, v26, -v18 :: v_dual_fma_f32 v64, v24, v28, -v19
	v_dual_mul_f32 v66, v32, v41 :: v_dual_mul_f32 v22, v31, v39
	s_delay_alu instid0(VALU_DEP_4) | instskip(SKIP_1) | instid1(VALU_DEP_2)
	v_dual_add_f32 v13, v13, v58 :: v_dual_add_f32 v24, 0, v59
	v_dual_mul_f32 v23, v33, v41 :: v_dual_fmac_f32 v65, v31, v38
	v_dual_fma_f32 v38, v30, v38, -v22 :: v_dual_add_f32 v13, v13, v61
	s_delay_alu instid0(VALU_DEP_3)
	v_add_f32_e32 v30, v24, v60
	ds_load_2addr_b64 v[14:17], v0 offset0:160 offset1:176
	v_dual_fmac_f32 v66, v33, v40 :: v_dual_fma_f32 v39, v32, v40, -v23
	v_dual_add_f32 v13, v13, v62 :: v_dual_add_f32 v40, v30, v63
	s_wait_dscnt 0x4
	v_dual_mul_f32 v41, v34, v43 :: v_dual_mul_f32 v58, v36, v45
	s_wait_dscnt 0x2
	s_delay_alu instid0(VALU_DEP_2) | instskip(NEXT) | instid1(VALU_DEP_2)
	v_dual_mul_f32 v59, v50, v47 :: v_dual_add_f32 v13, v13, v65
	v_dual_add_f32 v40, v40, v64 :: v_dual_fmac_f32 v41, v35, v42
	v_dual_mul_f32 v60, v52, v49 :: v_dual_mul_f32 v35, v35, v43
	s_delay_alu instid0(VALU_DEP_3) | instskip(NEXT) | instid1(VALU_DEP_3)
	v_add_f32_e32 v13, v13, v66
	v_dual_add_f32 v38, v40, v38 :: v_dual_fmac_f32 v58, v37, v44
	ds_load_2addr_b64 v[18:21], v0 offset0:192 offset1:208
	ds_load_b128 v[22:25], v12 offset:96
	v_dual_add_f32 v13, v13, v41 :: v_dual_add_f32 v38, v38, v39
	v_dual_mul_f32 v37, v37, v45 :: v_dual_fma_f32 v34, v34, v42, -v35
	s_wait_dscnt 0x2
	v_dual_mul_f32 v35, v56, v17 :: v_dual_mul_f32 v40, v54, v15
	s_delay_alu instid0(VALU_DEP_2)
	v_dual_add_f32 v13, v13, v58 :: v_dual_fma_f32 v36, v36, v44, -v37
	v_dual_fmac_f32 v59, v51, v46 :: v_dual_mul_f32 v37, v51, v47
	v_dual_add_f32 v34, v38, v34 :: v_dual_fmac_f32 v60, v53, v48
	ds_load_b128 v[26:29], v12 offset:112
	ds_load_2addr_b64 v[30:33], v0 offset0:224 offset1:240
	v_dual_add_f32 v13, v13, v59 :: v_dual_fma_f32 v37, v50, v46, -v37
	v_dual_mul_f32 v38, v53, v49 :: v_dual_add_f32 v34, v34, v36
	s_delay_alu instid0(VALU_DEP_2) | instskip(NEXT) | instid1(VALU_DEP_2)
	v_dual_fmac_f32 v40, v55, v14 :: v_dual_add_f32 v13, v13, v60
	v_dual_mul_f32 v15, v55, v15 :: v_dual_fma_f32 v36, v52, v48, -v38
	s_delay_alu instid0(VALU_DEP_3) | instskip(SKIP_1) | instid1(VALU_DEP_3)
	v_dual_add_f32 v34, v34, v37 :: v_dual_fmac_f32 v35, v57, v16
	s_wait_dscnt 0x2
	v_dual_add_f32 v13, v13, v40 :: v_dual_mul_f32 v37, v22, v19
	s_delay_alu instid0(VALU_DEP_3) | instskip(NEXT) | instid1(VALU_DEP_2)
	v_dual_fma_f32 v14, v54, v14, -v15 :: v_dual_mul_f32 v17, v57, v17
	v_dual_add_f32 v15, v34, v36 :: v_dual_add_f32 v13, v13, v35
	s_delay_alu instid0(VALU_DEP_3) | instskip(NEXT) | instid1(VALU_DEP_2)
	v_dual_fmac_f32 v37, v23, v18 :: v_dual_mul_f32 v34, v24, v21
	v_dual_add_f32 v14, v15, v14 :: v_dual_fma_f32 v15, v56, v16, -v17
	s_delay_alu instid0(VALU_DEP_2) | instskip(SKIP_1) | instid1(VALU_DEP_3)
	v_dual_mul_f32 v16, v23, v19 :: v_dual_add_f32 v13, v13, v37
	s_wait_dscnt 0x0
	v_dual_fmac_f32 v34, v25, v20 :: v_dual_mul_f32 v17, v26, v31
	s_delay_alu instid0(VALU_DEP_3) | instskip(NEXT) | instid1(VALU_DEP_3)
	v_add_f32_e32 v14, v14, v15
	v_dual_fma_f32 v15, v22, v18, -v16 :: v_dual_mul_f32 v18, v28, v33
	v_mul_f32_e32 v16, v25, v21
	s_delay_alu instid0(VALU_DEP_4) | instskip(NEXT) | instid1(VALU_DEP_3)
	v_add_f32_e32 v13, v13, v34
	v_dual_fmac_f32 v17, v27, v30 :: v_dual_add_f32 v14, v14, v15
	v_lshl_add_u64 v[22:23], s[16:17], 3, v[6:7]
	s_delay_alu instid0(VALU_DEP_4) | instskip(NEXT) | instid1(VALU_DEP_3)
	v_dual_fma_f32 v15, v24, v20, -v16 :: v_dual_mul_f32 v16, v27, v31
	v_add_f32_e32 v13, v13, v17
	v_dual_fmac_f32 v18, v29, v32 :: v_dual_mul_f32 v17, v29, v33
	s_delay_alu instid0(VALU_DEP_3) | instskip(NEXT) | instid1(VALU_DEP_4)
	v_add_f32_e32 v15, v14, v15
	v_fma_f32 v16, v26, v30, -v16
	s_delay_alu instid0(VALU_DEP_1) | instskip(NEXT) | instid1(VALU_DEP_4)
	v_dual_add_f32 v14, v13, v18 :: v_dual_add_f32 v13, v15, v16
	v_fma_f32 v15, v28, v32, -v17
	v_mov_b64_e32 v[16:17], s[4:5]
	s_delay_alu instid0(VALU_DEP_2) | instskip(NEXT) | instid1(VALU_DEP_2)
	v_add_f32_e32 v18, v13, v15
	v_pk_mul_f32 v[14:15], v[16:17], v[14:15] op_sel_hi:[1,0]
	v_mov_b64_e32 v[16:17], s[24:25]
	s_delay_alu instid0(VALU_DEP_1) | instskip(SKIP_1) | instid1(VALU_DEP_2)
	v_pk_fma_f32 v[20:21], v[16:17], v[18:19], v[14:15] op_sel_hi:[1,0,1]
	v_pk_fma_f32 v[14:15], v[16:17], v[18:19], v[14:15] neg_lo:[0,0,1] neg_hi:[0,0,1]
	v_mov_b32_e32 v15, v21
	global_store_b64 v[22:23], v[14:15], off
	s_branch .LBB99_2
.LBB99_19:
	s_sendmsg sendmsg(MSG_DEALLOC_VGPRS)
	s_endpgm
	.section	.rodata,"a",@progbits
	.p2align	6, 0x0
	.amdhsa_kernel _ZL23rocblas_trmm_lTx_kernelILi16ELb0E19rocblas_complex_numIfES1_KS1_S1_Ev13rocblas_fill_17rocblas_diagonal_iiT2_lPT3_llS7_llPT4_lli
		.amdhsa_group_segment_fixed_size 4096
		.amdhsa_private_segment_fixed_size 0
		.amdhsa_kernarg_size 108
		.amdhsa_user_sgpr_count 2
		.amdhsa_user_sgpr_dispatch_ptr 0
		.amdhsa_user_sgpr_queue_ptr 0
		.amdhsa_user_sgpr_kernarg_segment_ptr 1
		.amdhsa_user_sgpr_dispatch_id 0
		.amdhsa_user_sgpr_kernarg_preload_length 0
		.amdhsa_user_sgpr_kernarg_preload_offset 0
		.amdhsa_user_sgpr_private_segment_size 0
		.amdhsa_wavefront_size32 1
		.amdhsa_uses_dynamic_stack 0
		.amdhsa_enable_private_segment 0
		.amdhsa_system_sgpr_workgroup_id_x 1
		.amdhsa_system_sgpr_workgroup_id_y 0
		.amdhsa_system_sgpr_workgroup_id_z 1
		.amdhsa_system_sgpr_workgroup_info 0
		.amdhsa_system_vgpr_workitem_id 1
		.amdhsa_next_free_vgpr 67
		.amdhsa_next_free_sgpr 32
		.amdhsa_named_barrier_count 0
		.amdhsa_reserve_vcc 1
		.amdhsa_float_round_mode_32 0
		.amdhsa_float_round_mode_16_64 0
		.amdhsa_float_denorm_mode_32 3
		.amdhsa_float_denorm_mode_16_64 3
		.amdhsa_fp16_overflow 0
		.amdhsa_memory_ordered 1
		.amdhsa_forward_progress 1
		.amdhsa_inst_pref_size 13
		.amdhsa_round_robin_scheduling 0
		.amdhsa_exception_fp_ieee_invalid_op 0
		.amdhsa_exception_fp_denorm_src 0
		.amdhsa_exception_fp_ieee_div_zero 0
		.amdhsa_exception_fp_ieee_overflow 0
		.amdhsa_exception_fp_ieee_underflow 0
		.amdhsa_exception_fp_ieee_inexact 0
		.amdhsa_exception_int_div_zero 0
	.end_amdhsa_kernel
	.section	.text._ZL23rocblas_trmm_lTx_kernelILi16ELb0E19rocblas_complex_numIfES1_KS1_S1_Ev13rocblas_fill_17rocblas_diagonal_iiT2_lPT3_llS7_llPT4_lli,"axG",@progbits,_ZL23rocblas_trmm_lTx_kernelILi16ELb0E19rocblas_complex_numIfES1_KS1_S1_Ev13rocblas_fill_17rocblas_diagonal_iiT2_lPT3_llS7_llPT4_lli,comdat
.Lfunc_end99:
	.size	_ZL23rocblas_trmm_lTx_kernelILi16ELb0E19rocblas_complex_numIfES1_KS1_S1_Ev13rocblas_fill_17rocblas_diagonal_iiT2_lPT3_llS7_llPT4_lli, .Lfunc_end99-_ZL23rocblas_trmm_lTx_kernelILi16ELb0E19rocblas_complex_numIfES1_KS1_S1_Ev13rocblas_fill_17rocblas_diagonal_iiT2_lPT3_llS7_llPT4_lli
                                        ; -- End function
	.set _ZL23rocblas_trmm_lTx_kernelILi16ELb0E19rocblas_complex_numIfES1_KS1_S1_Ev13rocblas_fill_17rocblas_diagonal_iiT2_lPT3_llS7_llPT4_lli.num_vgpr, 67
	.set _ZL23rocblas_trmm_lTx_kernelILi16ELb0E19rocblas_complex_numIfES1_KS1_S1_Ev13rocblas_fill_17rocblas_diagonal_iiT2_lPT3_llS7_llPT4_lli.num_agpr, 0
	.set _ZL23rocblas_trmm_lTx_kernelILi16ELb0E19rocblas_complex_numIfES1_KS1_S1_Ev13rocblas_fill_17rocblas_diagonal_iiT2_lPT3_llS7_llPT4_lli.numbered_sgpr, 32
	.set _ZL23rocblas_trmm_lTx_kernelILi16ELb0E19rocblas_complex_numIfES1_KS1_S1_Ev13rocblas_fill_17rocblas_diagonal_iiT2_lPT3_llS7_llPT4_lli.num_named_barrier, 0
	.set _ZL23rocblas_trmm_lTx_kernelILi16ELb0E19rocblas_complex_numIfES1_KS1_S1_Ev13rocblas_fill_17rocblas_diagonal_iiT2_lPT3_llS7_llPT4_lli.private_seg_size, 0
	.set _ZL23rocblas_trmm_lTx_kernelILi16ELb0E19rocblas_complex_numIfES1_KS1_S1_Ev13rocblas_fill_17rocblas_diagonal_iiT2_lPT3_llS7_llPT4_lli.uses_vcc, 1
	.set _ZL23rocblas_trmm_lTx_kernelILi16ELb0E19rocblas_complex_numIfES1_KS1_S1_Ev13rocblas_fill_17rocblas_diagonal_iiT2_lPT3_llS7_llPT4_lli.uses_flat_scratch, 0
	.set _ZL23rocblas_trmm_lTx_kernelILi16ELb0E19rocblas_complex_numIfES1_KS1_S1_Ev13rocblas_fill_17rocblas_diagonal_iiT2_lPT3_llS7_llPT4_lli.has_dyn_sized_stack, 0
	.set _ZL23rocblas_trmm_lTx_kernelILi16ELb0E19rocblas_complex_numIfES1_KS1_S1_Ev13rocblas_fill_17rocblas_diagonal_iiT2_lPT3_llS7_llPT4_lli.has_recursion, 0
	.set _ZL23rocblas_trmm_lTx_kernelILi16ELb0E19rocblas_complex_numIfES1_KS1_S1_Ev13rocblas_fill_17rocblas_diagonal_iiT2_lPT3_llS7_llPT4_lli.has_indirect_call, 0
	.section	.AMDGPU.csdata,"",@progbits
; Kernel info:
; codeLenInByte = 1576
; TotalNumSgprs: 34
; NumVgprs: 67
; ScratchSize: 0
; MemoryBound: 0
; FloatMode: 240
; IeeeMode: 1
; LDSByteSize: 4096 bytes/workgroup (compile time only)
; SGPRBlocks: 0
; VGPRBlocks: 4
; NumSGPRsForWavesPerEU: 34
; NumVGPRsForWavesPerEU: 67
; NamedBarCnt: 0
; Occupancy: 12
; WaveLimiterHint : 0
; COMPUTE_PGM_RSRC2:SCRATCH_EN: 0
; COMPUTE_PGM_RSRC2:USER_SGPR: 2
; COMPUTE_PGM_RSRC2:TRAP_HANDLER: 0
; COMPUTE_PGM_RSRC2:TGID_X_EN: 1
; COMPUTE_PGM_RSRC2:TGID_Y_EN: 0
; COMPUTE_PGM_RSRC2:TGID_Z_EN: 1
; COMPUTE_PGM_RSRC2:TIDIG_COMP_CNT: 1
	.section	.text._ZL23rocblas_trmm_lTx_kernelILi16ELb1E19rocblas_complex_numIfEPKS1_S2_S1_Ev13rocblas_fill_17rocblas_diagonal_iiT2_lPT3_llS8_llPT4_lli,"axG",@progbits,_ZL23rocblas_trmm_lTx_kernelILi16ELb1E19rocblas_complex_numIfEPKS1_S2_S1_Ev13rocblas_fill_17rocblas_diagonal_iiT2_lPT3_llS8_llPT4_lli,comdat
	.globl	_ZL23rocblas_trmm_lTx_kernelILi16ELb1E19rocblas_complex_numIfEPKS1_S2_S1_Ev13rocblas_fill_17rocblas_diagonal_iiT2_lPT3_llS8_llPT4_lli ; -- Begin function _ZL23rocblas_trmm_lTx_kernelILi16ELb1E19rocblas_complex_numIfEPKS1_S2_S1_Ev13rocblas_fill_17rocblas_diagonal_iiT2_lPT3_llS8_llPT4_lli
	.p2align	8
	.type	_ZL23rocblas_trmm_lTx_kernelILi16ELb1E19rocblas_complex_numIfEPKS1_S2_S1_Ev13rocblas_fill_17rocblas_diagonal_iiT2_lPT3_llS8_llPT4_lli,@function
_ZL23rocblas_trmm_lTx_kernelILi16ELb1E19rocblas_complex_numIfEPKS1_S2_S1_Ev13rocblas_fill_17rocblas_diagonal_iiT2_lPT3_llS8_llPT4_lli: ; @_ZL23rocblas_trmm_lTx_kernelILi16ELb1E19rocblas_complex_numIfEPKS1_S2_S1_Ev13rocblas_fill_17rocblas_diagonal_iiT2_lPT3_llS8_llPT4_lli
; %bb.0:
	s_load_b32 s33, s[0:1], 0x68
	s_bfe_u32 s2, ttmp6, 0x40014
	s_lshr_b32 s3, ttmp7, 16
	s_add_co_i32 s2, s2, 1
	s_bfe_u32 s5, ttmp6, 0x40008
	s_mul_i32 s4, s3, s2
	s_getreg_b32 s2, hwreg(HW_REG_IB_STS2, 6, 4)
	s_add_co_i32 s5, s5, s4
	s_cmp_eq_u32 s2, 0
	s_mov_b32 s29, 0
	s_cselect_b32 s28, s3, s5
	s_wait_kmcnt 0x0
	s_cmp_ge_u32 s28, s33
	s_cbranch_scc1 .LBB100_19
; %bb.1:
	s_clause 0x3
	s_load_b128 s[20:23], s[0:1], 0x0
	s_load_b512 s[4:19], s[0:1], 0x10
	s_load_b128 s[24:27], s[0:1], 0x50
	s_load_b64 s[30:31], s[0:1], 0x60
	v_bfe_u32 v2, v0, 10, 10
	v_mov_b32_e32 v3, 0
	s_wait_xcnt 0x0
	s_bfe_u32 s0, ttmp6, 0x4000c
	s_and_b32 s3, ttmp6, 15
	s_add_co_i32 s0, s0, 1
	v_lshlrev_b32_e32 v12, 3, v2
	s_mul_i32 s34, ttmp9, s0
	v_and_b32_e32 v10, 0x3ff, v0
	s_add_co_i32 s3, s3, s34
	v_dual_lshlrev_b32 v11, 4, v2 :: v_dual_mov_b32 v1, v3
	s_delay_alu instid0(VALU_DEP_2) | instskip(SKIP_1) | instid1(VALU_DEP_3)
	v_dual_lshlrev_b32 v0, 3, v10 :: v_dual_lshlrev_b32 v13, 7, v10
	v_cmp_eq_u32_e32 vcc_lo, v2, v10
	v_add_lshl_u32 v14, v11, v10, 3
	s_wait_kmcnt 0x0
	s_add_co_i32 s35, s23, -1
	v_mul_u64_e32 v[4:5], s[10:11], v[2:3]
	v_mul_u64_e32 v[6:7], s[16:17], v[2:3]
	;; [unrolled: 1-line block ×3, first 2 shown]
	s_ashr_i32 s1, s35, 31
	v_cmp_lt_u32_e64 s0, v10, v2
	s_lshr_b32 s10, s1, 28
	v_cmp_gt_u32_e64 s1, v10, v2
	s_add_co_i32 s35, s35, s10
	v_add_nc_u32_e32 v15, 0x800, v14
	s_and_b32 s10, s35, -16
	s_ashr_i32 s11, s35, 4
	s_sub_co_i32 s10, s23, s10
	s_cmp_eq_u32 s2, 0
	v_cmp_gt_i32_e64 s2, s22, v2
	s_cselect_b32 s23, ttmp9, s3
	v_cmp_gt_i32_e64 s3, s22, v10
	s_cmp_ge_i32 s23, s11
	v_mov_b64_e32 v[10:11], 0
	s_cselect_b32 s11, s10, 16
	s_lshl_b32 s22, s23, 4
	s_and_b32 s10, s2, s3
	s_ashr_i32 s23, s22, 31
	v_cmp_gt_i32_e64 s2, s11, v2
	s_mul_u64 s[16:17], s[16:17], s[22:23]
	s_mul_u64 s[22:23], s[26:27], s[22:23]
	s_lshl_b64 s[16:17], s[16:17], 3
	s_lshl_b64 s[22:23], s[22:23], 3
	s_add_nc_u64 s[14:15], s[14:15], s[16:17]
	s_add_nc_u64 s[16:17], s[24:25], s[22:23]
	s_and_b32 s3, s3, s2
	s_cmp_eq_u32 s21, 0x84
	s_cselect_b32 s2, -1, 0
	v_lshl_add_u64 v[4:5], v[4:5], 3, s[8:9]
	v_lshl_add_u64 v[6:7], v[6:7], 3, s[14:15]
	v_lshl_add_u64 v[8:9], v[8:9], 3, s[16:17]
	s_and_b32 s8, vcc_lo, s2
	s_cmp_lg_u32 s20, 0x7a
	v_add_nc_u64_e32 v[4:5], v[4:5], v[0:1]
	v_add_nc_u64_e32 v[6:7], v[6:7], v[0:1]
	;; [unrolled: 1-line block ×3, first 2 shown]
	v_lshl_add_u32 v1, v2, 7, 0x800
	v_add_nc_u32_e32 v2, v12, v13
	s_cselect_b32 s9, -1, 0
	s_branch .LBB100_4
.LBB100_2:                              ;   in Loop: Header=BB100_4 Depth=1
	s_wait_xcnt 0x0
	s_or_b32 exec_lo, exec_lo, s2
.LBB100_3:                              ;   in Loop: Header=BB100_4 Depth=1
	s_add_co_i32 s28, s28, 0x10000
	s_delay_alu instid0(SALU_CYCLE_1)
	s_cmp_lt_u32 s28, s33
	s_cbranch_scc0 .LBB100_19
.LBB100_4:                              ; =>This Inner Loop Header: Depth=1
	s_wait_xcnt 0x0
	s_mul_u64 s[14:15], s[6:7], s[28:29]
	s_delay_alu instid0(SALU_CYCLE_1) | instskip(NEXT) | instid1(SALU_CYCLE_1)
	s_lshl_b64 s[14:15], s[14:15], 3
	s_add_nc_u64 s[14:15], s[4:5], s[14:15]
	global_load_b64 v[12:13], v3, s[14:15]
	s_wait_loadcnt 0x0
	v_cmp_neq_f32_e32 vcc_lo, 0, v12
	v_cmp_neq_f32_e64 s2, 0, v13
	s_or_b32 s2, vcc_lo, s2
	s_delay_alu instid0(SALU_CYCLE_1)
	s_and_not1_b32 vcc_lo, exec_lo, s2
	s_cbranch_vccnz .LBB100_3
; %bb.5:                                ;   in Loop: Header=BB100_4 Depth=1
	ds_store_b64 v14, v[10:11]
	ds_store_b64 v15, v[10:11]
	s_wait_dscnt 0x0
	s_barrier_signal -1
	s_barrier_wait -1
	s_wait_xcnt 0x0
	s_and_saveexec_b32 s2, s10
	s_cbranch_execnz .LBB100_11
; %bb.6:                                ;   in Loop: Header=BB100_4 Depth=1
	s_or_b32 exec_lo, exec_lo, s2
	s_and_saveexec_b32 s2, s3
	s_cbranch_execnz .LBB100_12
.LBB100_7:                              ;   in Loop: Header=BB100_4 Depth=1
	s_or_b32 exec_lo, exec_lo, s2
	s_and_saveexec_b32 s2, s8
.LBB100_8:                              ;   in Loop: Header=BB100_4 Depth=1
	v_mov_b64_e32 v[16:17], 0x3f800000
	ds_store_b64 v14, v[16:17]
.LBB100_9:                              ;   in Loop: Header=BB100_4 Depth=1
	s_or_b32 exec_lo, exec_lo, s2
	s_delay_alu instid0(SALU_CYCLE_1)
	s_and_b32 vcc_lo, exec_lo, s9
	s_wait_dscnt 0x0
	s_barrier_signal -1
	s_barrier_wait -1
	s_cbranch_vccz .LBB100_13
; %bb.10:                               ;   in Loop: Header=BB100_4 Depth=1
	s_and_b32 s2, s0, exec_lo
	s_cbranch_execz .LBB100_14
	s_branch .LBB100_15
.LBB100_11:                             ;   in Loop: Header=BB100_4 Depth=1
	s_mul_u64 s[14:15], s[12:13], s[28:29]
	s_delay_alu instid0(SALU_CYCLE_1)
	v_lshl_add_u64 v[16:17], s[14:15], 3, v[4:5]
	global_load_b64 v[16:17], v[16:17], off
	s_wait_loadcnt 0x0
	s_wait_xcnt 0x0
	v_xor_b32_e32 v17, 0x80000000, v17
	ds_store_b64 v2, v[16:17]
	s_or_b32 exec_lo, exec_lo, s2
	s_and_saveexec_b32 s2, s3
	s_cbranch_execz .LBB100_7
.LBB100_12:                             ;   in Loop: Header=BB100_4 Depth=1
	s_mul_u64 s[14:15], s[18:19], s[28:29]
	s_delay_alu instid0(SALU_CYCLE_1)
	v_lshl_add_u64 v[16:17], s[14:15], 3, v[6:7]
	global_load_b64 v[16:17], v[16:17], off
	s_wait_loadcnt 0x0
	ds_store_b64 v15, v[16:17]
	s_wait_xcnt 0x0
	s_or_b32 exec_lo, exec_lo, s2
	s_and_saveexec_b32 s2, s8
	s_cbranch_execnz .LBB100_8
	s_branch .LBB100_9
.LBB100_13:                             ;   in Loop: Header=BB100_4 Depth=1
	s_mov_b32 s2, 0
.LBB100_14:                             ;   in Loop: Header=BB100_4 Depth=1
	s_delay_alu instid0(SALU_CYCLE_1) | instskip(SKIP_1) | instid1(SALU_CYCLE_1)
	s_and_not1_b32 s2, s2, exec_lo
	s_and_b32 s11, s1, exec_lo
	s_or_b32 s2, s2, s11
.LBB100_15:                             ;   in Loop: Header=BB100_4 Depth=1
	s_delay_alu instid0(SALU_CYCLE_1)
	s_and_saveexec_b32 s11, s2
; %bb.16:                               ;   in Loop: Header=BB100_4 Depth=1
	ds_store_b64 v14, v[10:11]
; %bb.17:                               ;   in Loop: Header=BB100_4 Depth=1
	s_or_b32 exec_lo, exec_lo, s11
	s_wait_dscnt 0x0
	s_barrier_signal -1
	s_barrier_wait -1
	s_and_saveexec_b32 s2, s3
	s_cbranch_execz .LBB100_2
; %bb.18:                               ;   in Loop: Header=BB100_4 Depth=1
	ds_load_2addr_b64 v[16:19], v0 offset1:16
	ds_load_b128 v[20:23], v1
	ds_load_b128 v[24:27], v1 offset:16
	ds_load_2addr_b64 v[28:31], v0 offset0:32 offset1:48
	ds_load_2addr_b64 v[32:35], v0 offset0:64 offset1:80
	ds_load_b128 v[36:39], v1 offset:32
	ds_load_b128 v[40:43], v1 offset:48
	ds_load_2addr_b64 v[44:47], v0 offset0:96 offset1:112
	ds_load_2addr_b64 v[48:51], v0 offset0:128 offset1:144
	ds_load_b128 v[52:55], v1 offset:64
	s_mul_u64 s[14:15], s[30:31], s[28:29]
	s_wait_dscnt 0x8
	v_dual_mul_f32 v56, v20, v17 :: v_dual_mul_f32 v57, v22, v19
	v_dual_mul_f32 v17, v21, v17 :: v_dual_mul_f32 v19, v23, v19
	s_wait_dscnt 0x6
	s_delay_alu instid0(VALU_DEP_2) | instskip(NEXT) | instid1(VALU_DEP_3)
	v_dual_mul_f32 v58, v24, v29 :: v_dual_fmac_f32 v56, v21, v16
	v_fmac_f32_e32 v57, v23, v18
	s_delay_alu instid0(VALU_DEP_3) | instskip(SKIP_1) | instid1(VALU_DEP_4)
	v_dual_fma_f32 v59, v20, v16, -v17 :: v_dual_mul_f32 v61, v26, v31
	v_dual_mul_f32 v20, v25, v29 :: v_dual_mul_f32 v21, v27, v31
	v_fmac_f32_e32 v58, v25, v28
	v_dual_add_f32 v25, 0, v56 :: v_dual_fma_f32 v60, v22, v18, -v19
	s_delay_alu instid0(VALU_DEP_4) | instskip(NEXT) | instid1(VALU_DEP_4)
	v_fmac_f32_e32 v61, v27, v30
	v_dual_fma_f32 v62, v26, v30, -v21 :: v_dual_fma_f32 v56, v24, v28, -v20
	s_delay_alu instid0(VALU_DEP_3)
	v_add_f32_e32 v28, v25, v57
	s_wait_dscnt 0x4
	v_dual_mul_f32 v57, v36, v33 :: v_dual_mul_f32 v63, v38, v35
	v_dual_mul_f32 v29, v37, v33 :: v_dual_add_f32 v33, 0, v59
	ds_load_b128 v[16:19], v1 offset:80
	ds_load_2addr_b64 v[20:23], v0 offset0:160 offset1:176
	v_dual_add_f32 v58, v28, v58 :: v_dual_mul_f32 v28, v39, v35
	v_dual_fmac_f32 v57, v37, v32 :: v_dual_fmac_f32 v63, v39, v34
	v_fma_f32 v59, v36, v32, -v29
	s_delay_alu instid0(VALU_DEP_3) | instskip(SKIP_2) | instid1(VALU_DEP_2)
	v_dual_add_f32 v36, v33, v60 :: v_dual_add_f32 v37, v58, v61
	s_wait_dscnt 0x4
	v_dual_mul_f32 v58, v40, v45 :: v_dual_mul_f32 v60, v42, v47
	v_dual_fma_f32 v64, v38, v34, -v28 :: v_dual_add_f32 v36, v36, v56
	v_mul_f32_e32 v38, v41, v45
	v_dual_add_f32 v37, v37, v57 :: v_dual_mul_f32 v39, v43, v47
	s_delay_alu instid0(VALU_DEP_4) | instskip(NEXT) | instid1(VALU_DEP_2)
	v_dual_fmac_f32 v58, v41, v44 :: v_dual_fmac_f32 v60, v43, v46
	v_dual_add_f32 v41, v36, v62 :: v_dual_add_f32 v43, v37, v63
	ds_load_2addr_b64 v[24:27], v0 offset0:192 offset1:208
	ds_load_b128 v[28:31], v1 offset:96
	v_dual_fma_f32 v40, v40, v44, -v38 :: v_dual_fma_f32 v42, v42, v46, -v39
	s_wait_dscnt 0x4
	v_dual_add_f32 v41, v41, v59 :: v_dual_mul_f32 v44, v52, v49
	v_dual_add_f32 v43, v43, v58 :: v_dual_mul_f32 v45, v54, v51
	s_wait_dscnt 0x2
	s_delay_alu instid0(VALU_DEP_2) | instskip(NEXT) | instid1(VALU_DEP_3)
	v_dual_mul_f32 v46, v16, v21 :: v_dual_add_f32 v41, v41, v64
	v_dual_fmac_f32 v44, v53, v48 :: v_dual_mul_f32 v47, v18, v23
	s_delay_alu instid0(VALU_DEP_3) | instskip(NEXT) | instid1(VALU_DEP_3)
	v_dual_add_f32 v43, v43, v60 :: v_dual_mul_f32 v49, v53, v49
	v_dual_add_f32 v40, v41, v40 :: v_dual_fmac_f32 v45, v55, v50
	ds_load_b128 v[32:35], v1 offset:112
	ds_load_2addr_b64 v[36:39], v0 offset0:224 offset1:240
	v_dual_add_f32 v41, v43, v44 :: v_dual_add_f32 v40, v40, v42
	v_dual_mul_f32 v43, v55, v51 :: v_dual_fma_f32 v44, v52, v48, -v49
	v_dual_fmac_f32 v46, v17, v20 :: v_dual_mul_f32 v17, v17, v21
	s_delay_alu instid0(VALU_DEP_2) | instskip(NEXT) | instid1(VALU_DEP_3)
	v_dual_add_f32 v41, v41, v45 :: v_dual_fma_f32 v21, v54, v50, -v43
	v_dual_add_f32 v40, v40, v44 :: v_dual_fmac_f32 v47, v19, v22
	s_wait_dscnt 0x2
	s_delay_alu instid0(VALU_DEP_2) | instskip(SKIP_1) | instid1(VALU_DEP_2)
	v_dual_mul_f32 v42, v28, v25 :: v_dual_add_f32 v41, v41, v46
	v_dual_fma_f32 v16, v16, v20, -v17 :: v_dual_mul_f32 v19, v19, v23
	v_dual_add_f32 v17, v40, v21 :: v_dual_fmac_f32 v42, v29, v24
	v_mul_f32_e32 v21, v30, v27
	s_delay_alu instid0(VALU_DEP_4) | instskip(NEXT) | instid1(VALU_DEP_3)
	v_add_f32_e32 v20, v41, v47
	v_dual_add_f32 v16, v17, v16 :: v_dual_fma_f32 v17, v18, v22, -v19
	s_delay_alu instid0(VALU_DEP_2) | instskip(SKIP_2) | instid1(VALU_DEP_3)
	v_dual_mul_f32 v18, v29, v25 :: v_dual_add_f32 v19, v20, v42
	s_wait_dscnt 0x0
	v_dual_fmac_f32 v21, v31, v26 :: v_dual_mul_f32 v20, v32, v37
	v_add_f32_e32 v16, v16, v17
	s_delay_alu instid0(VALU_DEP_3) | instskip(NEXT) | instid1(VALU_DEP_3)
	v_dual_fma_f32 v17, v28, v24, -v18 :: v_dual_mul_f32 v18, v31, v27
	v_dual_add_f32 v19, v19, v21 :: v_dual_fmac_f32 v20, v33, v36
	v_lshl_add_u64 v[22:23], s[14:15], 3, v[8:9]
	s_delay_alu instid0(VALU_DEP_3) | instskip(SKIP_1) | instid1(VALU_DEP_2)
	v_dual_add_f32 v16, v16, v17 :: v_dual_fma_f32 v17, v30, v26, -v18
	v_dual_mul_f32 v18, v33, v37 :: v_dual_mul_f32 v21, v34, v39
	v_dual_add_f32 v19, v19, v20 :: v_dual_add_f32 v16, v16, v17
	s_delay_alu instid0(VALU_DEP_2) | instskip(NEXT) | instid1(VALU_DEP_1)
	v_dual_fma_f32 v17, v32, v36, -v18 :: v_dual_fmac_f32 v21, v35, v38
	v_dual_mul_f32 v18, v35, v39 :: v_dual_add_f32 v17, v16, v17
	s_delay_alu instid0(VALU_DEP_1) | instskip(NEXT) | instid1(VALU_DEP_1)
	v_dual_fma_f32 v18, v34, v38, -v18 :: v_dual_add_f32 v16, v19, v21
	v_add_f32_e32 v18, v17, v18
	s_delay_alu instid0(VALU_DEP_2) | instskip(NEXT) | instid1(VALU_DEP_1)
	v_pk_mul_f32 v[16:17], v[12:13], v[16:17] op_sel:[1,0] op_sel_hi:[0,0]
	v_pk_fma_f32 v[20:21], v[12:13], v[18:19], v[16:17] op_sel_hi:[1,0,1]
	v_pk_fma_f32 v[12:13], v[12:13], v[18:19], v[16:17] neg_lo:[0,0,1] neg_hi:[0,0,1]
	s_delay_alu instid0(VALU_DEP_2)
	v_mov_b32_e32 v13, v21
	global_store_b64 v[22:23], v[12:13], off
	s_branch .LBB100_2
.LBB100_19:
	s_sendmsg sendmsg(MSG_DEALLOC_VGPRS)
	s_endpgm
	.section	.rodata,"a",@progbits
	.p2align	6, 0x0
	.amdhsa_kernel _ZL23rocblas_trmm_lTx_kernelILi16ELb1E19rocblas_complex_numIfEPKS1_S2_S1_Ev13rocblas_fill_17rocblas_diagonal_iiT2_lPT3_llS8_llPT4_lli
		.amdhsa_group_segment_fixed_size 4096
		.amdhsa_private_segment_fixed_size 0
		.amdhsa_kernarg_size 108
		.amdhsa_user_sgpr_count 2
		.amdhsa_user_sgpr_dispatch_ptr 0
		.amdhsa_user_sgpr_queue_ptr 0
		.amdhsa_user_sgpr_kernarg_segment_ptr 1
		.amdhsa_user_sgpr_dispatch_id 0
		.amdhsa_user_sgpr_kernarg_preload_length 0
		.amdhsa_user_sgpr_kernarg_preload_offset 0
		.amdhsa_user_sgpr_private_segment_size 0
		.amdhsa_wavefront_size32 1
		.amdhsa_uses_dynamic_stack 0
		.amdhsa_enable_private_segment 0
		.amdhsa_system_sgpr_workgroup_id_x 1
		.amdhsa_system_sgpr_workgroup_id_y 0
		.amdhsa_system_sgpr_workgroup_id_z 1
		.amdhsa_system_sgpr_workgroup_info 0
		.amdhsa_system_vgpr_workitem_id 1
		.amdhsa_next_free_vgpr 65
		.amdhsa_next_free_sgpr 36
		.amdhsa_named_barrier_count 0
		.amdhsa_reserve_vcc 1
		.amdhsa_float_round_mode_32 0
		.amdhsa_float_round_mode_16_64 0
		.amdhsa_float_denorm_mode_32 3
		.amdhsa_float_denorm_mode_16_64 3
		.amdhsa_fp16_overflow 0
		.amdhsa_memory_ordered 1
		.amdhsa_forward_progress 1
		.amdhsa_inst_pref_size 13
		.amdhsa_round_robin_scheduling 0
		.amdhsa_exception_fp_ieee_invalid_op 0
		.amdhsa_exception_fp_denorm_src 0
		.amdhsa_exception_fp_ieee_div_zero 0
		.amdhsa_exception_fp_ieee_overflow 0
		.amdhsa_exception_fp_ieee_underflow 0
		.amdhsa_exception_fp_ieee_inexact 0
		.amdhsa_exception_int_div_zero 0
	.end_amdhsa_kernel
	.section	.text._ZL23rocblas_trmm_lTx_kernelILi16ELb1E19rocblas_complex_numIfEPKS1_S2_S1_Ev13rocblas_fill_17rocblas_diagonal_iiT2_lPT3_llS8_llPT4_lli,"axG",@progbits,_ZL23rocblas_trmm_lTx_kernelILi16ELb1E19rocblas_complex_numIfEPKS1_S2_S1_Ev13rocblas_fill_17rocblas_diagonal_iiT2_lPT3_llS8_llPT4_lli,comdat
.Lfunc_end100:
	.size	_ZL23rocblas_trmm_lTx_kernelILi16ELb1E19rocblas_complex_numIfEPKS1_S2_S1_Ev13rocblas_fill_17rocblas_diagonal_iiT2_lPT3_llS8_llPT4_lli, .Lfunc_end100-_ZL23rocblas_trmm_lTx_kernelILi16ELb1E19rocblas_complex_numIfEPKS1_S2_S1_Ev13rocblas_fill_17rocblas_diagonal_iiT2_lPT3_llS8_llPT4_lli
                                        ; -- End function
	.set _ZL23rocblas_trmm_lTx_kernelILi16ELb1E19rocblas_complex_numIfEPKS1_S2_S1_Ev13rocblas_fill_17rocblas_diagonal_iiT2_lPT3_llS8_llPT4_lli.num_vgpr, 65
	.set _ZL23rocblas_trmm_lTx_kernelILi16ELb1E19rocblas_complex_numIfEPKS1_S2_S1_Ev13rocblas_fill_17rocblas_diagonal_iiT2_lPT3_llS8_llPT4_lli.num_agpr, 0
	.set _ZL23rocblas_trmm_lTx_kernelILi16ELb1E19rocblas_complex_numIfEPKS1_S2_S1_Ev13rocblas_fill_17rocblas_diagonal_iiT2_lPT3_llS8_llPT4_lli.numbered_sgpr, 36
	.set _ZL23rocblas_trmm_lTx_kernelILi16ELb1E19rocblas_complex_numIfEPKS1_S2_S1_Ev13rocblas_fill_17rocblas_diagonal_iiT2_lPT3_llS8_llPT4_lli.num_named_barrier, 0
	.set _ZL23rocblas_trmm_lTx_kernelILi16ELb1E19rocblas_complex_numIfEPKS1_S2_S1_Ev13rocblas_fill_17rocblas_diagonal_iiT2_lPT3_llS8_llPT4_lli.private_seg_size, 0
	.set _ZL23rocblas_trmm_lTx_kernelILi16ELb1E19rocblas_complex_numIfEPKS1_S2_S1_Ev13rocblas_fill_17rocblas_diagonal_iiT2_lPT3_llS8_llPT4_lli.uses_vcc, 1
	.set _ZL23rocblas_trmm_lTx_kernelILi16ELb1E19rocblas_complex_numIfEPKS1_S2_S1_Ev13rocblas_fill_17rocblas_diagonal_iiT2_lPT3_llS8_llPT4_lli.uses_flat_scratch, 0
	.set _ZL23rocblas_trmm_lTx_kernelILi16ELb1E19rocblas_complex_numIfEPKS1_S2_S1_Ev13rocblas_fill_17rocblas_diagonal_iiT2_lPT3_llS8_llPT4_lli.has_dyn_sized_stack, 0
	.set _ZL23rocblas_trmm_lTx_kernelILi16ELb1E19rocblas_complex_numIfEPKS1_S2_S1_Ev13rocblas_fill_17rocblas_diagonal_iiT2_lPT3_llS8_llPT4_lli.has_recursion, 0
	.set _ZL23rocblas_trmm_lTx_kernelILi16ELb1E19rocblas_complex_numIfEPKS1_S2_S1_Ev13rocblas_fill_17rocblas_diagonal_iiT2_lPT3_llS8_llPT4_lli.has_indirect_call, 0
	.section	.AMDGPU.csdata,"",@progbits
; Kernel info:
; codeLenInByte = 1608
; TotalNumSgprs: 38
; NumVgprs: 65
; ScratchSize: 0
; MemoryBound: 0
; FloatMode: 240
; IeeeMode: 1
; LDSByteSize: 4096 bytes/workgroup (compile time only)
; SGPRBlocks: 0
; VGPRBlocks: 4
; NumSGPRsForWavesPerEU: 38
; NumVGPRsForWavesPerEU: 65
; NamedBarCnt: 0
; Occupancy: 12
; WaveLimiterHint : 0
; COMPUTE_PGM_RSRC2:SCRATCH_EN: 0
; COMPUTE_PGM_RSRC2:USER_SGPR: 2
; COMPUTE_PGM_RSRC2:TRAP_HANDLER: 0
; COMPUTE_PGM_RSRC2:TGID_X_EN: 1
; COMPUTE_PGM_RSRC2:TGID_Y_EN: 0
; COMPUTE_PGM_RSRC2:TGID_Z_EN: 1
; COMPUTE_PGM_RSRC2:TIDIG_COMP_CNT: 1
	.section	.text._ZL23rocblas_trmm_lTx_kernelILi16ELb1E19rocblas_complex_numIfES1_KS1_S1_Ev13rocblas_fill_17rocblas_diagonal_iiT2_lPT3_llS7_llPT4_lli,"axG",@progbits,_ZL23rocblas_trmm_lTx_kernelILi16ELb1E19rocblas_complex_numIfES1_KS1_S1_Ev13rocblas_fill_17rocblas_diagonal_iiT2_lPT3_llS7_llPT4_lli,comdat
	.globl	_ZL23rocblas_trmm_lTx_kernelILi16ELb1E19rocblas_complex_numIfES1_KS1_S1_Ev13rocblas_fill_17rocblas_diagonal_iiT2_lPT3_llS7_llPT4_lli ; -- Begin function _ZL23rocblas_trmm_lTx_kernelILi16ELb1E19rocblas_complex_numIfES1_KS1_S1_Ev13rocblas_fill_17rocblas_diagonal_iiT2_lPT3_llS7_llPT4_lli
	.p2align	8
	.type	_ZL23rocblas_trmm_lTx_kernelILi16ELb1E19rocblas_complex_numIfES1_KS1_S1_Ev13rocblas_fill_17rocblas_diagonal_iiT2_lPT3_llS7_llPT4_lli,@function
_ZL23rocblas_trmm_lTx_kernelILi16ELb1E19rocblas_complex_numIfES1_KS1_S1_Ev13rocblas_fill_17rocblas_diagonal_iiT2_lPT3_llS7_llPT4_lli: ; @_ZL23rocblas_trmm_lTx_kernelILi16ELb1E19rocblas_complex_numIfES1_KS1_S1_Ev13rocblas_fill_17rocblas_diagonal_iiT2_lPT3_llS7_llPT4_lli
; %bb.0:
	s_load_b32 s28, s[0:1], 0x68
	s_bfe_u32 s2, ttmp6, 0x40014
	s_lshr_b32 s3, ttmp7, 16
	s_add_co_i32 s2, s2, 1
	s_bfe_u32 s4, ttmp6, 0x40008
	s_mul_i32 s2, s3, s2
	s_getreg_b32 s29, hwreg(HW_REG_IB_STS2, 6, 4)
	s_add_co_i32 s4, s4, s2
	s_cmp_eq_u32 s29, 0
	s_cselect_b32 s2, s3, s4
	s_mov_b32 s3, 0
	s_wait_kmcnt 0x0
	s_cmp_ge_u32 s2, s28
	s_cbranch_scc1 .LBB101_19
; %bb.1:
	s_clause 0x2
	s_load_b64 s[24:25], s[0:1], 0x10
	s_load_b512 s[4:19], s[0:1], 0x20
	s_load_b128 s[20:23], s[0:1], 0x0
	v_bfe_u32 v6, v0, 10, 10
	v_and_b32_e32 v12, 0x3ff, v0
	v_mov_b32_e32 v7, 0
	s_load_b64 s[26:27], s[0:1], 0x60
	s_delay_alu instid0(VALU_DEP_2) | instskip(NEXT) | instid1(VALU_DEP_2)
	v_dual_lshlrev_b32 v2, 4, v6 :: v_dual_lshlrev_b32 v0, 3, v12
	v_dual_lshlrev_b32 v13, 3, v6 :: v_dual_mov_b32 v1, v7
	v_lshlrev_b32_e32 v14, 7, v12
	s_delay_alu instid0(VALU_DEP_3) | instskip(SKIP_1) | instid1(VALU_DEP_2)
	v_add_lshl_u32 v10, v2, v12, 3
	v_cmp_eq_u32_e32 vcc_lo, v6, v12
	v_add_nc_u32_e32 v11, 0x800, v10
	s_wait_kmcnt 0x0
	s_cmp_neq_f32 s24, 0
	v_mul_u64_e32 v[2:3], s[6:7], v[6:7]
	v_mul_u64_e32 v[4:5], s[12:13], v[6:7]
	v_mul_u64_e32 v[8:9], s[18:19], v[6:7]
	s_cselect_b32 s0, -1, 0
	s_cmp_neq_f32 s25, 0
	s_cselect_b32 s1, -1, 0
	s_add_co_i32 s7, s23, -1
	s_or_b32 s6, s0, s1
	s_ashr_i32 s0, s7, 31
	s_bfe_u32 s31, ttmp6, 0x4000c
	s_lshr_b32 s0, s0, 28
	s_add_co_i32 s31, s31, 1
	s_add_co_i32 s7, s7, s0
	s_and_b32 s30, ttmp6, 15
	s_mul_i32 s1, ttmp9, s31
	s_and_b32 s0, s7, -16
	s_add_co_i32 s30, s30, s1
	s_ashr_i32 s7, s7, 4
	s_sub_co_i32 s23, s23, s0
	s_cmp_eq_u32 s29, 0
	v_cmp_gt_i32_e64 s0, s22, v6
	s_cselect_b32 s29, ttmp9, s30
	v_cmp_gt_i32_e64 s1, s22, v12
	s_cmp_ge_i32 s29, s7
	s_cselect_b32 s30, s23, 16
	s_lshl_b32 s22, s29, 4
	s_and_b32 s7, s0, s1
	s_ashr_i32 s23, s22, 31
	v_cmp_gt_i32_e64 s0, s30, v6
	s_mul_u64 s[12:13], s[12:13], s[22:23]
	s_mul_u64 s[18:19], s[18:19], s[22:23]
	s_lshl_b64 s[22:23], s[12:13], 3
	s_lshl_b64 s[18:19], s[18:19], 3
	v_lshl_add_u64 v[2:3], v[2:3], 3, s[4:5]
	s_and_b32 s12, s1, s0
	s_add_nc_u64 s[0:1], s[10:11], s[22:23]
	s_add_nc_u64 s[4:5], s[16:17], s[18:19]
	v_lshl_add_u64 v[4:5], v[4:5], 3, s[0:1]
	v_lshl_add_u64 v[8:9], v[8:9], 3, s[4:5]
	s_cmp_eq_u32 s21, 0x84
	v_add_nc_u64_e32 v[2:3], v[2:3], v[0:1]
	s_cselect_b32 s0, -1, 0
	v_add_nc_u64_e32 v[4:5], v[4:5], v[0:1]
	s_and_b32 s10, vcc_lo, s0
	v_cmp_lt_u32_e64 s0, v12, v6
	v_cmp_gt_u32_e64 s1, v12, v6
	v_lshl_add_u32 v12, v6, 7, 0x800
	v_add_nc_u64_e32 v[6:7], v[8:9], v[0:1]
	v_mov_b64_e32 v[8:9], 0
	v_add_nc_u32_e32 v1, v13, v14
	s_cmp_lg_u32 s20, 0x7a
	s_mov_b32 s4, s25
	s_cselect_b32 s11, -1, 0
	s_mov_b32 s5, s24
	s_branch .LBB101_4
.LBB101_2:                              ;   in Loop: Header=BB101_4 Depth=1
	s_wait_xcnt 0x0
	s_or_b32 exec_lo, exec_lo, s13
.LBB101_3:                              ;   in Loop: Header=BB101_4 Depth=1
	s_add_co_i32 s2, s2, 0x10000
	s_delay_alu instid0(SALU_CYCLE_1)
	s_cmp_lt_u32 s2, s28
	s_cbranch_scc0 .LBB101_19
.LBB101_4:                              ; =>This Inner Loop Header: Depth=1
	s_and_not1_b32 vcc_lo, exec_lo, s6
	s_cbranch_vccnz .LBB101_3
; %bb.5:                                ;   in Loop: Header=BB101_4 Depth=1
	ds_store_b64 v10, v[8:9]
	ds_store_b64 v11, v[8:9]
	s_wait_dscnt 0x0
	s_barrier_signal -1
	s_barrier_wait -1
	s_and_saveexec_b32 s13, s7
	s_cbranch_execnz .LBB101_11
; %bb.6:                                ;   in Loop: Header=BB101_4 Depth=1
	s_or_b32 exec_lo, exec_lo, s13
	s_and_saveexec_b32 s13, s12
	s_cbranch_execnz .LBB101_12
.LBB101_7:                              ;   in Loop: Header=BB101_4 Depth=1
	s_or_b32 exec_lo, exec_lo, s13
	s_and_saveexec_b32 s13, s10
.LBB101_8:                              ;   in Loop: Header=BB101_4 Depth=1
	v_mov_b64_e32 v[14:15], 0x3f800000
	ds_store_b64 v10, v[14:15]
.LBB101_9:                              ;   in Loop: Header=BB101_4 Depth=1
	s_or_b32 exec_lo, exec_lo, s13
	s_delay_alu instid0(SALU_CYCLE_1)
	s_and_b32 vcc_lo, exec_lo, s11
	s_wait_dscnt 0x0
	s_barrier_signal -1
	s_barrier_wait -1
	s_cbranch_vccz .LBB101_13
; %bb.10:                               ;   in Loop: Header=BB101_4 Depth=1
	s_and_b32 s13, s0, exec_lo
	s_cbranch_execz .LBB101_14
	s_branch .LBB101_15
.LBB101_11:                             ;   in Loop: Header=BB101_4 Depth=1
	s_mul_u64 s[16:17], s[8:9], s[2:3]
	s_delay_alu instid0(SALU_CYCLE_1)
	v_lshl_add_u64 v[14:15], s[16:17], 3, v[2:3]
	global_load_b64 v[14:15], v[14:15], off
	s_wait_loadcnt 0x0
	s_wait_xcnt 0x0
	v_xor_b32_e32 v15, 0x80000000, v15
	ds_store_b64 v1, v[14:15]
	s_or_b32 exec_lo, exec_lo, s13
	s_and_saveexec_b32 s13, s12
	s_cbranch_execz .LBB101_7
.LBB101_12:                             ;   in Loop: Header=BB101_4 Depth=1
	s_mul_u64 s[16:17], s[14:15], s[2:3]
	s_delay_alu instid0(SALU_CYCLE_1)
	v_lshl_add_u64 v[14:15], s[16:17], 3, v[4:5]
	global_load_b64 v[14:15], v[14:15], off
	s_wait_loadcnt 0x0
	ds_store_b64 v11, v[14:15]
	s_wait_xcnt 0x0
	s_or_b32 exec_lo, exec_lo, s13
	s_and_saveexec_b32 s13, s10
	s_cbranch_execnz .LBB101_8
	s_branch .LBB101_9
.LBB101_13:                             ;   in Loop: Header=BB101_4 Depth=1
	s_mov_b32 s13, 0
.LBB101_14:                             ;   in Loop: Header=BB101_4 Depth=1
	s_delay_alu instid0(SALU_CYCLE_1) | instskip(SKIP_1) | instid1(SALU_CYCLE_1)
	s_and_not1_b32 s13, s13, exec_lo
	s_and_b32 s16, s1, exec_lo
	s_or_b32 s13, s13, s16
.LBB101_15:                             ;   in Loop: Header=BB101_4 Depth=1
	s_delay_alu instid0(SALU_CYCLE_1)
	s_and_saveexec_b32 s16, s13
; %bb.16:                               ;   in Loop: Header=BB101_4 Depth=1
	ds_store_b64 v10, v[8:9]
; %bb.17:                               ;   in Loop: Header=BB101_4 Depth=1
	s_or_b32 exec_lo, exec_lo, s16
	s_wait_dscnt 0x0
	s_barrier_signal -1
	s_barrier_wait -1
	s_and_saveexec_b32 s13, s12
	s_cbranch_execz .LBB101_2
; %bb.18:                               ;   in Loop: Header=BB101_4 Depth=1
	ds_load_2addr_b64 v[14:17], v0 offset1:16
	ds_load_b128 v[18:21], v12
	ds_load_b128 v[22:25], v12 offset:16
	ds_load_2addr_b64 v[26:29], v0 offset0:32 offset1:48
	ds_load_b128 v[30:33], v12 offset:32
	ds_load_b128 v[34:37], v12 offset:48
	ds_load_2addr_b64 v[38:41], v0 offset0:64 offset1:80
	ds_load_2addr_b64 v[42:45], v0 offset0:96 offset1:112
	;; [unrolled: 1-line block ×3, first 2 shown]
	ds_load_b128 v[50:53], v12 offset:64
	ds_load_b128 v[54:57], v12 offset:80
	s_mul_u64 s[16:17], s[26:27], s[2:3]
	s_wait_dscnt 0x9
	v_dual_mul_f32 v13, v18, v15 :: v_dual_mul_f32 v58, v20, v17
	v_dual_mul_f32 v15, v19, v15 :: v_dual_mul_f32 v17, v21, v17
	s_wait_dscnt 0x7
	v_dual_mul_f32 v61, v22, v27 :: v_dual_mul_f32 v62, v24, v29
	s_delay_alu instid0(VALU_DEP_3) | instskip(NEXT) | instid1(VALU_DEP_3)
	v_dual_fmac_f32 v13, v19, v14 :: v_dual_fmac_f32 v58, v21, v16
	v_dual_fma_f32 v59, v18, v14, -v15 :: v_dual_fma_f32 v60, v20, v16, -v17
	v_dual_mul_f32 v18, v23, v27 :: v_dual_mul_f32 v19, v25, v29
	s_wait_dscnt 0x4
	s_delay_alu instid0(VALU_DEP_3) | instskip(SKIP_1) | instid1(VALU_DEP_3)
	v_dual_add_f32 v13, 0, v13 :: v_dual_mul_f32 v65, v30, v39
	v_dual_fmac_f32 v61, v23, v26 :: v_dual_fmac_f32 v62, v25, v28
	v_dual_fma_f32 v63, v22, v26, -v18 :: v_dual_fma_f32 v64, v24, v28, -v19
	v_dual_mul_f32 v66, v32, v41 :: v_dual_mul_f32 v22, v31, v39
	s_delay_alu instid0(VALU_DEP_4) | instskip(SKIP_1) | instid1(VALU_DEP_2)
	v_dual_add_f32 v13, v13, v58 :: v_dual_add_f32 v24, 0, v59
	v_dual_mul_f32 v23, v33, v41 :: v_dual_fmac_f32 v65, v31, v38
	v_dual_fma_f32 v38, v30, v38, -v22 :: v_dual_add_f32 v13, v13, v61
	s_delay_alu instid0(VALU_DEP_3)
	v_add_f32_e32 v30, v24, v60
	ds_load_2addr_b64 v[14:17], v0 offset0:160 offset1:176
	v_dual_fmac_f32 v66, v33, v40 :: v_dual_fma_f32 v39, v32, v40, -v23
	v_dual_add_f32 v13, v13, v62 :: v_dual_add_f32 v40, v30, v63
	s_wait_dscnt 0x4
	v_dual_mul_f32 v41, v34, v43 :: v_dual_mul_f32 v58, v36, v45
	s_wait_dscnt 0x2
	s_delay_alu instid0(VALU_DEP_2) | instskip(NEXT) | instid1(VALU_DEP_2)
	v_dual_mul_f32 v59, v50, v47 :: v_dual_add_f32 v13, v13, v65
	v_dual_add_f32 v40, v40, v64 :: v_dual_fmac_f32 v41, v35, v42
	v_dual_mul_f32 v60, v52, v49 :: v_dual_mul_f32 v35, v35, v43
	s_delay_alu instid0(VALU_DEP_3) | instskip(NEXT) | instid1(VALU_DEP_3)
	v_add_f32_e32 v13, v13, v66
	v_dual_add_f32 v38, v40, v38 :: v_dual_fmac_f32 v58, v37, v44
	ds_load_2addr_b64 v[18:21], v0 offset0:192 offset1:208
	ds_load_b128 v[22:25], v12 offset:96
	v_dual_add_f32 v13, v13, v41 :: v_dual_add_f32 v38, v38, v39
	v_dual_mul_f32 v37, v37, v45 :: v_dual_fma_f32 v34, v34, v42, -v35
	s_wait_dscnt 0x2
	v_dual_mul_f32 v35, v56, v17 :: v_dual_mul_f32 v40, v54, v15
	s_delay_alu instid0(VALU_DEP_2)
	v_dual_add_f32 v13, v13, v58 :: v_dual_fma_f32 v36, v36, v44, -v37
	v_dual_fmac_f32 v59, v51, v46 :: v_dual_mul_f32 v37, v51, v47
	v_dual_add_f32 v34, v38, v34 :: v_dual_fmac_f32 v60, v53, v48
	ds_load_b128 v[26:29], v12 offset:112
	ds_load_2addr_b64 v[30:33], v0 offset0:224 offset1:240
	v_dual_add_f32 v13, v13, v59 :: v_dual_fma_f32 v37, v50, v46, -v37
	v_dual_mul_f32 v38, v53, v49 :: v_dual_add_f32 v34, v34, v36
	s_delay_alu instid0(VALU_DEP_2) | instskip(NEXT) | instid1(VALU_DEP_2)
	v_dual_fmac_f32 v40, v55, v14 :: v_dual_add_f32 v13, v13, v60
	v_dual_mul_f32 v15, v55, v15 :: v_dual_fma_f32 v36, v52, v48, -v38
	s_delay_alu instid0(VALU_DEP_3) | instskip(SKIP_1) | instid1(VALU_DEP_3)
	v_dual_add_f32 v34, v34, v37 :: v_dual_fmac_f32 v35, v57, v16
	s_wait_dscnt 0x2
	v_dual_add_f32 v13, v13, v40 :: v_dual_mul_f32 v37, v22, v19
	s_delay_alu instid0(VALU_DEP_3) | instskip(NEXT) | instid1(VALU_DEP_2)
	v_dual_fma_f32 v14, v54, v14, -v15 :: v_dual_mul_f32 v17, v57, v17
	v_dual_add_f32 v15, v34, v36 :: v_dual_add_f32 v13, v13, v35
	s_delay_alu instid0(VALU_DEP_3) | instskip(NEXT) | instid1(VALU_DEP_2)
	v_dual_fmac_f32 v37, v23, v18 :: v_dual_mul_f32 v34, v24, v21
	v_dual_add_f32 v14, v15, v14 :: v_dual_fma_f32 v15, v56, v16, -v17
	s_delay_alu instid0(VALU_DEP_2) | instskip(SKIP_1) | instid1(VALU_DEP_3)
	v_dual_mul_f32 v16, v23, v19 :: v_dual_add_f32 v13, v13, v37
	s_wait_dscnt 0x0
	v_dual_fmac_f32 v34, v25, v20 :: v_dual_mul_f32 v17, v26, v31
	s_delay_alu instid0(VALU_DEP_3) | instskip(NEXT) | instid1(VALU_DEP_3)
	v_add_f32_e32 v14, v14, v15
	v_dual_fma_f32 v15, v22, v18, -v16 :: v_dual_mul_f32 v18, v28, v33
	v_mul_f32_e32 v16, v25, v21
	s_delay_alu instid0(VALU_DEP_4) | instskip(NEXT) | instid1(VALU_DEP_3)
	v_add_f32_e32 v13, v13, v34
	v_dual_fmac_f32 v17, v27, v30 :: v_dual_add_f32 v14, v14, v15
	v_lshl_add_u64 v[22:23], s[16:17], 3, v[6:7]
	s_delay_alu instid0(VALU_DEP_4) | instskip(NEXT) | instid1(VALU_DEP_3)
	v_dual_fma_f32 v15, v24, v20, -v16 :: v_dual_mul_f32 v16, v27, v31
	v_add_f32_e32 v13, v13, v17
	v_dual_fmac_f32 v18, v29, v32 :: v_dual_mul_f32 v17, v29, v33
	s_delay_alu instid0(VALU_DEP_3) | instskip(NEXT) | instid1(VALU_DEP_4)
	v_add_f32_e32 v15, v14, v15
	v_fma_f32 v16, v26, v30, -v16
	s_delay_alu instid0(VALU_DEP_1) | instskip(NEXT) | instid1(VALU_DEP_4)
	v_dual_add_f32 v14, v13, v18 :: v_dual_add_f32 v13, v15, v16
	v_fma_f32 v15, v28, v32, -v17
	v_mov_b64_e32 v[16:17], s[4:5]
	s_delay_alu instid0(VALU_DEP_2) | instskip(NEXT) | instid1(VALU_DEP_2)
	v_add_f32_e32 v18, v13, v15
	v_pk_mul_f32 v[14:15], v[16:17], v[14:15] op_sel_hi:[1,0]
	v_mov_b64_e32 v[16:17], s[24:25]
	s_delay_alu instid0(VALU_DEP_1) | instskip(SKIP_1) | instid1(VALU_DEP_2)
	v_pk_fma_f32 v[20:21], v[16:17], v[18:19], v[14:15] op_sel_hi:[1,0,1]
	v_pk_fma_f32 v[14:15], v[16:17], v[18:19], v[14:15] neg_lo:[0,0,1] neg_hi:[0,0,1]
	v_mov_b32_e32 v15, v21
	global_store_b64 v[22:23], v[14:15], off
	s_branch .LBB101_2
.LBB101_19:
	s_sendmsg sendmsg(MSG_DEALLOC_VGPRS)
	s_endpgm
	.section	.rodata,"a",@progbits
	.p2align	6, 0x0
	.amdhsa_kernel _ZL23rocblas_trmm_lTx_kernelILi16ELb1E19rocblas_complex_numIfES1_KS1_S1_Ev13rocblas_fill_17rocblas_diagonal_iiT2_lPT3_llS7_llPT4_lli
		.amdhsa_group_segment_fixed_size 4096
		.amdhsa_private_segment_fixed_size 0
		.amdhsa_kernarg_size 108
		.amdhsa_user_sgpr_count 2
		.amdhsa_user_sgpr_dispatch_ptr 0
		.amdhsa_user_sgpr_queue_ptr 0
		.amdhsa_user_sgpr_kernarg_segment_ptr 1
		.amdhsa_user_sgpr_dispatch_id 0
		.amdhsa_user_sgpr_kernarg_preload_length 0
		.amdhsa_user_sgpr_kernarg_preload_offset 0
		.amdhsa_user_sgpr_private_segment_size 0
		.amdhsa_wavefront_size32 1
		.amdhsa_uses_dynamic_stack 0
		.amdhsa_enable_private_segment 0
		.amdhsa_system_sgpr_workgroup_id_x 1
		.amdhsa_system_sgpr_workgroup_id_y 0
		.amdhsa_system_sgpr_workgroup_id_z 1
		.amdhsa_system_sgpr_workgroup_info 0
		.amdhsa_system_vgpr_workitem_id 1
		.amdhsa_next_free_vgpr 67
		.amdhsa_next_free_sgpr 32
		.amdhsa_named_barrier_count 0
		.amdhsa_reserve_vcc 1
		.amdhsa_float_round_mode_32 0
		.amdhsa_float_round_mode_16_64 0
		.amdhsa_float_denorm_mode_32 3
		.amdhsa_float_denorm_mode_16_64 3
		.amdhsa_fp16_overflow 0
		.amdhsa_memory_ordered 1
		.amdhsa_forward_progress 1
		.amdhsa_inst_pref_size 13
		.amdhsa_round_robin_scheduling 0
		.amdhsa_exception_fp_ieee_invalid_op 0
		.amdhsa_exception_fp_denorm_src 0
		.amdhsa_exception_fp_ieee_div_zero 0
		.amdhsa_exception_fp_ieee_overflow 0
		.amdhsa_exception_fp_ieee_underflow 0
		.amdhsa_exception_fp_ieee_inexact 0
		.amdhsa_exception_int_div_zero 0
	.end_amdhsa_kernel
	.section	.text._ZL23rocblas_trmm_lTx_kernelILi16ELb1E19rocblas_complex_numIfES1_KS1_S1_Ev13rocblas_fill_17rocblas_diagonal_iiT2_lPT3_llS7_llPT4_lli,"axG",@progbits,_ZL23rocblas_trmm_lTx_kernelILi16ELb1E19rocblas_complex_numIfES1_KS1_S1_Ev13rocblas_fill_17rocblas_diagonal_iiT2_lPT3_llS7_llPT4_lli,comdat
.Lfunc_end101:
	.size	_ZL23rocblas_trmm_lTx_kernelILi16ELb1E19rocblas_complex_numIfES1_KS1_S1_Ev13rocblas_fill_17rocblas_diagonal_iiT2_lPT3_llS7_llPT4_lli, .Lfunc_end101-_ZL23rocblas_trmm_lTx_kernelILi16ELb1E19rocblas_complex_numIfES1_KS1_S1_Ev13rocblas_fill_17rocblas_diagonal_iiT2_lPT3_llS7_llPT4_lli
                                        ; -- End function
	.set _ZL23rocblas_trmm_lTx_kernelILi16ELb1E19rocblas_complex_numIfES1_KS1_S1_Ev13rocblas_fill_17rocblas_diagonal_iiT2_lPT3_llS7_llPT4_lli.num_vgpr, 67
	.set _ZL23rocblas_trmm_lTx_kernelILi16ELb1E19rocblas_complex_numIfES1_KS1_S1_Ev13rocblas_fill_17rocblas_diagonal_iiT2_lPT3_llS7_llPT4_lli.num_agpr, 0
	.set _ZL23rocblas_trmm_lTx_kernelILi16ELb1E19rocblas_complex_numIfES1_KS1_S1_Ev13rocblas_fill_17rocblas_diagonal_iiT2_lPT3_llS7_llPT4_lli.numbered_sgpr, 32
	.set _ZL23rocblas_trmm_lTx_kernelILi16ELb1E19rocblas_complex_numIfES1_KS1_S1_Ev13rocblas_fill_17rocblas_diagonal_iiT2_lPT3_llS7_llPT4_lli.num_named_barrier, 0
	.set _ZL23rocblas_trmm_lTx_kernelILi16ELb1E19rocblas_complex_numIfES1_KS1_S1_Ev13rocblas_fill_17rocblas_diagonal_iiT2_lPT3_llS7_llPT4_lli.private_seg_size, 0
	.set _ZL23rocblas_trmm_lTx_kernelILi16ELb1E19rocblas_complex_numIfES1_KS1_S1_Ev13rocblas_fill_17rocblas_diagonal_iiT2_lPT3_llS7_llPT4_lli.uses_vcc, 1
	.set _ZL23rocblas_trmm_lTx_kernelILi16ELb1E19rocblas_complex_numIfES1_KS1_S1_Ev13rocblas_fill_17rocblas_diagonal_iiT2_lPT3_llS7_llPT4_lli.uses_flat_scratch, 0
	.set _ZL23rocblas_trmm_lTx_kernelILi16ELb1E19rocblas_complex_numIfES1_KS1_S1_Ev13rocblas_fill_17rocblas_diagonal_iiT2_lPT3_llS7_llPT4_lli.has_dyn_sized_stack, 0
	.set _ZL23rocblas_trmm_lTx_kernelILi16ELb1E19rocblas_complex_numIfES1_KS1_S1_Ev13rocblas_fill_17rocblas_diagonal_iiT2_lPT3_llS7_llPT4_lli.has_recursion, 0
	.set _ZL23rocblas_trmm_lTx_kernelILi16ELb1E19rocblas_complex_numIfES1_KS1_S1_Ev13rocblas_fill_17rocblas_diagonal_iiT2_lPT3_llS7_llPT4_lli.has_indirect_call, 0
	.section	.AMDGPU.csdata,"",@progbits
; Kernel info:
; codeLenInByte = 1584
; TotalNumSgprs: 34
; NumVgprs: 67
; ScratchSize: 0
; MemoryBound: 0
; FloatMode: 240
; IeeeMode: 1
; LDSByteSize: 4096 bytes/workgroup (compile time only)
; SGPRBlocks: 0
; VGPRBlocks: 4
; NumSGPRsForWavesPerEU: 34
; NumVGPRsForWavesPerEU: 67
; NamedBarCnt: 0
; Occupancy: 12
; WaveLimiterHint : 0
; COMPUTE_PGM_RSRC2:SCRATCH_EN: 0
; COMPUTE_PGM_RSRC2:USER_SGPR: 2
; COMPUTE_PGM_RSRC2:TRAP_HANDLER: 0
; COMPUTE_PGM_RSRC2:TGID_X_EN: 1
; COMPUTE_PGM_RSRC2:TGID_Y_EN: 0
; COMPUTE_PGM_RSRC2:TGID_Z_EN: 1
; COMPUTE_PGM_RSRC2:TIDIG_COMP_CNT: 1
	.section	.text._ZL23rocblas_trmm_rNx_kernelILi16E19rocblas_complex_numIfEPKS1_S2_S1_Ev13rocblas_fill_17rocblas_diagonal_iiT1_lPT2_llS8_llPT3_lli,"axG",@progbits,_ZL23rocblas_trmm_rNx_kernelILi16E19rocblas_complex_numIfEPKS1_S2_S1_Ev13rocblas_fill_17rocblas_diagonal_iiT1_lPT2_llS8_llPT3_lli,comdat
	.globl	_ZL23rocblas_trmm_rNx_kernelILi16E19rocblas_complex_numIfEPKS1_S2_S1_Ev13rocblas_fill_17rocblas_diagonal_iiT1_lPT2_llS8_llPT3_lli ; -- Begin function _ZL23rocblas_trmm_rNx_kernelILi16E19rocblas_complex_numIfEPKS1_S2_S1_Ev13rocblas_fill_17rocblas_diagonal_iiT1_lPT2_llS8_llPT3_lli
	.p2align	8
	.type	_ZL23rocblas_trmm_rNx_kernelILi16E19rocblas_complex_numIfEPKS1_S2_S1_Ev13rocblas_fill_17rocblas_diagonal_iiT1_lPT2_llS8_llPT3_lli,@function
_ZL23rocblas_trmm_rNx_kernelILi16E19rocblas_complex_numIfEPKS1_S2_S1_Ev13rocblas_fill_17rocblas_diagonal_iiT1_lPT2_llS8_llPT3_lli: ; @_ZL23rocblas_trmm_rNx_kernelILi16E19rocblas_complex_numIfEPKS1_S2_S1_Ev13rocblas_fill_17rocblas_diagonal_iiT1_lPT2_llS8_llPT3_lli
; %bb.0:
	s_load_b32 s5, s[0:1], 0x68
	s_bfe_u32 s2, ttmp6, 0x40014
	s_lshr_b32 s3, ttmp7, 16
	s_add_co_i32 s2, s2, 1
	s_bfe_u32 s6, ttmp6, 0x40008
	s_mul_i32 s4, s3, s2
	s_getreg_b32 s2, hwreg(HW_REG_IB_STS2, 6, 4)
	s_add_co_i32 s6, s6, s4
	s_cmp_eq_u32 s2, 0
	s_mov_b32 s7, 0
	s_cselect_b32 s6, s3, s6
	s_wait_kmcnt 0x0
	s_cmp_ge_u32 s6, s5
	s_cbranch_scc1 .LBB102_19
; %bb.1:
	s_clause 0x3
	s_load_b128 s[24:27], s[0:1], 0x0
	s_load_b512 s[8:23], s[0:1], 0x10
	s_load_b128 s[28:31], s[0:1], 0x50
	s_load_b64 s[34:35], s[0:1], 0x60
	v_bfe_u32 v2, v0, 10, 10
	v_mov_b32_e32 v3, 0
	s_wait_xcnt 0x0
	s_bfe_u32 s0, ttmp6, 0x4000c
	s_and_b32 s1, ttmp6, 15
	s_add_co_i32 s0, s0, 1
	v_lshlrev_b32_e32 v10, 4, v2
	s_mul_i32 s3, ttmp9, s0
	v_and_b32_e32 v12, 0x3ff, v0
	s_add_co_i32 s3, s1, s3
	v_mov_b32_e32 v13, v3
	v_mov_b64_e32 v[0:1], 0
	s_delay_alu instid0(VALU_DEP_3)
	v_cmp_eq_u32_e32 vcc_lo, v2, v12
	v_add_lshl_u32 v14, v10, v12, 3
	v_lshl_add_u32 v16, v12, 3, 0x800
	s_wait_kmcnt 0x0
	s_add_co_i32 s4, s26, -1
	v_mul_u64_e32 v[4:5], s[14:15], v[2:3]
	v_mul_u64_e32 v[6:7], s[20:21], v[2:3]
	;; [unrolled: 1-line block ×3, first 2 shown]
	s_ashr_i32 s0, s4, 31
	v_add_nc_u32_e32 v15, 0x800, v14
	s_lshr_b32 s14, s0, 28
	v_cmp_lt_u32_e64 s0, v12, v2
	s_add_co_i32 s4, s4, s14
	s_delay_alu instid0(SALU_CYCLE_1)
	s_and_b32 s1, s4, -16
	s_ashr_i32 s4, s4, 4
	s_sub_co_i32 s14, s26, s1
	s_cmp_eq_u32 s2, 0
	v_cmp_gt_i32_e64 s2, s27, v2
	s_cselect_b32 s3, ttmp9, s3
	v_cmp_gt_u32_e64 s1, v12, v2
	s_cmp_ge_i32 s3, s4
	v_lshlrev_b32_e32 v2, 7, v2
	s_cselect_b32 s4, s14, 16
	s_lshl_b32 s14, s3, 4
	v_cmp_gt_i32_e64 s3, s27, v12
	s_ashr_i32 s15, s14, 31
	v_cmp_gt_i32_e64 s4, s4, v12
	s_lshl_b64 s[14:15], s[14:15], 3
	v_lshlrev_b64_e32 v[10:11], 3, v[12:13]
	s_add_nc_u64 s[18:19], s[18:19], s[14:15]
	s_add_nc_u64 s[14:15], s[28:29], s[14:15]
	s_and_b32 s3, s2, s3
	s_and_b32 s4, s2, s4
	s_cmp_eq_u32 s25, 0x84
	s_cselect_b32 s2, -1, 0
	v_lshl_add_u64 v[4:5], v[4:5], 3, s[12:13]
	v_lshl_add_u64 v[6:7], v[6:7], 3, s[18:19]
	;; [unrolled: 1-line block ×3, first 2 shown]
	s_and_b32 s12, vcc_lo, s2
	s_cmp_lg_u32 s24, 0x79
	v_add_nc_u64_e32 v[4:5], v[4:5], v[10:11]
	v_add_nc_u64_e32 v[6:7], v[6:7], v[10:11]
	;; [unrolled: 1-line block ×3, first 2 shown]
	v_mov_b64_e32 v[10:11], 0x3f800000
	s_cselect_b32 s13, -1, 0
	s_branch .LBB102_4
.LBB102_2:                              ;   in Loop: Header=BB102_4 Depth=1
	s_wait_xcnt 0x0
	s_or_b32 exec_lo, exec_lo, s2
.LBB102_3:                              ;   in Loop: Header=BB102_4 Depth=1
	s_add_co_i32 s6, s6, 0x10000
	s_delay_alu instid0(SALU_CYCLE_1)
	s_cmp_lt_u32 s6, s5
	s_cbranch_scc0 .LBB102_19
.LBB102_4:                              ; =>This Inner Loop Header: Depth=1
	s_wait_xcnt 0x0
	s_mul_u64 s[14:15], s[10:11], s[6:7]
	s_delay_alu instid0(SALU_CYCLE_1) | instskip(NEXT) | instid1(SALU_CYCLE_1)
	s_lshl_b64 s[14:15], s[14:15], 3
	s_add_nc_u64 s[14:15], s[8:9], s[14:15]
	global_load_b64 v[12:13], v3, s[14:15]
	s_wait_loadcnt 0x0
	v_cmp_neq_f32_e32 vcc_lo, 0, v12
	v_cmp_neq_f32_e64 s2, 0, v13
	s_or_b32 s2, vcc_lo, s2
	s_delay_alu instid0(SALU_CYCLE_1)
	s_and_not1_b32 vcc_lo, exec_lo, s2
	s_cbranch_vccnz .LBB102_3
; %bb.5:                                ;   in Loop: Header=BB102_4 Depth=1
	ds_store_b64 v14, v[0:1]
	ds_store_b64 v15, v[0:1]
	s_wait_xcnt 0x0
	s_and_saveexec_b32 s2, s3
	s_cbranch_execnz .LBB102_10
; %bb.6:                                ;   in Loop: Header=BB102_4 Depth=1
	s_or_b32 exec_lo, exec_lo, s2
	s_and_saveexec_b32 s2, s4
	s_cbranch_execnz .LBB102_11
.LBB102_7:                              ;   in Loop: Header=BB102_4 Depth=1
	s_or_b32 exec_lo, exec_lo, s2
	s_and_saveexec_b32 s2, s12
	s_cbranch_execnz .LBB102_12
.LBB102_8:                              ;   in Loop: Header=BB102_4 Depth=1
	s_or_b32 exec_lo, exec_lo, s2
	s_delay_alu instid0(SALU_CYCLE_1)
	s_and_b32 vcc_lo, exec_lo, s13
	s_cbranch_vccz .LBB102_13
.LBB102_9:                              ;   in Loop: Header=BB102_4 Depth=1
	s_and_b32 s2, s0, exec_lo
	s_cbranch_execz .LBB102_14
	s_branch .LBB102_15
.LBB102_10:                             ;   in Loop: Header=BB102_4 Depth=1
	s_mul_u64 s[14:15], s[16:17], s[6:7]
	s_delay_alu instid0(SALU_CYCLE_1)
	v_lshl_add_u64 v[18:19], s[14:15], 3, v[4:5]
	global_load_b64 v[18:19], v[18:19], off
	s_wait_loadcnt 0x0
	ds_store_b64 v14, v[18:19]
	s_wait_xcnt 0x0
	s_or_b32 exec_lo, exec_lo, s2
	s_and_saveexec_b32 s2, s4
	s_cbranch_execz .LBB102_7
.LBB102_11:                             ;   in Loop: Header=BB102_4 Depth=1
	s_mul_u64 s[14:15], s[22:23], s[6:7]
	s_delay_alu instid0(SALU_CYCLE_1)
	v_lshl_add_u64 v[18:19], s[14:15], 3, v[6:7]
	global_load_b64 v[18:19], v[18:19], off
	s_wait_loadcnt 0x0
	ds_store_b64 v15, v[18:19]
	s_wait_xcnt 0x0
	s_or_b32 exec_lo, exec_lo, s2
	s_and_saveexec_b32 s2, s12
	s_cbranch_execz .LBB102_8
.LBB102_12:                             ;   in Loop: Header=BB102_4 Depth=1
	ds_store_b64 v14, v[10:11]
	s_or_b32 exec_lo, exec_lo, s2
	s_delay_alu instid0(SALU_CYCLE_1)
	s_and_b32 vcc_lo, exec_lo, s13
	s_cbranch_vccnz .LBB102_9
.LBB102_13:                             ;   in Loop: Header=BB102_4 Depth=1
	s_mov_b32 s2, 0
.LBB102_14:                             ;   in Loop: Header=BB102_4 Depth=1
	s_delay_alu instid0(SALU_CYCLE_1) | instskip(SKIP_1) | instid1(SALU_CYCLE_1)
	s_and_not1_b32 s2, s2, exec_lo
	s_and_b32 s14, s1, exec_lo
	s_or_b32 s2, s2, s14
.LBB102_15:                             ;   in Loop: Header=BB102_4 Depth=1
	s_delay_alu instid0(SALU_CYCLE_1)
	s_and_saveexec_b32 s14, s2
; %bb.16:                               ;   in Loop: Header=BB102_4 Depth=1
	ds_store_b64 v14, v[0:1]
; %bb.17:                               ;   in Loop: Header=BB102_4 Depth=1
	s_or_b32 exec_lo, exec_lo, s14
	s_wait_dscnt 0x0
	s_barrier_signal -1
	s_barrier_wait -1
	s_and_saveexec_b32 s2, s4
	s_cbranch_execz .LBB102_2
; %bb.18:                               ;   in Loop: Header=BB102_4 Depth=1
	ds_load_2addr_b64 v[18:21], v16 offset1:16
	ds_load_b128 v[22:25], v2
	ds_load_b128 v[26:29], v2 offset:16
	ds_load_2addr_b64 v[30:33], v16 offset0:32 offset1:48
	ds_load_b128 v[34:37], v2 offset:32
	ds_load_b128 v[38:41], v2 offset:48
	ds_load_2addr_b64 v[42:45], v16 offset0:64 offset1:80
	ds_load_2addr_b64 v[46:49], v16 offset0:96 offset1:112
	;; [unrolled: 1-line block ×3, first 2 shown]
	ds_load_b128 v[54:57], v2 offset:64
	s_mul_u64 s[14:15], s[34:35], s[6:7]
	s_wait_dscnt 0x8
	v_dual_mul_f32 v17, v22, v19 :: v_dual_mul_f32 v58, v24, v21
	v_dual_mul_f32 v19, v23, v19 :: v_dual_mul_f32 v21, v25, v21
	s_wait_dscnt 0x6
	v_dual_mul_f32 v59, v26, v31 :: v_dual_mul_f32 v60, v28, v33
	s_delay_alu instid0(VALU_DEP_2) | instskip(SKIP_3) | instid1(VALU_DEP_3)
	v_dual_fmac_f32 v17, v23, v18 :: v_dual_fma_f32 v61, v22, v18, -v19
	v_dual_mul_f32 v31, v27, v31 :: v_dual_fmac_f32 v58, v25, v20
	v_dual_fma_f32 v62, v24, v20, -v21 :: v_dual_mul_f32 v22, v29, v33
	s_wait_dscnt 0x3
	v_dual_add_f32 v17, 0, v17 :: v_dual_mul_f32 v65, v34, v43
	v_dual_fmac_f32 v59, v27, v30 :: v_dual_fmac_f32 v60, v29, v32
	s_delay_alu instid0(VALU_DEP_3) | instskip(SKIP_1) | instid1(VALU_DEP_4)
	v_dual_fma_f32 v63, v26, v30, -v31 :: v_dual_fma_f32 v64, v28, v32, -v22
	v_dual_mul_f32 v66, v36, v45 :: v_dual_mul_f32 v30, v35, v43
	v_dual_add_f32 v17, v17, v58 :: v_dual_add_f32 v43, 0, v61
	v_dual_mul_f32 v31, v37, v45 :: v_dual_fmac_f32 v65, v35, v42
	s_delay_alu instid0(VALU_DEP_2) | instskip(SKIP_1) | instid1(VALU_DEP_3)
	v_dual_fma_f32 v42, v34, v42, -v30 :: v_dual_add_f32 v17, v17, v59
	s_wait_dscnt 0x2
	v_dual_add_f32 v43, v43, v62 :: v_dual_mul_f32 v45, v38, v47
	ds_load_b128 v[18:21], v2 offset:80
	ds_load_2addr_b64 v[22:25], v16 offset0:160 offset1:176
	v_dual_add_f32 v17, v17, v60 :: v_dual_mul_f32 v58, v40, v49
	v_dual_add_f32 v43, v43, v63 :: v_dual_fmac_f32 v66, v37, v44
	v_dual_fma_f32 v44, v36, v44, -v31 :: v_dual_mul_f32 v47, v39, v47
	v_mul_f32_e32 v49, v41, v49
	s_delay_alu instid0(VALU_DEP_3) | instskip(SKIP_1) | instid1(VALU_DEP_4)
	v_dual_add_f32 v17, v17, v65 :: v_dual_add_f32 v43, v43, v64
	v_dual_fmac_f32 v45, v39, v46 :: v_dual_fmac_f32 v58, v41, v48
	v_fma_f32 v46, v38, v46, -v47
	s_delay_alu instid0(VALU_DEP_3)
	v_dual_add_f32 v17, v17, v66 :: v_dual_fma_f32 v47, v40, v48, -v49
	s_wait_dscnt 0x2
	v_dual_add_f32 v42, v43, v42 :: v_dual_mul_f32 v43, v54, v51
	ds_load_2addr_b64 v[26:29], v16 offset0:192 offset1:208
	v_add_f32_e32 v17, v17, v45
	v_dual_mul_f32 v45, v56, v53 :: v_dual_add_f32 v42, v42, v44
	ds_load_b128 v[30:33], v2 offset:96
	ds_load_b128 v[34:37], v2 offset:112
	s_wait_dscnt 0x3
	v_dual_mul_f32 v48, v18, v23 :: v_dual_fmac_f32 v43, v55, v50
	v_dual_mul_f32 v44, v20, v25 :: v_dual_add_f32 v17, v17, v58
	v_dual_mul_f32 v49, v55, v51 :: v_dual_add_f32 v42, v42, v46
	v_fmac_f32_e32 v45, v57, v52
	ds_load_2addr_b64 v[38:41], v16 offset0:224 offset1:240
	v_dual_add_f32 v17, v17, v43 :: v_dual_fma_f32 v46, v54, v50, -v49
	v_dual_mul_f32 v43, v57, v53 :: v_dual_add_f32 v42, v42, v47
	s_delay_alu instid0(VALU_DEP_2) | instskip(NEXT) | instid1(VALU_DEP_2)
	v_dual_fmac_f32 v48, v19, v22 :: v_dual_add_f32 v17, v17, v45
	v_dual_mul_f32 v19, v19, v23 :: v_dual_fma_f32 v23, v56, v52, -v43
	s_delay_alu instid0(VALU_DEP_3) | instskip(SKIP_1) | instid1(VALU_DEP_3)
	v_dual_add_f32 v42, v42, v46 :: v_dual_fmac_f32 v44, v21, v24
	s_wait_dscnt 0x2
	v_dual_add_f32 v17, v17, v48 :: v_dual_mul_f32 v43, v30, v27
	s_delay_alu instid0(VALU_DEP_3) | instskip(NEXT) | instid1(VALU_DEP_2)
	v_dual_fma_f32 v18, v18, v22, -v19 :: v_dual_mul_f32 v21, v21, v25
	v_dual_add_f32 v19, v42, v23 :: v_dual_add_f32 v17, v17, v44
	s_delay_alu instid0(VALU_DEP_3) | instskip(NEXT) | instid1(VALU_DEP_2)
	v_dual_fmac_f32 v43, v31, v26 :: v_dual_mul_f32 v22, v32, v29
	v_dual_add_f32 v18, v19, v18 :: v_dual_fma_f32 v19, v20, v24, -v21
	s_delay_alu instid0(VALU_DEP_2) | instskip(NEXT) | instid1(VALU_DEP_3)
	v_dual_mul_f32 v20, v31, v27 :: v_dual_fmac_f32 v22, v33, v28
	v_add_f32_e32 v17, v17, v43
	s_wait_dscnt 0x0
	v_mul_f32_e32 v21, v34, v39
	v_add_f32_e32 v18, v18, v19
	v_dual_fma_f32 v19, v30, v26, -v20 :: v_dual_mul_f32 v20, v33, v29
	v_add_f32_e32 v17, v17, v22
	s_delay_alu instid0(VALU_DEP_4) | instskip(SKIP_1) | instid1(VALU_DEP_4)
	v_fmac_f32_e32 v21, v35, v38
	v_lshl_add_u64 v[24:25], s[14:15], 3, v[8:9]
	v_dual_add_f32 v18, v18, v19 :: v_dual_fma_f32 v19, v32, v28, -v20
	v_dual_mul_f32 v20, v35, v39 :: v_dual_mul_f32 v22, v36, v41
	s_delay_alu instid0(VALU_DEP_2) | instskip(NEXT) | instid1(VALU_DEP_2)
	v_dual_add_f32 v17, v17, v21 :: v_dual_add_f32 v18, v18, v19
	v_dual_fma_f32 v19, v34, v38, -v20 :: v_dual_mul_f32 v20, v37, v41
	s_delay_alu instid0(VALU_DEP_1) | instskip(NEXT) | instid1(VALU_DEP_1)
	v_dual_fmac_f32 v22, v37, v40 :: v_dual_add_f32 v19, v18, v19
	v_dual_fma_f32 v20, v36, v40, -v20 :: v_dual_add_f32 v18, v17, v22
	s_delay_alu instid0(VALU_DEP_1) | instskip(NEXT) | instid1(VALU_DEP_2)
	v_add_f32_e32 v20, v19, v20
	v_pk_mul_f32 v[18:19], v[12:13], v[18:19] op_sel:[1,0] op_sel_hi:[0,0]
	s_delay_alu instid0(VALU_DEP_1) | instskip(SKIP_1) | instid1(VALU_DEP_2)
	v_pk_fma_f32 v[22:23], v[12:13], v[20:21], v[18:19] op_sel_hi:[1,0,1]
	v_pk_fma_f32 v[12:13], v[12:13], v[20:21], v[18:19] neg_lo:[0,0,1] neg_hi:[0,0,1]
	v_mov_b32_e32 v13, v23
	global_store_b64 v[24:25], v[12:13], off
	s_branch .LBB102_2
.LBB102_19:
	s_sendmsg sendmsg(MSG_DEALLOC_VGPRS)
	s_endpgm
	.section	.rodata,"a",@progbits
	.p2align	6, 0x0
	.amdhsa_kernel _ZL23rocblas_trmm_rNx_kernelILi16E19rocblas_complex_numIfEPKS1_S2_S1_Ev13rocblas_fill_17rocblas_diagonal_iiT1_lPT2_llS8_llPT3_lli
		.amdhsa_group_segment_fixed_size 4096
		.amdhsa_private_segment_fixed_size 0
		.amdhsa_kernarg_size 108
		.amdhsa_user_sgpr_count 2
		.amdhsa_user_sgpr_dispatch_ptr 0
		.amdhsa_user_sgpr_queue_ptr 0
		.amdhsa_user_sgpr_kernarg_segment_ptr 1
		.amdhsa_user_sgpr_dispatch_id 0
		.amdhsa_user_sgpr_kernarg_preload_length 0
		.amdhsa_user_sgpr_kernarg_preload_offset 0
		.amdhsa_user_sgpr_private_segment_size 0
		.amdhsa_wavefront_size32 1
		.amdhsa_uses_dynamic_stack 0
		.amdhsa_enable_private_segment 0
		.amdhsa_system_sgpr_workgroup_id_x 1
		.amdhsa_system_sgpr_workgroup_id_y 0
		.amdhsa_system_sgpr_workgroup_id_z 1
		.amdhsa_system_sgpr_workgroup_info 0
		.amdhsa_system_vgpr_workitem_id 1
		.amdhsa_next_free_vgpr 67
		.amdhsa_next_free_sgpr 36
		.amdhsa_named_barrier_count 0
		.amdhsa_reserve_vcc 1
		.amdhsa_float_round_mode_32 0
		.amdhsa_float_round_mode_16_64 0
		.amdhsa_float_denorm_mode_32 3
		.amdhsa_float_denorm_mode_16_64 3
		.amdhsa_fp16_overflow 0
		.amdhsa_memory_ordered 1
		.amdhsa_forward_progress 1
		.amdhsa_inst_pref_size 13
		.amdhsa_round_robin_scheduling 0
		.amdhsa_exception_fp_ieee_invalid_op 0
		.amdhsa_exception_fp_denorm_src 0
		.amdhsa_exception_fp_ieee_div_zero 0
		.amdhsa_exception_fp_ieee_overflow 0
		.amdhsa_exception_fp_ieee_underflow 0
		.amdhsa_exception_fp_ieee_inexact 0
		.amdhsa_exception_int_div_zero 0
	.end_amdhsa_kernel
	.section	.text._ZL23rocblas_trmm_rNx_kernelILi16E19rocblas_complex_numIfEPKS1_S2_S1_Ev13rocblas_fill_17rocblas_diagonal_iiT1_lPT2_llS8_llPT3_lli,"axG",@progbits,_ZL23rocblas_trmm_rNx_kernelILi16E19rocblas_complex_numIfEPKS1_S2_S1_Ev13rocblas_fill_17rocblas_diagonal_iiT1_lPT2_llS8_llPT3_lli,comdat
.Lfunc_end102:
	.size	_ZL23rocblas_trmm_rNx_kernelILi16E19rocblas_complex_numIfEPKS1_S2_S1_Ev13rocblas_fill_17rocblas_diagonal_iiT1_lPT2_llS8_llPT3_lli, .Lfunc_end102-_ZL23rocblas_trmm_rNx_kernelILi16E19rocblas_complex_numIfEPKS1_S2_S1_Ev13rocblas_fill_17rocblas_diagonal_iiT1_lPT2_llS8_llPT3_lli
                                        ; -- End function
	.set _ZL23rocblas_trmm_rNx_kernelILi16E19rocblas_complex_numIfEPKS1_S2_S1_Ev13rocblas_fill_17rocblas_diagonal_iiT1_lPT2_llS8_llPT3_lli.num_vgpr, 67
	.set _ZL23rocblas_trmm_rNx_kernelILi16E19rocblas_complex_numIfEPKS1_S2_S1_Ev13rocblas_fill_17rocblas_diagonal_iiT1_lPT2_llS8_llPT3_lli.num_agpr, 0
	.set _ZL23rocblas_trmm_rNx_kernelILi16E19rocblas_complex_numIfEPKS1_S2_S1_Ev13rocblas_fill_17rocblas_diagonal_iiT1_lPT2_llS8_llPT3_lli.numbered_sgpr, 36
	.set _ZL23rocblas_trmm_rNx_kernelILi16E19rocblas_complex_numIfEPKS1_S2_S1_Ev13rocblas_fill_17rocblas_diagonal_iiT1_lPT2_llS8_llPT3_lli.num_named_barrier, 0
	.set _ZL23rocblas_trmm_rNx_kernelILi16E19rocblas_complex_numIfEPKS1_S2_S1_Ev13rocblas_fill_17rocblas_diagonal_iiT1_lPT2_llS8_llPT3_lli.private_seg_size, 0
	.set _ZL23rocblas_trmm_rNx_kernelILi16E19rocblas_complex_numIfEPKS1_S2_S1_Ev13rocblas_fill_17rocblas_diagonal_iiT1_lPT2_llS8_llPT3_lli.uses_vcc, 1
	.set _ZL23rocblas_trmm_rNx_kernelILi16E19rocblas_complex_numIfEPKS1_S2_S1_Ev13rocblas_fill_17rocblas_diagonal_iiT1_lPT2_llS8_llPT3_lli.uses_flat_scratch, 0
	.set _ZL23rocblas_trmm_rNx_kernelILi16E19rocblas_complex_numIfEPKS1_S2_S1_Ev13rocblas_fill_17rocblas_diagonal_iiT1_lPT2_llS8_llPT3_lli.has_dyn_sized_stack, 0
	.set _ZL23rocblas_trmm_rNx_kernelILi16E19rocblas_complex_numIfEPKS1_S2_S1_Ev13rocblas_fill_17rocblas_diagonal_iiT1_lPT2_llS8_llPT3_lli.has_recursion, 0
	.set _ZL23rocblas_trmm_rNx_kernelILi16E19rocblas_complex_numIfEPKS1_S2_S1_Ev13rocblas_fill_17rocblas_diagonal_iiT1_lPT2_llS8_llPT3_lli.has_indirect_call, 0
	.section	.AMDGPU.csdata,"",@progbits
; Kernel info:
; codeLenInByte = 1560
; TotalNumSgprs: 38
; NumVgprs: 67
; ScratchSize: 0
; MemoryBound: 0
; FloatMode: 240
; IeeeMode: 1
; LDSByteSize: 4096 bytes/workgroup (compile time only)
; SGPRBlocks: 0
; VGPRBlocks: 4
; NumSGPRsForWavesPerEU: 38
; NumVGPRsForWavesPerEU: 67
; NamedBarCnt: 0
; Occupancy: 12
; WaveLimiterHint : 0
; COMPUTE_PGM_RSRC2:SCRATCH_EN: 0
; COMPUTE_PGM_RSRC2:USER_SGPR: 2
; COMPUTE_PGM_RSRC2:TRAP_HANDLER: 0
; COMPUTE_PGM_RSRC2:TGID_X_EN: 1
; COMPUTE_PGM_RSRC2:TGID_Y_EN: 0
; COMPUTE_PGM_RSRC2:TGID_Z_EN: 1
; COMPUTE_PGM_RSRC2:TIDIG_COMP_CNT: 1
	.section	.text._ZL23rocblas_trmm_rNx_kernelILi16E19rocblas_complex_numIfES1_KS1_S1_Ev13rocblas_fill_17rocblas_diagonal_iiT1_lPT2_llS7_llPT3_lli,"axG",@progbits,_ZL23rocblas_trmm_rNx_kernelILi16E19rocblas_complex_numIfES1_KS1_S1_Ev13rocblas_fill_17rocblas_diagonal_iiT1_lPT2_llS7_llPT3_lli,comdat
	.globl	_ZL23rocblas_trmm_rNx_kernelILi16E19rocblas_complex_numIfES1_KS1_S1_Ev13rocblas_fill_17rocblas_diagonal_iiT1_lPT2_llS7_llPT3_lli ; -- Begin function _ZL23rocblas_trmm_rNx_kernelILi16E19rocblas_complex_numIfES1_KS1_S1_Ev13rocblas_fill_17rocblas_diagonal_iiT1_lPT2_llS7_llPT3_lli
	.p2align	8
	.type	_ZL23rocblas_trmm_rNx_kernelILi16E19rocblas_complex_numIfES1_KS1_S1_Ev13rocblas_fill_17rocblas_diagonal_iiT1_lPT2_llS7_llPT3_lli,@function
_ZL23rocblas_trmm_rNx_kernelILi16E19rocblas_complex_numIfES1_KS1_S1_Ev13rocblas_fill_17rocblas_diagonal_iiT1_lPT2_llS7_llPT3_lli: ; @_ZL23rocblas_trmm_rNx_kernelILi16E19rocblas_complex_numIfES1_KS1_S1_Ev13rocblas_fill_17rocblas_diagonal_iiT1_lPT2_llS7_llPT3_lli
; %bb.0:
	s_load_b32 s5, s[0:1], 0x68
	s_bfe_u32 s2, ttmp6, 0x40014
	s_lshr_b32 s3, ttmp7, 16
	s_add_co_i32 s2, s2, 1
	s_bfe_u32 s6, ttmp6, 0x40008
	s_mul_i32 s4, s3, s2
	s_getreg_b32 s2, hwreg(HW_REG_IB_STS2, 6, 4)
	s_add_co_i32 s6, s6, s4
	s_cmp_eq_u32 s2, 0
	s_mov_b32 s7, 0
	s_cselect_b32 s6, s3, s6
	s_wait_kmcnt 0x0
	s_cmp_ge_u32 s6, s5
	s_cbranch_scc1 .LBB103_19
; %bb.1:
	s_clause 0x2
	s_load_b64 s[28:29], s[0:1], 0x10
	s_load_b512 s[8:23], s[0:1], 0x20
	s_load_b128 s[24:27], s[0:1], 0x0
	v_bfe_u32 v12, v0, 10, 10
	v_mov_b32_e32 v13, 0
	v_and_b32_e32 v0, 0x3ff, v0
	s_load_b64 s[30:31], s[0:1], 0x60
	s_delay_alu instid0(VALU_DEP_3) | instskip(NEXT) | instid1(VALU_DEP_2)
	v_dual_lshlrev_b32 v2, 4, v12 :: v_dual_lshlrev_b32 v11, 7, v12
	v_cmp_eq_u32_e32 vcc_lo, v12, v0
	s_wait_xcnt 0x0
	v_cmp_lt_u32_e64 s0, v0, v12
	v_cmp_gt_u32_e64 s1, v0, v12
	v_add_lshl_u32 v9, v2, v0, 3
	v_mov_b32_e32 v1, v13
	v_lshl_add_u32 v8, v0, 3, 0x800
	s_delay_alu instid0(VALU_DEP_3) | instskip(NEXT) | instid1(VALU_DEP_3)
	v_add_nc_u32_e32 v10, 0x800, v9
	v_lshlrev_b64_e32 v[14:15], 3, v[0:1]
	s_wait_kmcnt 0x0
	s_cmp_neq_f32 s28, 0
	v_mul_u64_e32 v[2:3], s[10:11], v[12:13]
	v_mul_u64_e32 v[4:5], s[16:17], v[12:13]
	;; [unrolled: 1-line block ×3, first 2 shown]
	s_cselect_b32 s3, -1, 0
	s_cmp_neq_f32 s29, 0
	s_cselect_b32 s4, -1, 0
	s_add_co_i32 s11, s26, -1
	s_or_b32 s10, s3, s4
	s_ashr_i32 s3, s11, 31
	s_bfe_u32 s17, ttmp6, 0x4000c
	s_lshr_b32 s3, s3, 28
	s_add_co_i32 s17, s17, 1
	s_add_co_i32 s11, s11, s3
	s_and_b32 s16, ttmp6, 15
	s_mul_i32 s4, ttmp9, s17
	s_and_b32 s3, s11, -16
	s_add_co_i32 s16, s16, s4
	s_ashr_i32 s4, s11, 4
	s_sub_co_i32 s11, s26, s3
	s_cmp_eq_u32 s2, 0
	v_cmp_gt_i32_e64 s2, s27, v12
	s_cselect_b32 s16, ttmp9, s16
	v_cmp_gt_i32_e64 s3, s27, v0
	s_cmp_ge_i32 s16, s4
	s_cselect_b32 s4, s11, 16
	s_lshl_b32 s16, s16, 4
	v_cmp_gt_i32_e64 s4, s4, v0
	s_ashr_i32 s17, s16, 31
	v_lshl_add_u64 v[0:1], v[2:3], 3, s[8:9]
	s_lshl_b64 s[16:17], s[16:17], 3
	s_and_b32 s11, s2, s3
	s_add_nc_u64 s[14:15], s[14:15], s[16:17]
	s_add_nc_u64 s[16:17], s[20:21], s[16:17]
	v_lshl_add_u64 v[2:3], v[4:5], 3, s[14:15]
	v_lshl_add_u64 v[4:5], v[6:7], 3, s[16:17]
	s_and_b32 s4, s2, s4
	s_cmp_eq_u32 s25, 0x84
	v_add_nc_u64_e32 v[0:1], v[0:1], v[14:15]
	s_cselect_b32 s2, -1, 0
	v_add_nc_u64_e32 v[2:3], v[2:3], v[14:15]
	v_add_nc_u64_e32 v[4:5], v[4:5], v[14:15]
	v_mov_b64_e32 v[6:7], 0
	s_and_b32 s8, vcc_lo, s2
	s_cmp_lg_u32 s24, 0x79
	s_mov_b32 s2, s29
	s_cselect_b32 s9, -1, 0
	s_mov_b32 s3, s28
	s_branch .LBB103_4
.LBB103_2:                              ;   in Loop: Header=BB103_4 Depth=1
	s_wait_xcnt 0x0
	s_or_b32 exec_lo, exec_lo, s14
.LBB103_3:                              ;   in Loop: Header=BB103_4 Depth=1
	s_add_co_i32 s6, s6, 0x10000
	s_delay_alu instid0(SALU_CYCLE_1)
	s_cmp_lt_u32 s6, s5
	s_cbranch_scc0 .LBB103_19
.LBB103_4:                              ; =>This Inner Loop Header: Depth=1
	s_and_not1_b32 vcc_lo, exec_lo, s10
	s_cbranch_vccnz .LBB103_3
; %bb.5:                                ;   in Loop: Header=BB103_4 Depth=1
	ds_store_b64 v9, v[6:7]
	ds_store_b64 v10, v[6:7]
	s_and_saveexec_b32 s14, s11
	s_cbranch_execnz .LBB103_10
; %bb.6:                                ;   in Loop: Header=BB103_4 Depth=1
	s_or_b32 exec_lo, exec_lo, s14
	s_and_saveexec_b32 s14, s4
	s_cbranch_execnz .LBB103_11
.LBB103_7:                              ;   in Loop: Header=BB103_4 Depth=1
	s_or_b32 exec_lo, exec_lo, s14
	s_and_saveexec_b32 s14, s8
	s_cbranch_execnz .LBB103_12
.LBB103_8:                              ;   in Loop: Header=BB103_4 Depth=1
	s_or_b32 exec_lo, exec_lo, s14
	s_delay_alu instid0(SALU_CYCLE_1)
	s_and_b32 vcc_lo, exec_lo, s9
	s_cbranch_vccz .LBB103_13
.LBB103_9:                              ;   in Loop: Header=BB103_4 Depth=1
	s_and_b32 s14, s0, exec_lo
	s_cbranch_execz .LBB103_14
	s_branch .LBB103_15
.LBB103_10:                             ;   in Loop: Header=BB103_4 Depth=1
	s_mul_u64 s[16:17], s[12:13], s[6:7]
	s_delay_alu instid0(SALU_CYCLE_1)
	v_lshl_add_u64 v[12:13], s[16:17], 3, v[0:1]
	global_load_b64 v[12:13], v[12:13], off
	s_wait_loadcnt 0x0
	ds_store_b64 v9, v[12:13]
	s_wait_xcnt 0x0
	s_or_b32 exec_lo, exec_lo, s14
	s_and_saveexec_b32 s14, s4
	s_cbranch_execz .LBB103_7
.LBB103_11:                             ;   in Loop: Header=BB103_4 Depth=1
	s_mul_u64 s[16:17], s[18:19], s[6:7]
	s_delay_alu instid0(SALU_CYCLE_1)
	v_lshl_add_u64 v[12:13], s[16:17], 3, v[2:3]
	global_load_b64 v[12:13], v[12:13], off
	s_wait_loadcnt 0x0
	ds_store_b64 v10, v[12:13]
	s_wait_xcnt 0x0
	s_or_b32 exec_lo, exec_lo, s14
	s_and_saveexec_b32 s14, s8
	s_cbranch_execz .LBB103_8
.LBB103_12:                             ;   in Loop: Header=BB103_4 Depth=1
	v_mov_b64_e32 v[12:13], 0x3f800000
	ds_store_b64 v9, v[12:13]
	s_or_b32 exec_lo, exec_lo, s14
	s_delay_alu instid0(SALU_CYCLE_1)
	s_and_b32 vcc_lo, exec_lo, s9
	s_cbranch_vccnz .LBB103_9
.LBB103_13:                             ;   in Loop: Header=BB103_4 Depth=1
	s_mov_b32 s14, 0
.LBB103_14:                             ;   in Loop: Header=BB103_4 Depth=1
	s_delay_alu instid0(SALU_CYCLE_1) | instskip(SKIP_1) | instid1(SALU_CYCLE_1)
	s_and_not1_b32 s14, s14, exec_lo
	s_and_b32 s15, s1, exec_lo
	s_or_b32 s14, s14, s15
.LBB103_15:                             ;   in Loop: Header=BB103_4 Depth=1
	s_delay_alu instid0(SALU_CYCLE_1)
	s_and_saveexec_b32 s15, s14
; %bb.16:                               ;   in Loop: Header=BB103_4 Depth=1
	ds_store_b64 v9, v[6:7]
; %bb.17:                               ;   in Loop: Header=BB103_4 Depth=1
	s_or_b32 exec_lo, exec_lo, s15
	s_wait_dscnt 0x0
	s_barrier_signal -1
	s_barrier_wait -1
	s_and_saveexec_b32 s14, s4
	s_cbranch_execz .LBB103_2
; %bb.18:                               ;   in Loop: Header=BB103_4 Depth=1
	ds_load_2addr_b64 v[12:15], v8 offset1:16
	ds_load_b128 v[16:19], v11
	ds_load_b128 v[20:23], v11 offset:16
	ds_load_2addr_b64 v[24:27], v8 offset0:32 offset1:48
	ds_load_b128 v[28:31], v11 offset:32
	ds_load_b128 v[32:35], v11 offset:48
	ds_load_2addr_b64 v[36:39], v8 offset0:64 offset1:80
	ds_load_2addr_b64 v[40:43], v8 offset0:96 offset1:112
	;; [unrolled: 1-line block ×3, first 2 shown]
	ds_load_b128 v[48:51], v11 offset:64
	ds_load_b128 v[52:55], v11 offset:80
	s_mul_u64 s[16:17], s[30:31], s[6:7]
	s_wait_dscnt 0x9
	v_dual_mul_f32 v56, v16, v13 :: v_dual_mul_f32 v57, v18, v15
	v_dual_mul_f32 v13, v17, v13 :: v_dual_mul_f32 v15, v19, v15
	s_wait_dscnt 0x7
	s_delay_alu instid0(VALU_DEP_2) | instskip(NEXT) | instid1(VALU_DEP_3)
	v_dual_mul_f32 v58, v20, v25 :: v_dual_fmac_f32 v56, v17, v12
	v_fmac_f32_e32 v57, v19, v14
	s_delay_alu instid0(VALU_DEP_3) | instskip(SKIP_1) | instid1(VALU_DEP_4)
	v_dual_fma_f32 v59, v16, v12, -v13 :: v_dual_mul_f32 v61, v22, v27
	v_dual_mul_f32 v16, v21, v25 :: v_dual_mul_f32 v17, v23, v27
	v_dual_fma_f32 v60, v18, v14, -v15 :: v_dual_fmac_f32 v58, v21, v24
	s_delay_alu instid0(VALU_DEP_2)
	v_dual_fmac_f32 v61, v23, v26 :: v_dual_fma_f32 v62, v20, v24, -v16
	s_wait_dscnt 0x4
	v_dual_add_f32 v20, 0, v56 :: v_dual_mul_f32 v63, v28, v37
	v_add_f32_e32 v21, 0, v59
	ds_load_2addr_b64 v[12:15], v8 offset0:160 offset1:176
	v_dual_fma_f32 v56, v22, v26, -v17 :: v_dual_add_f32 v20, v20, v57
	v_dual_mul_f32 v57, v30, v39 :: v_dual_mul_f32 v24, v29, v37
	v_dual_mul_f32 v25, v31, v39 :: v_dual_add_f32 v37, v21, v60
	s_delay_alu instid0(VALU_DEP_3) | instskip(NEXT) | instid1(VALU_DEP_3)
	v_dual_add_f32 v26, v20, v58 :: v_dual_fmac_f32 v63, v29, v36
	v_dual_fmac_f32 v57, v31, v38 :: v_dual_fma_f32 v36, v28, v36, -v24
	s_delay_alu instid0(VALU_DEP_2) | instskip(SKIP_2) | instid1(VALU_DEP_2)
	v_dual_add_f32 v37, v37, v62 :: v_dual_add_f32 v39, v26, v61
	s_wait_dscnt 0x4
	v_dual_fma_f32 v38, v30, v38, -v25 :: v_dual_mul_f32 v58, v32, v41
	v_dual_mul_f32 v59, v34, v43 :: v_dual_add_f32 v37, v37, v56
	s_wait_dscnt 0x2
	v_dual_add_f32 v39, v39, v63 :: v_dual_mul_f32 v60, v48, v45
	s_delay_alu instid0(VALU_DEP_3)
	v_dual_fmac_f32 v58, v33, v40 :: v_dual_mul_f32 v33, v33, v41
	ds_load_2addr_b64 v[16:19], v8 offset0:192 offset1:208
	v_dual_add_f32 v39, v39, v57 :: v_dual_add_f32 v36, v37, v36
	ds_load_b128 v[20:23], v11 offset:96
	v_dual_fmac_f32 v59, v35, v42 :: v_dual_mul_f32 v35, v35, v43
	s_wait_dscnt 0x2
	v_dual_add_f32 v37, v39, v58 :: v_dual_mul_f32 v39, v54, v15
	v_dual_add_f32 v36, v36, v38 :: v_dual_fmac_f32 v60, v49, v44
	s_delay_alu instid0(VALU_DEP_2) | instskip(SKIP_2) | instid1(VALU_DEP_2)
	v_dual_fma_f32 v32, v32, v40, -v33 :: v_dual_add_f32 v33, v37, v59
	v_dual_mul_f32 v56, v50, v47 :: v_dual_mul_f32 v57, v52, v13
	v_dual_mul_f32 v37, v49, v45 :: v_dual_fma_f32 v34, v34, v42, -v35
	v_dual_add_f32 v32, v36, v32 :: v_dual_fmac_f32 v56, v51, v46
	ds_load_b128 v[24:27], v11 offset:112
	ds_load_2addr_b64 v[28:31], v8 offset0:224 offset1:240
	v_dual_add_f32 v33, v33, v60 :: v_dual_mul_f32 v35, v51, v47
	v_dual_fma_f32 v36, v48, v44, -v37 :: v_dual_mul_f32 v13, v53, v13
	v_dual_add_f32 v32, v32, v34 :: v_dual_fmac_f32 v57, v53, v12
	s_delay_alu instid0(VALU_DEP_3) | instskip(NEXT) | instid1(VALU_DEP_2)
	v_dual_add_f32 v33, v33, v56 :: v_dual_fma_f32 v34, v50, v46, -v35
	v_dual_fmac_f32 v39, v55, v14 :: v_dual_add_f32 v32, v32, v36
	s_wait_dscnt 0x2
	v_dual_mul_f32 v35, v20, v17 :: v_dual_mul_f32 v15, v55, v15
	s_delay_alu instid0(VALU_DEP_3) | instskip(NEXT) | instid1(VALU_DEP_2)
	v_dual_add_f32 v33, v33, v57 :: v_dual_fma_f32 v12, v52, v12, -v13
	v_dual_add_f32 v13, v32, v34 :: v_dual_fmac_f32 v35, v21, v16
	s_delay_alu instid0(VALU_DEP_2) | instskip(NEXT) | instid1(VALU_DEP_2)
	v_add_f32_e32 v32, v33, v39
	v_dual_mul_f32 v33, v22, v19 :: v_dual_add_f32 v12, v13, v12
	v_dual_fma_f32 v13, v54, v14, -v15 :: v_dual_mul_f32 v14, v21, v17
	s_delay_alu instid0(VALU_DEP_2) | instskip(SKIP_2) | instid1(VALU_DEP_3)
	v_dual_add_f32 v15, v32, v35 :: v_dual_fmac_f32 v33, v23, v18
	s_wait_dscnt 0x0
	v_mul_f32_e32 v17, v24, v29
	v_add_f32_e32 v12, v12, v13
	v_dual_fma_f32 v13, v20, v16, -v14 :: v_dual_mul_f32 v14, v23, v19
	s_delay_alu instid0(VALU_DEP_3) | instskip(NEXT) | instid1(VALU_DEP_2)
	v_dual_add_f32 v15, v15, v33 :: v_dual_fmac_f32 v17, v25, v28
	v_dual_mul_f32 v16, v26, v31 :: v_dual_add_f32 v12, v12, v13
	s_delay_alu instid0(VALU_DEP_3) | instskip(SKIP_1) | instid1(VALU_DEP_3)
	v_dual_fma_f32 v13, v22, v18, -v14 :: v_dual_mul_f32 v14, v25, v29
	v_lshl_add_u64 v[20:21], s[16:17], 3, v[4:5]
	v_fmac_f32_e32 v16, v27, v30
	v_add_f32_e32 v15, v15, v17
	s_delay_alu instid0(VALU_DEP_4) | instskip(SKIP_1) | instid1(VALU_DEP_2)
	v_dual_add_f32 v13, v12, v13 :: v_dual_mul_f32 v17, v27, v31
	v_fma_f32 v14, v24, v28, -v14
	v_dual_add_f32 v12, v15, v16 :: v_dual_fma_f32 v16, v26, v30, -v17
	s_delay_alu instid0(VALU_DEP_2) | instskip(SKIP_1) | instid1(VALU_DEP_2)
	v_add_f32_e32 v13, v13, v14
	v_mov_b64_e32 v[14:15], s[2:3]
	v_add_f32_e32 v16, v13, v16
	s_delay_alu instid0(VALU_DEP_2) | instskip(SKIP_1) | instid1(VALU_DEP_1)
	v_pk_mul_f32 v[12:13], v[14:15], v[12:13] op_sel_hi:[1,0]
	v_mov_b64_e32 v[14:15], s[28:29]
	v_pk_fma_f32 v[18:19], v[14:15], v[16:17], v[12:13] op_sel_hi:[1,0,1]
	v_pk_fma_f32 v[12:13], v[14:15], v[16:17], v[12:13] neg_lo:[0,0,1] neg_hi:[0,0,1]
	s_delay_alu instid0(VALU_DEP_2)
	v_mov_b32_e32 v13, v19
	global_store_b64 v[20:21], v[12:13], off
	s_branch .LBB103_2
.LBB103_19:
	s_endpgm
	.section	.rodata,"a",@progbits
	.p2align	6, 0x0
	.amdhsa_kernel _ZL23rocblas_trmm_rNx_kernelILi16E19rocblas_complex_numIfES1_KS1_S1_Ev13rocblas_fill_17rocblas_diagonal_iiT1_lPT2_llS7_llPT3_lli
		.amdhsa_group_segment_fixed_size 4096
		.amdhsa_private_segment_fixed_size 0
		.amdhsa_kernarg_size 108
		.amdhsa_user_sgpr_count 2
		.amdhsa_user_sgpr_dispatch_ptr 0
		.amdhsa_user_sgpr_queue_ptr 0
		.amdhsa_user_sgpr_kernarg_segment_ptr 1
		.amdhsa_user_sgpr_dispatch_id 0
		.amdhsa_user_sgpr_kernarg_preload_length 0
		.amdhsa_user_sgpr_kernarg_preload_offset 0
		.amdhsa_user_sgpr_private_segment_size 0
		.amdhsa_wavefront_size32 1
		.amdhsa_uses_dynamic_stack 0
		.amdhsa_enable_private_segment 0
		.amdhsa_system_sgpr_workgroup_id_x 1
		.amdhsa_system_sgpr_workgroup_id_y 0
		.amdhsa_system_sgpr_workgroup_id_z 1
		.amdhsa_system_sgpr_workgroup_info 0
		.amdhsa_system_vgpr_workitem_id 1
		.amdhsa_next_free_vgpr 64
		.amdhsa_next_free_sgpr 32
		.amdhsa_named_barrier_count 0
		.amdhsa_reserve_vcc 1
		.amdhsa_float_round_mode_32 0
		.amdhsa_float_round_mode_16_64 0
		.amdhsa_float_denorm_mode_32 3
		.amdhsa_float_denorm_mode_16_64 3
		.amdhsa_fp16_overflow 0
		.amdhsa_memory_ordered 1
		.amdhsa_forward_progress 1
		.amdhsa_inst_pref_size 13
		.amdhsa_round_robin_scheduling 0
		.amdhsa_exception_fp_ieee_invalid_op 0
		.amdhsa_exception_fp_denorm_src 0
		.amdhsa_exception_fp_ieee_div_zero 0
		.amdhsa_exception_fp_ieee_overflow 0
		.amdhsa_exception_fp_ieee_underflow 0
		.amdhsa_exception_fp_ieee_inexact 0
		.amdhsa_exception_int_div_zero 0
	.end_amdhsa_kernel
	.section	.text._ZL23rocblas_trmm_rNx_kernelILi16E19rocblas_complex_numIfES1_KS1_S1_Ev13rocblas_fill_17rocblas_diagonal_iiT1_lPT2_llS7_llPT3_lli,"axG",@progbits,_ZL23rocblas_trmm_rNx_kernelILi16E19rocblas_complex_numIfES1_KS1_S1_Ev13rocblas_fill_17rocblas_diagonal_iiT1_lPT2_llS7_llPT3_lli,comdat
.Lfunc_end103:
	.size	_ZL23rocblas_trmm_rNx_kernelILi16E19rocblas_complex_numIfES1_KS1_S1_Ev13rocblas_fill_17rocblas_diagonal_iiT1_lPT2_llS7_llPT3_lli, .Lfunc_end103-_ZL23rocblas_trmm_rNx_kernelILi16E19rocblas_complex_numIfES1_KS1_S1_Ev13rocblas_fill_17rocblas_diagonal_iiT1_lPT2_llS7_llPT3_lli
                                        ; -- End function
	.set _ZL23rocblas_trmm_rNx_kernelILi16E19rocblas_complex_numIfES1_KS1_S1_Ev13rocblas_fill_17rocblas_diagonal_iiT1_lPT2_llS7_llPT3_lli.num_vgpr, 64
	.set _ZL23rocblas_trmm_rNx_kernelILi16E19rocblas_complex_numIfES1_KS1_S1_Ev13rocblas_fill_17rocblas_diagonal_iiT1_lPT2_llS7_llPT3_lli.num_agpr, 0
	.set _ZL23rocblas_trmm_rNx_kernelILi16E19rocblas_complex_numIfES1_KS1_S1_Ev13rocblas_fill_17rocblas_diagonal_iiT1_lPT2_llS7_llPT3_lli.numbered_sgpr, 32
	.set _ZL23rocblas_trmm_rNx_kernelILi16E19rocblas_complex_numIfES1_KS1_S1_Ev13rocblas_fill_17rocblas_diagonal_iiT1_lPT2_llS7_llPT3_lli.num_named_barrier, 0
	.set _ZL23rocblas_trmm_rNx_kernelILi16E19rocblas_complex_numIfES1_KS1_S1_Ev13rocblas_fill_17rocblas_diagonal_iiT1_lPT2_llS7_llPT3_lli.private_seg_size, 0
	.set _ZL23rocblas_trmm_rNx_kernelILi16E19rocblas_complex_numIfES1_KS1_S1_Ev13rocblas_fill_17rocblas_diagonal_iiT1_lPT2_llS7_llPT3_lli.uses_vcc, 1
	.set _ZL23rocblas_trmm_rNx_kernelILi16E19rocblas_complex_numIfES1_KS1_S1_Ev13rocblas_fill_17rocblas_diagonal_iiT1_lPT2_llS7_llPT3_lli.uses_flat_scratch, 0
	.set _ZL23rocblas_trmm_rNx_kernelILi16E19rocblas_complex_numIfES1_KS1_S1_Ev13rocblas_fill_17rocblas_diagonal_iiT1_lPT2_llS7_llPT3_lli.has_dyn_sized_stack, 0
	.set _ZL23rocblas_trmm_rNx_kernelILi16E19rocblas_complex_numIfES1_KS1_S1_Ev13rocblas_fill_17rocblas_diagonal_iiT1_lPT2_llS7_llPT3_lli.has_recursion, 0
	.set _ZL23rocblas_trmm_rNx_kernelILi16E19rocblas_complex_numIfES1_KS1_S1_Ev13rocblas_fill_17rocblas_diagonal_iiT1_lPT2_llS7_llPT3_lli.has_indirect_call, 0
	.section	.AMDGPU.csdata,"",@progbits
; Kernel info:
; codeLenInByte = 1564
; TotalNumSgprs: 34
; NumVgprs: 64
; ScratchSize: 0
; MemoryBound: 0
; FloatMode: 240
; IeeeMode: 1
; LDSByteSize: 4096 bytes/workgroup (compile time only)
; SGPRBlocks: 0
; VGPRBlocks: 3
; NumSGPRsForWavesPerEU: 34
; NumVGPRsForWavesPerEU: 64
; NamedBarCnt: 0
; Occupancy: 16
; WaveLimiterHint : 0
; COMPUTE_PGM_RSRC2:SCRATCH_EN: 0
; COMPUTE_PGM_RSRC2:USER_SGPR: 2
; COMPUTE_PGM_RSRC2:TRAP_HANDLER: 0
; COMPUTE_PGM_RSRC2:TGID_X_EN: 1
; COMPUTE_PGM_RSRC2:TGID_Y_EN: 0
; COMPUTE_PGM_RSRC2:TGID_Z_EN: 1
; COMPUTE_PGM_RSRC2:TIDIG_COMP_CNT: 1
	.section	.text._ZL23rocblas_trmm_rTx_kernelILi16ELb0E19rocblas_complex_numIfEPKS1_S2_S1_Ev13rocblas_fill_17rocblas_diagonal_iiT2_lPT3_llS8_llPT4_lli,"axG",@progbits,_ZL23rocblas_trmm_rTx_kernelILi16ELb0E19rocblas_complex_numIfEPKS1_S2_S1_Ev13rocblas_fill_17rocblas_diagonal_iiT2_lPT3_llS8_llPT4_lli,comdat
	.globl	_ZL23rocblas_trmm_rTx_kernelILi16ELb0E19rocblas_complex_numIfEPKS1_S2_S1_Ev13rocblas_fill_17rocblas_diagonal_iiT2_lPT3_llS8_llPT4_lli ; -- Begin function _ZL23rocblas_trmm_rTx_kernelILi16ELb0E19rocblas_complex_numIfEPKS1_S2_S1_Ev13rocblas_fill_17rocblas_diagonal_iiT2_lPT3_llS8_llPT4_lli
	.p2align	8
	.type	_ZL23rocblas_trmm_rTx_kernelILi16ELb0E19rocblas_complex_numIfEPKS1_S2_S1_Ev13rocblas_fill_17rocblas_diagonal_iiT2_lPT3_llS8_llPT4_lli,@function
_ZL23rocblas_trmm_rTx_kernelILi16ELb0E19rocblas_complex_numIfEPKS1_S2_S1_Ev13rocblas_fill_17rocblas_diagonal_iiT2_lPT3_llS8_llPT4_lli: ; @_ZL23rocblas_trmm_rTx_kernelILi16ELb0E19rocblas_complex_numIfEPKS1_S2_S1_Ev13rocblas_fill_17rocblas_diagonal_iiT2_lPT3_llS8_llPT4_lli
; %bb.0:
	s_load_b32 s5, s[0:1], 0x68
	s_bfe_u32 s2, ttmp6, 0x40014
	s_lshr_b32 s3, ttmp7, 16
	s_add_co_i32 s2, s2, 1
	s_bfe_u32 s6, ttmp6, 0x40008
	s_mul_i32 s4, s3, s2
	s_getreg_b32 s2, hwreg(HW_REG_IB_STS2, 6, 4)
	s_add_co_i32 s6, s6, s4
	s_cmp_eq_u32 s2, 0
	s_mov_b32 s7, 0
	s_cselect_b32 s6, s3, s6
	s_wait_kmcnt 0x0
	s_cmp_ge_u32 s6, s5
	s_cbranch_scc1 .LBB104_19
; %bb.1:
	s_clause 0x3
	s_load_b128 s[24:27], s[0:1], 0x0
	s_load_b512 s[8:23], s[0:1], 0x10
	s_load_b128 s[28:31], s[0:1], 0x50
	s_load_b64 s[34:35], s[0:1], 0x60
	v_bfe_u32 v2, v0, 10, 10
	v_mov_b32_e32 v3, 0
	s_wait_xcnt 0x0
	s_bfe_u32 s0, ttmp6, 0x4000c
	s_and_b32 s1, ttmp6, 15
	s_add_co_i32 s0, s0, 1
	v_lshlrev_b32_e32 v10, 4, v2
	s_mul_i32 s3, ttmp9, s0
	v_and_b32_e32 v12, 0x3ff, v0
	s_add_co_i32 s3, s1, s3
	v_mov_b32_e32 v13, v3
	v_mov_b64_e32 v[0:1], 0
	s_delay_alu instid0(VALU_DEP_3)
	v_cmp_eq_u32_e32 vcc_lo, v2, v12
	v_add_lshl_u32 v14, v10, v12, 3
	v_lshl_add_u32 v16, v12, 3, 0x800
	s_wait_kmcnt 0x0
	s_add_co_i32 s4, s26, -1
	v_mul_u64_e32 v[4:5], s[14:15], v[2:3]
	v_mul_u64_e32 v[6:7], s[20:21], v[2:3]
	;; [unrolled: 1-line block ×3, first 2 shown]
	s_ashr_i32 s0, s4, 31
	v_add_nc_u32_e32 v15, 0x800, v14
	s_lshr_b32 s14, s0, 28
	v_cmp_lt_u32_e64 s0, v12, v2
	s_add_co_i32 s4, s4, s14
	s_delay_alu instid0(SALU_CYCLE_1)
	s_and_b32 s1, s4, -16
	s_ashr_i32 s4, s4, 4
	s_sub_co_i32 s14, s26, s1
	s_cmp_eq_u32 s2, 0
	v_cmp_gt_i32_e64 s2, s27, v2
	s_cselect_b32 s3, ttmp9, s3
	v_cmp_gt_u32_e64 s1, v12, v2
	s_cmp_ge_i32 s3, s4
	v_lshlrev_b32_e32 v2, 3, v2
	s_cselect_b32 s4, s14, 16
	s_lshl_b32 s14, s3, 4
	v_cmp_gt_i32_e64 s3, s27, v12
	s_ashr_i32 s15, s14, 31
	v_cmp_gt_i32_e64 s4, s4, v12
	s_lshl_b64 s[14:15], s[14:15], 3
	v_lshlrev_b64_e32 v[10:11], 3, v[12:13]
	s_add_nc_u64 s[18:19], s[18:19], s[14:15]
	s_add_nc_u64 s[14:15], s[28:29], s[14:15]
	s_and_b32 s3, s2, s3
	s_and_b32 s4, s2, s4
	s_cmp_eq_u32 s25, 0x84
	s_cselect_b32 s2, -1, 0
	v_lshl_add_u64 v[4:5], v[4:5], 3, s[12:13]
	v_lshl_add_u64 v[6:7], v[6:7], 3, s[18:19]
	;; [unrolled: 1-line block ×3, first 2 shown]
	s_and_b32 s12, vcc_lo, s2
	s_cmp_lg_u32 s24, 0x79
	v_add_nc_u64_e32 v[4:5], v[4:5], v[10:11]
	v_add_nc_u64_e32 v[6:7], v[6:7], v[10:11]
	;; [unrolled: 1-line block ×3, first 2 shown]
	v_mov_b64_e32 v[10:11], 0x3f800000
	s_cselect_b32 s13, -1, 0
	s_branch .LBB104_4
.LBB104_2:                              ;   in Loop: Header=BB104_4 Depth=1
	s_wait_xcnt 0x0
	s_or_b32 exec_lo, exec_lo, s2
.LBB104_3:                              ;   in Loop: Header=BB104_4 Depth=1
	s_add_co_i32 s6, s6, 0x10000
	s_delay_alu instid0(SALU_CYCLE_1)
	s_cmp_lt_u32 s6, s5
	s_cbranch_scc0 .LBB104_19
.LBB104_4:                              ; =>This Inner Loop Header: Depth=1
	s_wait_xcnt 0x0
	s_mul_u64 s[14:15], s[10:11], s[6:7]
	s_delay_alu instid0(SALU_CYCLE_1) | instskip(NEXT) | instid1(SALU_CYCLE_1)
	s_lshl_b64 s[14:15], s[14:15], 3
	s_add_nc_u64 s[14:15], s[8:9], s[14:15]
	global_load_b64 v[12:13], v3, s[14:15]
	s_wait_loadcnt 0x0
	v_cmp_neq_f32_e32 vcc_lo, 0, v12
	v_cmp_neq_f32_e64 s2, 0, v13
	s_or_b32 s2, vcc_lo, s2
	s_delay_alu instid0(SALU_CYCLE_1)
	s_and_not1_b32 vcc_lo, exec_lo, s2
	s_cbranch_vccnz .LBB104_3
; %bb.5:                                ;   in Loop: Header=BB104_4 Depth=1
	ds_store_b64 v14, v[0:1]
	ds_store_b64 v15, v[0:1]
	s_wait_xcnt 0x0
	s_and_saveexec_b32 s2, s3
	s_cbranch_execnz .LBB104_10
; %bb.6:                                ;   in Loop: Header=BB104_4 Depth=1
	s_or_b32 exec_lo, exec_lo, s2
	s_and_saveexec_b32 s2, s4
	s_cbranch_execnz .LBB104_11
.LBB104_7:                              ;   in Loop: Header=BB104_4 Depth=1
	s_or_b32 exec_lo, exec_lo, s2
	s_and_saveexec_b32 s2, s12
	s_cbranch_execnz .LBB104_12
.LBB104_8:                              ;   in Loop: Header=BB104_4 Depth=1
	s_or_b32 exec_lo, exec_lo, s2
	s_delay_alu instid0(SALU_CYCLE_1)
	s_and_b32 vcc_lo, exec_lo, s13
	s_cbranch_vccz .LBB104_13
.LBB104_9:                              ;   in Loop: Header=BB104_4 Depth=1
	s_and_b32 s2, s0, exec_lo
	s_cbranch_execz .LBB104_14
	s_branch .LBB104_15
.LBB104_10:                             ;   in Loop: Header=BB104_4 Depth=1
	s_mul_u64 s[14:15], s[16:17], s[6:7]
	s_delay_alu instid0(SALU_CYCLE_1)
	v_lshl_add_u64 v[18:19], s[14:15], 3, v[4:5]
	global_load_b64 v[18:19], v[18:19], off
	s_wait_loadcnt 0x0
	ds_store_b64 v14, v[18:19]
	s_wait_xcnt 0x0
	s_or_b32 exec_lo, exec_lo, s2
	s_and_saveexec_b32 s2, s4
	s_cbranch_execz .LBB104_7
.LBB104_11:                             ;   in Loop: Header=BB104_4 Depth=1
	s_mul_u64 s[14:15], s[22:23], s[6:7]
	s_delay_alu instid0(SALU_CYCLE_1)
	v_lshl_add_u64 v[18:19], s[14:15], 3, v[6:7]
	global_load_b64 v[18:19], v[18:19], off
	s_wait_loadcnt 0x0
	ds_store_b64 v15, v[18:19]
	s_wait_xcnt 0x0
	s_or_b32 exec_lo, exec_lo, s2
	s_and_saveexec_b32 s2, s12
	s_cbranch_execz .LBB104_8
.LBB104_12:                             ;   in Loop: Header=BB104_4 Depth=1
	ds_store_b64 v14, v[10:11]
	s_or_b32 exec_lo, exec_lo, s2
	s_delay_alu instid0(SALU_CYCLE_1)
	s_and_b32 vcc_lo, exec_lo, s13
	s_cbranch_vccnz .LBB104_9
.LBB104_13:                             ;   in Loop: Header=BB104_4 Depth=1
	s_mov_b32 s2, 0
.LBB104_14:                             ;   in Loop: Header=BB104_4 Depth=1
	s_delay_alu instid0(SALU_CYCLE_1) | instskip(SKIP_1) | instid1(SALU_CYCLE_1)
	s_and_not1_b32 s2, s2, exec_lo
	s_and_b32 s14, s1, exec_lo
	s_or_b32 s2, s2, s14
.LBB104_15:                             ;   in Loop: Header=BB104_4 Depth=1
	s_delay_alu instid0(SALU_CYCLE_1)
	s_and_saveexec_b32 s14, s2
; %bb.16:                               ;   in Loop: Header=BB104_4 Depth=1
	ds_store_b64 v14, v[0:1]
; %bb.17:                               ;   in Loop: Header=BB104_4 Depth=1
	s_or_b32 exec_lo, exec_lo, s14
	s_wait_dscnt 0x0
	s_barrier_signal -1
	s_barrier_wait -1
	s_and_saveexec_b32 s2, s4
	s_cbranch_execz .LBB104_2
; %bb.18:                               ;   in Loop: Header=BB104_4 Depth=1
	ds_load_2addr_b64 v[18:21], v2 offset1:16
	ds_load_2addr_b64 v[22:25], v16 offset1:16
	ds_load_2addr_b64 v[26:29], v2 offset0:32 offset1:48
	ds_load_2addr_b64 v[30:33], v16 offset0:32 offset1:48
	;; [unrolled: 1-line block ×8, first 2 shown]
	s_mul_u64 s[14:15], s[34:35], s[6:7]
	s_wait_dscnt 0x8
	v_dual_mul_f32 v17, v18, v23 :: v_dual_mul_f32 v58, v20, v25
	v_dual_mul_f32 v23, v19, v23 :: v_dual_mul_f32 v25, v21, v25
	s_wait_dscnt 0x6
	v_dual_mul_f32 v59, v26, v31 :: v_dual_mul_f32 v60, v28, v33
	s_delay_alu instid0(VALU_DEP_3) | instskip(NEXT) | instid1(VALU_DEP_3)
	v_dual_mul_f32 v31, v27, v31 :: v_dual_fmac_f32 v58, v21, v24
	v_dual_fmac_f32 v17, v19, v22 :: v_dual_fma_f32 v61, v18, v22, -v23
	v_dual_fma_f32 v62, v20, v24, -v25 :: v_dual_mul_f32 v22, v29, v33
	s_delay_alu instid0(VALU_DEP_4) | instskip(NEXT) | instid1(VALU_DEP_3)
	v_dual_fmac_f32 v59, v27, v30 :: v_dual_fmac_f32 v60, v29, v32
	v_dual_fma_f32 v63, v26, v30, -v31 :: v_dual_add_f32 v17, 0, v17
	s_wait_dscnt 0x4
	v_dual_mul_f32 v65, v34, v39 :: v_dual_mul_f32 v66, v36, v41
	v_dual_mul_f32 v30, v35, v39 :: v_dual_mul_f32 v31, v37, v41
	s_delay_alu instid0(VALU_DEP_3) | instskip(NEXT) | instid1(VALU_DEP_3)
	v_add_f32_e32 v17, v17, v58
	v_fmac_f32_e32 v65, v35, v38
	ds_load_2addr_b64 v[18:21], v2 offset0:160 offset1:176
	v_dual_fma_f32 v58, v34, v38, -v30 :: v_dual_add_f32 v38, 0, v61
	v_fma_f32 v64, v28, v32, -v22
	ds_load_2addr_b64 v[22:25], v16 offset0:160 offset1:176
	v_add_f32_e32 v17, v17, v59
	s_wait_dscnt 0x4
	v_mul_f32_e32 v59, v42, v47
	v_dual_add_f32 v38, v38, v62 :: v_dual_fmac_f32 v66, v37, v40
	v_fma_f32 v61, v36, v40, -v31
	v_dual_add_f32 v17, v17, v60 :: v_dual_mul_f32 v60, v44, v49
	s_delay_alu instid0(VALU_DEP_3) | instskip(SKIP_1) | instid1(VALU_DEP_3)
	v_add_f32_e32 v38, v38, v63
	v_dual_mul_f32 v39, v43, v47 :: v_dual_mul_f32 v40, v45, v49
	v_dual_add_f32 v17, v17, v65 :: v_dual_fmac_f32 v59, v43, v46
	s_delay_alu instid0(VALU_DEP_4) | instskip(NEXT) | instid1(VALU_DEP_4)
	v_fmac_f32_e32 v60, v45, v48
	v_add_f32_e32 v43, v38, v64
	ds_load_2addr_b64 v[26:29], v2 offset0:192 offset1:208
	v_add_f32_e32 v17, v17, v66
	v_dual_fma_f32 v42, v42, v46, -v39 :: v_dual_fma_f32 v44, v44, v48, -v40
	s_wait_dscnt 0x3
	v_dual_add_f32 v43, v43, v58 :: v_dual_mul_f32 v45, v50, v55
	s_delay_alu instid0(VALU_DEP_3) | instskip(SKIP_1) | instid1(VALU_DEP_2)
	v_dual_add_f32 v17, v17, v59 :: v_dual_mul_f32 v46, v52, v57
	s_wait_dscnt 0x1
	v_dual_mul_f32 v47, v18, v23 :: v_dual_add_f32 v43, v43, v61
	ds_load_2addr_b64 v[30:33], v16 offset0:192 offset1:208
	ds_load_2addr_b64 v[34:37], v2 offset0:224 offset1:240
	v_dual_fmac_f32 v45, v51, v54 :: v_dual_add_f32 v17, v17, v60
	v_dual_mul_f32 v48, v20, v25 :: v_dual_mul_f32 v49, v51, v55
	v_dual_add_f32 v42, v43, v42 :: v_dual_fmac_f32 v46, v53, v56
	ds_load_2addr_b64 v[38:41], v16 offset0:224 offset1:240
	v_dual_add_f32 v17, v17, v45 :: v_dual_fma_f32 v45, v50, v54, -v49
	v_dual_mul_f32 v43, v53, v57 :: v_dual_add_f32 v42, v42, v44
	v_dual_fmac_f32 v47, v19, v22 :: v_dual_mul_f32 v19, v19, v23
	s_delay_alu instid0(VALU_DEP_2) | instskip(NEXT) | instid1(VALU_DEP_3)
	v_dual_add_f32 v17, v17, v46 :: v_dual_fma_f32 v23, v52, v56, -v43
	v_dual_add_f32 v42, v42, v45 :: v_dual_fmac_f32 v48, v21, v24
	s_delay_alu instid0(VALU_DEP_2) | instskip(SKIP_2) | instid1(VALU_DEP_3)
	v_dual_fma_f32 v18, v18, v22, -v19 :: v_dual_add_f32 v17, v17, v47
	s_wait_dscnt 0x2
	v_dual_mul_f32 v43, v26, v31 :: v_dual_mul_f32 v21, v21, v25
	v_dual_add_f32 v19, v42, v23 :: v_dual_mul_f32 v22, v28, v33
	s_delay_alu instid0(VALU_DEP_2) | instskip(NEXT) | instid1(VALU_DEP_2)
	v_dual_add_f32 v17, v17, v48 :: v_dual_fmac_f32 v43, v27, v30
	v_dual_add_f32 v18, v19, v18 :: v_dual_fma_f32 v19, v20, v24, -v21
	s_delay_alu instid0(VALU_DEP_3) | instskip(NEXT) | instid1(VALU_DEP_3)
	v_dual_mul_f32 v20, v27, v31 :: v_dual_fmac_f32 v22, v29, v32
	v_add_f32_e32 v17, v17, v43
	s_wait_dscnt 0x0
	v_mul_f32_e32 v21, v34, v39
	v_add_f32_e32 v18, v18, v19
	v_dual_fma_f32 v19, v26, v30, -v20 :: v_dual_mul_f32 v20, v29, v33
	v_add_f32_e32 v17, v17, v22
	s_delay_alu instid0(VALU_DEP_4) | instskip(SKIP_1) | instid1(VALU_DEP_4)
	v_fmac_f32_e32 v21, v35, v38
	v_lshl_add_u64 v[24:25], s[14:15], 3, v[8:9]
	v_dual_add_f32 v18, v18, v19 :: v_dual_fma_f32 v19, v28, v32, -v20
	v_dual_mul_f32 v20, v35, v39 :: v_dual_mul_f32 v22, v36, v41
	s_delay_alu instid0(VALU_DEP_2) | instskip(NEXT) | instid1(VALU_DEP_2)
	v_dual_add_f32 v17, v17, v21 :: v_dual_add_f32 v18, v18, v19
	v_dual_fma_f32 v19, v34, v38, -v20 :: v_dual_mul_f32 v20, v37, v41
	s_delay_alu instid0(VALU_DEP_1) | instskip(NEXT) | instid1(VALU_DEP_1)
	v_dual_fmac_f32 v22, v37, v40 :: v_dual_add_f32 v19, v18, v19
	v_dual_fma_f32 v20, v36, v40, -v20 :: v_dual_add_f32 v18, v17, v22
	s_delay_alu instid0(VALU_DEP_1) | instskip(NEXT) | instid1(VALU_DEP_2)
	v_add_f32_e32 v20, v19, v20
	v_pk_mul_f32 v[18:19], v[12:13], v[18:19] op_sel:[1,0] op_sel_hi:[0,0]
	s_delay_alu instid0(VALU_DEP_1) | instskip(SKIP_1) | instid1(VALU_DEP_2)
	v_pk_fma_f32 v[22:23], v[12:13], v[20:21], v[18:19] op_sel_hi:[1,0,1]
	v_pk_fma_f32 v[12:13], v[12:13], v[20:21], v[18:19] neg_lo:[0,0,1] neg_hi:[0,0,1]
	v_mov_b32_e32 v13, v23
	global_store_b64 v[24:25], v[12:13], off
	s_branch .LBB104_2
.LBB104_19:
	s_sendmsg sendmsg(MSG_DEALLOC_VGPRS)
	s_endpgm
	.section	.rodata,"a",@progbits
	.p2align	6, 0x0
	.amdhsa_kernel _ZL23rocblas_trmm_rTx_kernelILi16ELb0E19rocblas_complex_numIfEPKS1_S2_S1_Ev13rocblas_fill_17rocblas_diagonal_iiT2_lPT3_llS8_llPT4_lli
		.amdhsa_group_segment_fixed_size 4096
		.amdhsa_private_segment_fixed_size 0
		.amdhsa_kernarg_size 108
		.amdhsa_user_sgpr_count 2
		.amdhsa_user_sgpr_dispatch_ptr 0
		.amdhsa_user_sgpr_queue_ptr 0
		.amdhsa_user_sgpr_kernarg_segment_ptr 1
		.amdhsa_user_sgpr_dispatch_id 0
		.amdhsa_user_sgpr_kernarg_preload_length 0
		.amdhsa_user_sgpr_kernarg_preload_offset 0
		.amdhsa_user_sgpr_private_segment_size 0
		.amdhsa_wavefront_size32 1
		.amdhsa_uses_dynamic_stack 0
		.amdhsa_enable_private_segment 0
		.amdhsa_system_sgpr_workgroup_id_x 1
		.amdhsa_system_sgpr_workgroup_id_y 0
		.amdhsa_system_sgpr_workgroup_id_z 1
		.amdhsa_system_sgpr_workgroup_info 0
		.amdhsa_system_vgpr_workitem_id 1
		.amdhsa_next_free_vgpr 67
		.amdhsa_next_free_sgpr 36
		.amdhsa_named_barrier_count 0
		.amdhsa_reserve_vcc 1
		.amdhsa_float_round_mode_32 0
		.amdhsa_float_round_mode_16_64 0
		.amdhsa_float_denorm_mode_32 3
		.amdhsa_float_denorm_mode_16_64 3
		.amdhsa_fp16_overflow 0
		.amdhsa_memory_ordered 1
		.amdhsa_forward_progress 1
		.amdhsa_inst_pref_size 13
		.amdhsa_round_robin_scheduling 0
		.amdhsa_exception_fp_ieee_invalid_op 0
		.amdhsa_exception_fp_denorm_src 0
		.amdhsa_exception_fp_ieee_div_zero 0
		.amdhsa_exception_fp_ieee_overflow 0
		.amdhsa_exception_fp_ieee_underflow 0
		.amdhsa_exception_fp_ieee_inexact 0
		.amdhsa_exception_int_div_zero 0
	.end_amdhsa_kernel
	.section	.text._ZL23rocblas_trmm_rTx_kernelILi16ELb0E19rocblas_complex_numIfEPKS1_S2_S1_Ev13rocblas_fill_17rocblas_diagonal_iiT2_lPT3_llS8_llPT4_lli,"axG",@progbits,_ZL23rocblas_trmm_rTx_kernelILi16ELb0E19rocblas_complex_numIfEPKS1_S2_S1_Ev13rocblas_fill_17rocblas_diagonal_iiT2_lPT3_llS8_llPT4_lli,comdat
.Lfunc_end104:
	.size	_ZL23rocblas_trmm_rTx_kernelILi16ELb0E19rocblas_complex_numIfEPKS1_S2_S1_Ev13rocblas_fill_17rocblas_diagonal_iiT2_lPT3_llS8_llPT4_lli, .Lfunc_end104-_ZL23rocblas_trmm_rTx_kernelILi16ELb0E19rocblas_complex_numIfEPKS1_S2_S1_Ev13rocblas_fill_17rocblas_diagonal_iiT2_lPT3_llS8_llPT4_lli
                                        ; -- End function
	.set _ZL23rocblas_trmm_rTx_kernelILi16ELb0E19rocblas_complex_numIfEPKS1_S2_S1_Ev13rocblas_fill_17rocblas_diagonal_iiT2_lPT3_llS8_llPT4_lli.num_vgpr, 67
	.set _ZL23rocblas_trmm_rTx_kernelILi16ELb0E19rocblas_complex_numIfEPKS1_S2_S1_Ev13rocblas_fill_17rocblas_diagonal_iiT2_lPT3_llS8_llPT4_lli.num_agpr, 0
	.set _ZL23rocblas_trmm_rTx_kernelILi16ELb0E19rocblas_complex_numIfEPKS1_S2_S1_Ev13rocblas_fill_17rocblas_diagonal_iiT2_lPT3_llS8_llPT4_lli.numbered_sgpr, 36
	.set _ZL23rocblas_trmm_rTx_kernelILi16ELb0E19rocblas_complex_numIfEPKS1_S2_S1_Ev13rocblas_fill_17rocblas_diagonal_iiT2_lPT3_llS8_llPT4_lli.num_named_barrier, 0
	.set _ZL23rocblas_trmm_rTx_kernelILi16ELb0E19rocblas_complex_numIfEPKS1_S2_S1_Ev13rocblas_fill_17rocblas_diagonal_iiT2_lPT3_llS8_llPT4_lli.private_seg_size, 0
	.set _ZL23rocblas_trmm_rTx_kernelILi16ELb0E19rocblas_complex_numIfEPKS1_S2_S1_Ev13rocblas_fill_17rocblas_diagonal_iiT2_lPT3_llS8_llPT4_lli.uses_vcc, 1
	.set _ZL23rocblas_trmm_rTx_kernelILi16ELb0E19rocblas_complex_numIfEPKS1_S2_S1_Ev13rocblas_fill_17rocblas_diagonal_iiT2_lPT3_llS8_llPT4_lli.uses_flat_scratch, 0
	.set _ZL23rocblas_trmm_rTx_kernelILi16ELb0E19rocblas_complex_numIfEPKS1_S2_S1_Ev13rocblas_fill_17rocblas_diagonal_iiT2_lPT3_llS8_llPT4_lli.has_dyn_sized_stack, 0
	.set _ZL23rocblas_trmm_rTx_kernelILi16ELb0E19rocblas_complex_numIfEPKS1_S2_S1_Ev13rocblas_fill_17rocblas_diagonal_iiT2_lPT3_llS8_llPT4_lli.has_recursion, 0
	.set _ZL23rocblas_trmm_rTx_kernelILi16ELb0E19rocblas_complex_numIfEPKS1_S2_S1_Ev13rocblas_fill_17rocblas_diagonal_iiT2_lPT3_llS8_llPT4_lli.has_indirect_call, 0
	.section	.AMDGPU.csdata,"",@progbits
; Kernel info:
; codeLenInByte = 1564
; TotalNumSgprs: 38
; NumVgprs: 67
; ScratchSize: 0
; MemoryBound: 0
; FloatMode: 240
; IeeeMode: 1
; LDSByteSize: 4096 bytes/workgroup (compile time only)
; SGPRBlocks: 0
; VGPRBlocks: 4
; NumSGPRsForWavesPerEU: 38
; NumVGPRsForWavesPerEU: 67
; NamedBarCnt: 0
; Occupancy: 12
; WaveLimiterHint : 0
; COMPUTE_PGM_RSRC2:SCRATCH_EN: 0
; COMPUTE_PGM_RSRC2:USER_SGPR: 2
; COMPUTE_PGM_RSRC2:TRAP_HANDLER: 0
; COMPUTE_PGM_RSRC2:TGID_X_EN: 1
; COMPUTE_PGM_RSRC2:TGID_Y_EN: 0
; COMPUTE_PGM_RSRC2:TGID_Z_EN: 1
; COMPUTE_PGM_RSRC2:TIDIG_COMP_CNT: 1
	.section	.text._ZL23rocblas_trmm_rTx_kernelILi16ELb0E19rocblas_complex_numIfES1_KS1_S1_Ev13rocblas_fill_17rocblas_diagonal_iiT2_lPT3_llS7_llPT4_lli,"axG",@progbits,_ZL23rocblas_trmm_rTx_kernelILi16ELb0E19rocblas_complex_numIfES1_KS1_S1_Ev13rocblas_fill_17rocblas_diagonal_iiT2_lPT3_llS7_llPT4_lli,comdat
	.globl	_ZL23rocblas_trmm_rTx_kernelILi16ELb0E19rocblas_complex_numIfES1_KS1_S1_Ev13rocblas_fill_17rocblas_diagonal_iiT2_lPT3_llS7_llPT4_lli ; -- Begin function _ZL23rocblas_trmm_rTx_kernelILi16ELb0E19rocblas_complex_numIfES1_KS1_S1_Ev13rocblas_fill_17rocblas_diagonal_iiT2_lPT3_llS7_llPT4_lli
	.p2align	8
	.type	_ZL23rocblas_trmm_rTx_kernelILi16ELb0E19rocblas_complex_numIfES1_KS1_S1_Ev13rocblas_fill_17rocblas_diagonal_iiT2_lPT3_llS7_llPT4_lli,@function
_ZL23rocblas_trmm_rTx_kernelILi16ELb0E19rocblas_complex_numIfES1_KS1_S1_Ev13rocblas_fill_17rocblas_diagonal_iiT2_lPT3_llS7_llPT4_lli: ; @_ZL23rocblas_trmm_rTx_kernelILi16ELb0E19rocblas_complex_numIfES1_KS1_S1_Ev13rocblas_fill_17rocblas_diagonal_iiT2_lPT3_llS7_llPT4_lli
; %bb.0:
	s_load_b32 s5, s[0:1], 0x68
	s_bfe_u32 s2, ttmp6, 0x40014
	s_lshr_b32 s3, ttmp7, 16
	s_add_co_i32 s2, s2, 1
	s_bfe_u32 s6, ttmp6, 0x40008
	s_mul_i32 s4, s3, s2
	s_getreg_b32 s2, hwreg(HW_REG_IB_STS2, 6, 4)
	s_add_co_i32 s6, s6, s4
	s_cmp_eq_u32 s2, 0
	s_mov_b32 s7, 0
	s_cselect_b32 s6, s3, s6
	s_wait_kmcnt 0x0
	s_cmp_ge_u32 s6, s5
	s_cbranch_scc1 .LBB105_19
; %bb.1:
	s_clause 0x2
	s_load_b64 s[28:29], s[0:1], 0x10
	s_load_b512 s[8:23], s[0:1], 0x20
	s_load_b128 s[24:27], s[0:1], 0x0
	v_bfe_u32 v12, v0, 10, 10
	v_mov_b32_e32 v13, 0
	v_and_b32_e32 v0, 0x3ff, v0
	s_load_b64 s[30:31], s[0:1], 0x60
	s_delay_alu instid0(VALU_DEP_3) | instskip(NEXT) | instid1(VALU_DEP_2)
	v_dual_lshlrev_b32 v2, 4, v12 :: v_dual_lshlrev_b32 v11, 3, v12
	v_cmp_eq_u32_e32 vcc_lo, v12, v0
	s_wait_xcnt 0x0
	v_cmp_lt_u32_e64 s0, v0, v12
	v_cmp_gt_u32_e64 s1, v0, v12
	v_add_lshl_u32 v9, v2, v0, 3
	v_mov_b32_e32 v1, v13
	v_lshl_add_u32 v8, v0, 3, 0x800
	s_delay_alu instid0(VALU_DEP_3) | instskip(NEXT) | instid1(VALU_DEP_3)
	v_add_nc_u32_e32 v10, 0x800, v9
	v_lshlrev_b64_e32 v[14:15], 3, v[0:1]
	s_wait_kmcnt 0x0
	s_cmp_neq_f32 s28, 0
	v_mul_u64_e32 v[2:3], s[10:11], v[12:13]
	v_mul_u64_e32 v[4:5], s[16:17], v[12:13]
	;; [unrolled: 1-line block ×3, first 2 shown]
	s_cselect_b32 s3, -1, 0
	s_cmp_neq_f32 s29, 0
	s_cselect_b32 s4, -1, 0
	s_add_co_i32 s11, s26, -1
	s_or_b32 s10, s3, s4
	s_ashr_i32 s3, s11, 31
	s_bfe_u32 s17, ttmp6, 0x4000c
	s_lshr_b32 s3, s3, 28
	s_add_co_i32 s17, s17, 1
	s_add_co_i32 s11, s11, s3
	s_and_b32 s16, ttmp6, 15
	s_mul_i32 s4, ttmp9, s17
	s_and_b32 s3, s11, -16
	s_add_co_i32 s16, s16, s4
	s_ashr_i32 s4, s11, 4
	s_sub_co_i32 s11, s26, s3
	s_cmp_eq_u32 s2, 0
	v_cmp_gt_i32_e64 s2, s27, v12
	s_cselect_b32 s16, ttmp9, s16
	v_cmp_gt_i32_e64 s3, s27, v0
	s_cmp_ge_i32 s16, s4
	s_cselect_b32 s4, s11, 16
	s_lshl_b32 s16, s16, 4
	v_cmp_gt_i32_e64 s4, s4, v0
	s_ashr_i32 s17, s16, 31
	v_lshl_add_u64 v[0:1], v[2:3], 3, s[8:9]
	s_lshl_b64 s[16:17], s[16:17], 3
	s_and_b32 s11, s2, s3
	s_add_nc_u64 s[14:15], s[14:15], s[16:17]
	s_add_nc_u64 s[16:17], s[20:21], s[16:17]
	v_lshl_add_u64 v[2:3], v[4:5], 3, s[14:15]
	v_lshl_add_u64 v[4:5], v[6:7], 3, s[16:17]
	s_and_b32 s4, s2, s4
	s_cmp_eq_u32 s25, 0x84
	v_add_nc_u64_e32 v[0:1], v[0:1], v[14:15]
	s_cselect_b32 s2, -1, 0
	v_add_nc_u64_e32 v[2:3], v[2:3], v[14:15]
	v_add_nc_u64_e32 v[4:5], v[4:5], v[14:15]
	v_mov_b64_e32 v[6:7], 0
	s_and_b32 s8, vcc_lo, s2
	s_cmp_lg_u32 s24, 0x79
	s_mov_b32 s2, s29
	s_cselect_b32 s9, -1, 0
	s_mov_b32 s3, s28
	s_branch .LBB105_4
.LBB105_2:                              ;   in Loop: Header=BB105_4 Depth=1
	s_wait_xcnt 0x0
	s_or_b32 exec_lo, exec_lo, s14
.LBB105_3:                              ;   in Loop: Header=BB105_4 Depth=1
	s_add_co_i32 s6, s6, 0x10000
	s_delay_alu instid0(SALU_CYCLE_1)
	s_cmp_lt_u32 s6, s5
	s_cbranch_scc0 .LBB105_19
.LBB105_4:                              ; =>This Inner Loop Header: Depth=1
	s_and_not1_b32 vcc_lo, exec_lo, s10
	s_cbranch_vccnz .LBB105_3
; %bb.5:                                ;   in Loop: Header=BB105_4 Depth=1
	ds_store_b64 v9, v[6:7]
	ds_store_b64 v10, v[6:7]
	s_and_saveexec_b32 s14, s11
	s_cbranch_execnz .LBB105_10
; %bb.6:                                ;   in Loop: Header=BB105_4 Depth=1
	s_or_b32 exec_lo, exec_lo, s14
	s_and_saveexec_b32 s14, s4
	s_cbranch_execnz .LBB105_11
.LBB105_7:                              ;   in Loop: Header=BB105_4 Depth=1
	s_or_b32 exec_lo, exec_lo, s14
	s_and_saveexec_b32 s14, s8
	s_cbranch_execnz .LBB105_12
.LBB105_8:                              ;   in Loop: Header=BB105_4 Depth=1
	s_or_b32 exec_lo, exec_lo, s14
	s_delay_alu instid0(SALU_CYCLE_1)
	s_and_b32 vcc_lo, exec_lo, s9
	s_cbranch_vccz .LBB105_13
.LBB105_9:                              ;   in Loop: Header=BB105_4 Depth=1
	s_and_b32 s14, s0, exec_lo
	s_cbranch_execz .LBB105_14
	s_branch .LBB105_15
.LBB105_10:                             ;   in Loop: Header=BB105_4 Depth=1
	s_mul_u64 s[16:17], s[12:13], s[6:7]
	s_delay_alu instid0(SALU_CYCLE_1)
	v_lshl_add_u64 v[12:13], s[16:17], 3, v[0:1]
	global_load_b64 v[12:13], v[12:13], off
	s_wait_loadcnt 0x0
	ds_store_b64 v9, v[12:13]
	s_wait_xcnt 0x0
	s_or_b32 exec_lo, exec_lo, s14
	s_and_saveexec_b32 s14, s4
	s_cbranch_execz .LBB105_7
.LBB105_11:                             ;   in Loop: Header=BB105_4 Depth=1
	s_mul_u64 s[16:17], s[18:19], s[6:7]
	s_delay_alu instid0(SALU_CYCLE_1)
	v_lshl_add_u64 v[12:13], s[16:17], 3, v[2:3]
	global_load_b64 v[12:13], v[12:13], off
	s_wait_loadcnt 0x0
	ds_store_b64 v10, v[12:13]
	s_wait_xcnt 0x0
	s_or_b32 exec_lo, exec_lo, s14
	s_and_saveexec_b32 s14, s8
	s_cbranch_execz .LBB105_8
.LBB105_12:                             ;   in Loop: Header=BB105_4 Depth=1
	v_mov_b64_e32 v[12:13], 0x3f800000
	ds_store_b64 v9, v[12:13]
	s_or_b32 exec_lo, exec_lo, s14
	s_delay_alu instid0(SALU_CYCLE_1)
	s_and_b32 vcc_lo, exec_lo, s9
	s_cbranch_vccnz .LBB105_9
.LBB105_13:                             ;   in Loop: Header=BB105_4 Depth=1
	s_mov_b32 s14, 0
.LBB105_14:                             ;   in Loop: Header=BB105_4 Depth=1
	s_delay_alu instid0(SALU_CYCLE_1) | instskip(SKIP_1) | instid1(SALU_CYCLE_1)
	s_and_not1_b32 s14, s14, exec_lo
	s_and_b32 s15, s1, exec_lo
	s_or_b32 s14, s14, s15
.LBB105_15:                             ;   in Loop: Header=BB105_4 Depth=1
	s_delay_alu instid0(SALU_CYCLE_1)
	s_and_saveexec_b32 s15, s14
; %bb.16:                               ;   in Loop: Header=BB105_4 Depth=1
	ds_store_b64 v9, v[6:7]
; %bb.17:                               ;   in Loop: Header=BB105_4 Depth=1
	s_or_b32 exec_lo, exec_lo, s15
	s_wait_dscnt 0x0
	s_barrier_signal -1
	s_barrier_wait -1
	s_and_saveexec_b32 s14, s4
	s_cbranch_execz .LBB105_2
; %bb.18:                               ;   in Loop: Header=BB105_4 Depth=1
	ds_load_2addr_b64 v[12:15], v11 offset1:16
	ds_load_2addr_b64 v[16:19], v8 offset1:16
	ds_load_2addr_b64 v[20:23], v11 offset0:32 offset1:48
	ds_load_2addr_b64 v[24:27], v8 offset0:32 offset1:48
	;; [unrolled: 1-line block ×9, first 2 shown]
	s_mul_u64 s[16:17], s[30:31], s[6:7]
	s_wait_dscnt 0x9
	v_dual_mul_f32 v56, v12, v17 :: v_dual_mul_f32 v57, v14, v19
	v_dual_mul_f32 v17, v13, v17 :: v_dual_mul_f32 v19, v15, v19
	s_wait_dscnt 0x7
	s_delay_alu instid0(VALU_DEP_2) | instskip(NEXT) | instid1(VALU_DEP_3)
	v_dual_mul_f32 v58, v20, v25 :: v_dual_fmac_f32 v56, v13, v16
	v_fmac_f32_e32 v57, v15, v18
	s_delay_alu instid0(VALU_DEP_3) | instskip(SKIP_1) | instid1(VALU_DEP_4)
	v_dual_fma_f32 v59, v12, v16, -v17 :: v_dual_mul_f32 v61, v22, v27
	v_dual_mul_f32 v16, v21, v25 :: v_dual_mul_f32 v17, v23, v27
	v_dual_fma_f32 v60, v14, v18, -v19 :: v_dual_fmac_f32 v58, v21, v24
	s_delay_alu instid0(VALU_DEP_2)
	v_dual_fmac_f32 v61, v23, v26 :: v_dual_fma_f32 v62, v20, v24, -v16
	s_wait_dscnt 0x5
	v_dual_add_f32 v20, 0, v56 :: v_dual_mul_f32 v63, v28, v33
	v_add_f32_e32 v21, 0, v59
	ds_load_2addr_b64 v[12:15], v8 offset0:160 offset1:176
	v_dual_fma_f32 v56, v22, v26, -v17 :: v_dual_add_f32 v20, v20, v57
	v_dual_mul_f32 v57, v30, v35 :: v_dual_mul_f32 v24, v29, v33
	v_dual_mul_f32 v25, v31, v35 :: v_dual_add_f32 v33, v21, v60
	s_delay_alu instid0(VALU_DEP_3) | instskip(NEXT) | instid1(VALU_DEP_3)
	v_dual_add_f32 v26, v20, v58 :: v_dual_fmac_f32 v63, v29, v32
	v_dual_fmac_f32 v57, v31, v34 :: v_dual_fma_f32 v32, v28, v32, -v24
	s_delay_alu instid0(VALU_DEP_2) | instskip(SKIP_2) | instid1(VALU_DEP_2)
	v_dual_add_f32 v33, v33, v62 :: v_dual_add_f32 v35, v26, v61
	s_wait_dscnt 0x4
	v_dual_fma_f32 v34, v30, v34, -v25 :: v_dual_mul_f32 v58, v36, v41
	v_dual_mul_f32 v59, v38, v43 :: v_dual_add_f32 v33, v33, v56
	s_wait_dscnt 0x2
	v_dual_add_f32 v35, v35, v63 :: v_dual_mul_f32 v60, v44, v49
	s_delay_alu instid0(VALU_DEP_3)
	v_fmac_f32_e32 v58, v37, v40
	ds_load_2addr_b64 v[16:19], v11 offset0:192 offset1:208
	ds_load_2addr_b64 v[20:23], v8 offset0:192 offset1:208
	v_dual_add_f32 v35, v35, v57 :: v_dual_add_f32 v32, v33, v32
	s_wait_dscnt 0x2
	v_dual_mul_f32 v33, v37, v41 :: v_dual_mul_f32 v37, v54, v15
	v_fmac_f32_e32 v59, v39, v42
	s_delay_alu instid0(VALU_DEP_3) | instskip(SKIP_1) | instid1(VALU_DEP_4)
	v_add_f32_e32 v35, v35, v58
	v_dual_add_f32 v32, v32, v34 :: v_dual_fmac_f32 v60, v45, v48
	v_dual_mul_f32 v34, v39, v43 :: v_dual_fma_f32 v33, v36, v40, -v33
	s_delay_alu instid0(VALU_DEP_3) | instskip(SKIP_1) | instid1(VALU_DEP_3)
	v_add_f32_e32 v35, v35, v59
	v_dual_mul_f32 v56, v46, v51 :: v_dual_mul_f32 v57, v52, v13
	v_dual_mul_f32 v36, v45, v49 :: v_dual_fma_f32 v34, v38, v42, -v34
	s_delay_alu instid0(VALU_DEP_2)
	v_dual_add_f32 v32, v32, v33 :: v_dual_fmac_f32 v56, v47, v50
	ds_load_2addr_b64 v[24:27], v11 offset0:224 offset1:240
	ds_load_2addr_b64 v[28:31], v8 offset0:224 offset1:240
	v_add_f32_e32 v33, v35, v60
	v_dual_mul_f32 v35, v47, v51 :: v_dual_fma_f32 v36, v44, v48, -v36
	v_dual_add_f32 v32, v32, v34 :: v_dual_fmac_f32 v57, v53, v12
	v_mul_f32_e32 v13, v53, v13
	s_delay_alu instid0(VALU_DEP_3) | instskip(NEXT) | instid1(VALU_DEP_3)
	v_dual_add_f32 v33, v33, v56 :: v_dual_fma_f32 v34, v46, v50, -v35
	v_dual_add_f32 v32, v32, v36 :: v_dual_fmac_f32 v37, v55, v14
	s_wait_dscnt 0x2
	v_dual_mul_f32 v35, v16, v21 :: v_dual_mul_f32 v15, v55, v15
	s_delay_alu instid0(VALU_DEP_3) | instskip(NEXT) | instid1(VALU_DEP_2)
	v_dual_add_f32 v33, v33, v57 :: v_dual_fma_f32 v12, v52, v12, -v13
	v_dual_add_f32 v13, v32, v34 :: v_dual_fmac_f32 v35, v17, v20
	s_delay_alu instid0(VALU_DEP_2) | instskip(NEXT) | instid1(VALU_DEP_2)
	v_dual_add_f32 v32, v33, v37 :: v_dual_mul_f32 v33, v18, v23
	v_dual_add_f32 v12, v13, v12 :: v_dual_fma_f32 v13, v54, v14, -v15
	s_delay_alu instid0(VALU_DEP_2) | instskip(SKIP_1) | instid1(VALU_DEP_3)
	v_dual_mul_f32 v14, v17, v21 :: v_dual_add_f32 v15, v32, v35
	s_wait_dscnt 0x0
	v_dual_fmac_f32 v33, v19, v22 :: v_dual_mul_f32 v17, v24, v29
	s_delay_alu instid0(VALU_DEP_3) | instskip(NEXT) | instid1(VALU_DEP_3)
	v_add_f32_e32 v12, v12, v13
	v_dual_fma_f32 v13, v16, v20, -v14 :: v_dual_mul_f32 v14, v19, v23
	s_delay_alu instid0(VALU_DEP_3) | instskip(NEXT) | instid1(VALU_DEP_2)
	v_dual_add_f32 v15, v15, v33 :: v_dual_fmac_f32 v17, v25, v28
	v_dual_mul_f32 v16, v26, v31 :: v_dual_add_f32 v12, v12, v13
	s_delay_alu instid0(VALU_DEP_3) | instskip(SKIP_1) | instid1(VALU_DEP_3)
	v_dual_fma_f32 v13, v18, v22, -v14 :: v_dual_mul_f32 v14, v25, v29
	v_lshl_add_u64 v[20:21], s[16:17], 3, v[4:5]
	v_fmac_f32_e32 v16, v27, v30
	v_add_f32_e32 v15, v15, v17
	s_delay_alu instid0(VALU_DEP_4) | instskip(SKIP_1) | instid1(VALU_DEP_2)
	v_dual_add_f32 v13, v12, v13 :: v_dual_mul_f32 v17, v27, v31
	v_fma_f32 v14, v24, v28, -v14
	v_dual_add_f32 v12, v15, v16 :: v_dual_fma_f32 v16, v26, v30, -v17
	s_delay_alu instid0(VALU_DEP_2) | instskip(SKIP_1) | instid1(VALU_DEP_2)
	v_add_f32_e32 v13, v13, v14
	v_mov_b64_e32 v[14:15], s[2:3]
	v_add_f32_e32 v16, v13, v16
	s_delay_alu instid0(VALU_DEP_2) | instskip(SKIP_1) | instid1(VALU_DEP_1)
	v_pk_mul_f32 v[12:13], v[14:15], v[12:13] op_sel_hi:[1,0]
	v_mov_b64_e32 v[14:15], s[28:29]
	v_pk_fma_f32 v[18:19], v[14:15], v[16:17], v[12:13] op_sel_hi:[1,0,1]
	v_pk_fma_f32 v[12:13], v[14:15], v[16:17], v[12:13] neg_lo:[0,0,1] neg_hi:[0,0,1]
	s_delay_alu instid0(VALU_DEP_2)
	v_mov_b32_e32 v13, v19
	global_store_b64 v[20:21], v[12:13], off
	s_branch .LBB105_2
.LBB105_19:
	s_endpgm
	.section	.rodata,"a",@progbits
	.p2align	6, 0x0
	.amdhsa_kernel _ZL23rocblas_trmm_rTx_kernelILi16ELb0E19rocblas_complex_numIfES1_KS1_S1_Ev13rocblas_fill_17rocblas_diagonal_iiT2_lPT3_llS7_llPT4_lli
		.amdhsa_group_segment_fixed_size 4096
		.amdhsa_private_segment_fixed_size 0
		.amdhsa_kernarg_size 108
		.amdhsa_user_sgpr_count 2
		.amdhsa_user_sgpr_dispatch_ptr 0
		.amdhsa_user_sgpr_queue_ptr 0
		.amdhsa_user_sgpr_kernarg_segment_ptr 1
		.amdhsa_user_sgpr_dispatch_id 0
		.amdhsa_user_sgpr_kernarg_preload_length 0
		.amdhsa_user_sgpr_kernarg_preload_offset 0
		.amdhsa_user_sgpr_private_segment_size 0
		.amdhsa_wavefront_size32 1
		.amdhsa_uses_dynamic_stack 0
		.amdhsa_enable_private_segment 0
		.amdhsa_system_sgpr_workgroup_id_x 1
		.amdhsa_system_sgpr_workgroup_id_y 0
		.amdhsa_system_sgpr_workgroup_id_z 1
		.amdhsa_system_sgpr_workgroup_info 0
		.amdhsa_system_vgpr_workitem_id 1
		.amdhsa_next_free_vgpr 64
		.amdhsa_next_free_sgpr 32
		.amdhsa_named_barrier_count 0
		.amdhsa_reserve_vcc 1
		.amdhsa_float_round_mode_32 0
		.amdhsa_float_round_mode_16_64 0
		.amdhsa_float_denorm_mode_32 3
		.amdhsa_float_denorm_mode_16_64 3
		.amdhsa_fp16_overflow 0
		.amdhsa_memory_ordered 1
		.amdhsa_forward_progress 1
		.amdhsa_inst_pref_size 13
		.amdhsa_round_robin_scheduling 0
		.amdhsa_exception_fp_ieee_invalid_op 0
		.amdhsa_exception_fp_denorm_src 0
		.amdhsa_exception_fp_ieee_div_zero 0
		.amdhsa_exception_fp_ieee_overflow 0
		.amdhsa_exception_fp_ieee_underflow 0
		.amdhsa_exception_fp_ieee_inexact 0
		.amdhsa_exception_int_div_zero 0
	.end_amdhsa_kernel
	.section	.text._ZL23rocblas_trmm_rTx_kernelILi16ELb0E19rocblas_complex_numIfES1_KS1_S1_Ev13rocblas_fill_17rocblas_diagonal_iiT2_lPT3_llS7_llPT4_lli,"axG",@progbits,_ZL23rocblas_trmm_rTx_kernelILi16ELb0E19rocblas_complex_numIfES1_KS1_S1_Ev13rocblas_fill_17rocblas_diagonal_iiT2_lPT3_llS7_llPT4_lli,comdat
.Lfunc_end105:
	.size	_ZL23rocblas_trmm_rTx_kernelILi16ELb0E19rocblas_complex_numIfES1_KS1_S1_Ev13rocblas_fill_17rocblas_diagonal_iiT2_lPT3_llS7_llPT4_lli, .Lfunc_end105-_ZL23rocblas_trmm_rTx_kernelILi16ELb0E19rocblas_complex_numIfES1_KS1_S1_Ev13rocblas_fill_17rocblas_diagonal_iiT2_lPT3_llS7_llPT4_lli
                                        ; -- End function
	.set _ZL23rocblas_trmm_rTx_kernelILi16ELb0E19rocblas_complex_numIfES1_KS1_S1_Ev13rocblas_fill_17rocblas_diagonal_iiT2_lPT3_llS7_llPT4_lli.num_vgpr, 64
	.set _ZL23rocblas_trmm_rTx_kernelILi16ELb0E19rocblas_complex_numIfES1_KS1_S1_Ev13rocblas_fill_17rocblas_diagonal_iiT2_lPT3_llS7_llPT4_lli.num_agpr, 0
	.set _ZL23rocblas_trmm_rTx_kernelILi16ELb0E19rocblas_complex_numIfES1_KS1_S1_Ev13rocblas_fill_17rocblas_diagonal_iiT2_lPT3_llS7_llPT4_lli.numbered_sgpr, 32
	.set _ZL23rocblas_trmm_rTx_kernelILi16ELb0E19rocblas_complex_numIfES1_KS1_S1_Ev13rocblas_fill_17rocblas_diagonal_iiT2_lPT3_llS7_llPT4_lli.num_named_barrier, 0
	.set _ZL23rocblas_trmm_rTx_kernelILi16ELb0E19rocblas_complex_numIfES1_KS1_S1_Ev13rocblas_fill_17rocblas_diagonal_iiT2_lPT3_llS7_llPT4_lli.private_seg_size, 0
	.set _ZL23rocblas_trmm_rTx_kernelILi16ELb0E19rocblas_complex_numIfES1_KS1_S1_Ev13rocblas_fill_17rocblas_diagonal_iiT2_lPT3_llS7_llPT4_lli.uses_vcc, 1
	.set _ZL23rocblas_trmm_rTx_kernelILi16ELb0E19rocblas_complex_numIfES1_KS1_S1_Ev13rocblas_fill_17rocblas_diagonal_iiT2_lPT3_llS7_llPT4_lli.uses_flat_scratch, 0
	.set _ZL23rocblas_trmm_rTx_kernelILi16ELb0E19rocblas_complex_numIfES1_KS1_S1_Ev13rocblas_fill_17rocblas_diagonal_iiT2_lPT3_llS7_llPT4_lli.has_dyn_sized_stack, 0
	.set _ZL23rocblas_trmm_rTx_kernelILi16ELb0E19rocblas_complex_numIfES1_KS1_S1_Ev13rocblas_fill_17rocblas_diagonal_iiT2_lPT3_llS7_llPT4_lli.has_recursion, 0
	.set _ZL23rocblas_trmm_rTx_kernelILi16ELb0E19rocblas_complex_numIfES1_KS1_S1_Ev13rocblas_fill_17rocblas_diagonal_iiT2_lPT3_llS7_llPT4_lli.has_indirect_call, 0
	.section	.AMDGPU.csdata,"",@progbits
; Kernel info:
; codeLenInByte = 1568
; TotalNumSgprs: 34
; NumVgprs: 64
; ScratchSize: 0
; MemoryBound: 0
; FloatMode: 240
; IeeeMode: 1
; LDSByteSize: 4096 bytes/workgroup (compile time only)
; SGPRBlocks: 0
; VGPRBlocks: 3
; NumSGPRsForWavesPerEU: 34
; NumVGPRsForWavesPerEU: 64
; NamedBarCnt: 0
; Occupancy: 16
; WaveLimiterHint : 0
; COMPUTE_PGM_RSRC2:SCRATCH_EN: 0
; COMPUTE_PGM_RSRC2:USER_SGPR: 2
; COMPUTE_PGM_RSRC2:TRAP_HANDLER: 0
; COMPUTE_PGM_RSRC2:TGID_X_EN: 1
; COMPUTE_PGM_RSRC2:TGID_Y_EN: 0
; COMPUTE_PGM_RSRC2:TGID_Z_EN: 1
; COMPUTE_PGM_RSRC2:TIDIG_COMP_CNT: 1
	.section	.text._ZL23rocblas_trmm_rTx_kernelILi16ELb1E19rocblas_complex_numIfEPKS1_S2_S1_Ev13rocblas_fill_17rocblas_diagonal_iiT2_lPT3_llS8_llPT4_lli,"axG",@progbits,_ZL23rocblas_trmm_rTx_kernelILi16ELb1E19rocblas_complex_numIfEPKS1_S2_S1_Ev13rocblas_fill_17rocblas_diagonal_iiT2_lPT3_llS8_llPT4_lli,comdat
	.globl	_ZL23rocblas_trmm_rTx_kernelILi16ELb1E19rocblas_complex_numIfEPKS1_S2_S1_Ev13rocblas_fill_17rocblas_diagonal_iiT2_lPT3_llS8_llPT4_lli ; -- Begin function _ZL23rocblas_trmm_rTx_kernelILi16ELb1E19rocblas_complex_numIfEPKS1_S2_S1_Ev13rocblas_fill_17rocblas_diagonal_iiT2_lPT3_llS8_llPT4_lli
	.p2align	8
	.type	_ZL23rocblas_trmm_rTx_kernelILi16ELb1E19rocblas_complex_numIfEPKS1_S2_S1_Ev13rocblas_fill_17rocblas_diagonal_iiT2_lPT3_llS8_llPT4_lli,@function
_ZL23rocblas_trmm_rTx_kernelILi16ELb1E19rocblas_complex_numIfEPKS1_S2_S1_Ev13rocblas_fill_17rocblas_diagonal_iiT2_lPT3_llS8_llPT4_lli: ; @_ZL23rocblas_trmm_rTx_kernelILi16ELb1E19rocblas_complex_numIfEPKS1_S2_S1_Ev13rocblas_fill_17rocblas_diagonal_iiT2_lPT3_llS8_llPT4_lli
; %bb.0:
	s_load_b32 s5, s[0:1], 0x68
	s_bfe_u32 s2, ttmp6, 0x40014
	s_lshr_b32 s3, ttmp7, 16
	s_add_co_i32 s2, s2, 1
	s_bfe_u32 s6, ttmp6, 0x40008
	s_mul_i32 s4, s3, s2
	s_getreg_b32 s2, hwreg(HW_REG_IB_STS2, 6, 4)
	s_add_co_i32 s6, s6, s4
	s_cmp_eq_u32 s2, 0
	s_mov_b32 s7, 0
	s_cselect_b32 s6, s3, s6
	s_wait_kmcnt 0x0
	s_cmp_ge_u32 s6, s5
	s_cbranch_scc1 .LBB106_19
; %bb.1:
	s_clause 0x3
	s_load_b128 s[24:27], s[0:1], 0x0
	s_load_b512 s[8:23], s[0:1], 0x10
	s_load_b128 s[28:31], s[0:1], 0x50
	s_load_b64 s[34:35], s[0:1], 0x60
	v_bfe_u32 v2, v0, 10, 10
	v_mov_b32_e32 v3, 0
	s_wait_xcnt 0x0
	s_bfe_u32 s0, ttmp6, 0x4000c
	s_and_b32 s1, ttmp6, 15
	s_add_co_i32 s0, s0, 1
	v_lshlrev_b32_e32 v10, 4, v2
	s_mul_i32 s3, ttmp9, s0
	v_and_b32_e32 v12, 0x3ff, v0
	s_add_co_i32 s3, s1, s3
	v_mov_b32_e32 v13, v3
	v_mov_b64_e32 v[0:1], 0
	s_delay_alu instid0(VALU_DEP_3)
	v_cmp_eq_u32_e32 vcc_lo, v2, v12
	v_add_lshl_u32 v14, v10, v12, 3
	v_lshl_add_u32 v16, v12, 3, 0x800
	s_wait_kmcnt 0x0
	s_add_co_i32 s4, s26, -1
	v_mul_u64_e32 v[4:5], s[14:15], v[2:3]
	v_mul_u64_e32 v[6:7], s[20:21], v[2:3]
	;; [unrolled: 1-line block ×3, first 2 shown]
	s_ashr_i32 s0, s4, 31
	v_add_nc_u32_e32 v15, 0x800, v14
	s_lshr_b32 s14, s0, 28
	v_cmp_lt_u32_e64 s0, v12, v2
	s_add_co_i32 s4, s4, s14
	s_delay_alu instid0(SALU_CYCLE_1)
	s_and_b32 s1, s4, -16
	s_ashr_i32 s4, s4, 4
	s_sub_co_i32 s14, s26, s1
	s_cmp_eq_u32 s2, 0
	v_cmp_gt_i32_e64 s2, s27, v2
	s_cselect_b32 s3, ttmp9, s3
	v_cmp_gt_u32_e64 s1, v12, v2
	s_cmp_ge_i32 s3, s4
	v_lshlrev_b32_e32 v2, 3, v2
	s_cselect_b32 s4, s14, 16
	s_lshl_b32 s14, s3, 4
	v_cmp_gt_i32_e64 s3, s27, v12
	s_ashr_i32 s15, s14, 31
	v_cmp_gt_i32_e64 s4, s4, v12
	s_lshl_b64 s[14:15], s[14:15], 3
	v_lshlrev_b64_e32 v[10:11], 3, v[12:13]
	s_add_nc_u64 s[18:19], s[18:19], s[14:15]
	s_add_nc_u64 s[14:15], s[28:29], s[14:15]
	s_and_b32 s3, s2, s3
	s_and_b32 s4, s2, s4
	s_cmp_eq_u32 s25, 0x84
	s_cselect_b32 s2, -1, 0
	v_lshl_add_u64 v[4:5], v[4:5], 3, s[12:13]
	v_lshl_add_u64 v[6:7], v[6:7], 3, s[18:19]
	;; [unrolled: 1-line block ×3, first 2 shown]
	s_and_b32 s12, vcc_lo, s2
	s_cmp_lg_u32 s24, 0x79
	v_add_nc_u64_e32 v[4:5], v[4:5], v[10:11]
	v_add_nc_u64_e32 v[6:7], v[6:7], v[10:11]
	;; [unrolled: 1-line block ×3, first 2 shown]
	v_mov_b64_e32 v[10:11], 0x3f800000
	s_cselect_b32 s13, -1, 0
	s_branch .LBB106_4
.LBB106_2:                              ;   in Loop: Header=BB106_4 Depth=1
	s_wait_xcnt 0x0
	s_or_b32 exec_lo, exec_lo, s2
.LBB106_3:                              ;   in Loop: Header=BB106_4 Depth=1
	s_add_co_i32 s6, s6, 0x10000
	s_delay_alu instid0(SALU_CYCLE_1)
	s_cmp_lt_u32 s6, s5
	s_cbranch_scc0 .LBB106_19
.LBB106_4:                              ; =>This Inner Loop Header: Depth=1
	s_wait_xcnt 0x0
	s_mul_u64 s[14:15], s[10:11], s[6:7]
	s_delay_alu instid0(SALU_CYCLE_1) | instskip(NEXT) | instid1(SALU_CYCLE_1)
	s_lshl_b64 s[14:15], s[14:15], 3
	s_add_nc_u64 s[14:15], s[8:9], s[14:15]
	global_load_b64 v[12:13], v3, s[14:15]
	s_wait_loadcnt 0x0
	v_cmp_neq_f32_e32 vcc_lo, 0, v12
	v_cmp_neq_f32_e64 s2, 0, v13
	s_or_b32 s2, vcc_lo, s2
	s_delay_alu instid0(SALU_CYCLE_1)
	s_and_not1_b32 vcc_lo, exec_lo, s2
	s_cbranch_vccnz .LBB106_3
; %bb.5:                                ;   in Loop: Header=BB106_4 Depth=1
	ds_store_b64 v14, v[0:1]
	ds_store_b64 v15, v[0:1]
	s_wait_xcnt 0x0
	s_and_saveexec_b32 s2, s3
	s_cbranch_execnz .LBB106_10
; %bb.6:                                ;   in Loop: Header=BB106_4 Depth=1
	s_or_b32 exec_lo, exec_lo, s2
	s_and_saveexec_b32 s2, s4
	s_cbranch_execnz .LBB106_11
.LBB106_7:                              ;   in Loop: Header=BB106_4 Depth=1
	s_or_b32 exec_lo, exec_lo, s2
	s_and_saveexec_b32 s2, s12
	s_cbranch_execnz .LBB106_12
.LBB106_8:                              ;   in Loop: Header=BB106_4 Depth=1
	s_or_b32 exec_lo, exec_lo, s2
	s_delay_alu instid0(SALU_CYCLE_1)
	s_and_b32 vcc_lo, exec_lo, s13
	s_cbranch_vccz .LBB106_13
.LBB106_9:                              ;   in Loop: Header=BB106_4 Depth=1
	s_and_b32 s2, s0, exec_lo
	s_cbranch_execz .LBB106_14
	s_branch .LBB106_15
.LBB106_10:                             ;   in Loop: Header=BB106_4 Depth=1
	s_mul_u64 s[14:15], s[16:17], s[6:7]
	s_delay_alu instid0(SALU_CYCLE_1)
	v_lshl_add_u64 v[18:19], s[14:15], 3, v[4:5]
	global_load_b64 v[18:19], v[18:19], off
	s_wait_loadcnt 0x0
	s_wait_xcnt 0x0
	v_xor_b32_e32 v19, 0x80000000, v19
	ds_store_b64 v14, v[18:19]
	s_or_b32 exec_lo, exec_lo, s2
	s_and_saveexec_b32 s2, s4
	s_cbranch_execz .LBB106_7
.LBB106_11:                             ;   in Loop: Header=BB106_4 Depth=1
	s_mul_u64 s[14:15], s[22:23], s[6:7]
	s_delay_alu instid0(SALU_CYCLE_1)
	v_lshl_add_u64 v[18:19], s[14:15], 3, v[6:7]
	global_load_b64 v[18:19], v[18:19], off
	s_wait_loadcnt 0x0
	ds_store_b64 v15, v[18:19]
	s_wait_xcnt 0x0
	s_or_b32 exec_lo, exec_lo, s2
	s_and_saveexec_b32 s2, s12
	s_cbranch_execz .LBB106_8
.LBB106_12:                             ;   in Loop: Header=BB106_4 Depth=1
	ds_store_b64 v14, v[10:11]
	s_or_b32 exec_lo, exec_lo, s2
	s_delay_alu instid0(SALU_CYCLE_1)
	s_and_b32 vcc_lo, exec_lo, s13
	s_cbranch_vccnz .LBB106_9
.LBB106_13:                             ;   in Loop: Header=BB106_4 Depth=1
	s_mov_b32 s2, 0
.LBB106_14:                             ;   in Loop: Header=BB106_4 Depth=1
	s_delay_alu instid0(SALU_CYCLE_1) | instskip(SKIP_1) | instid1(SALU_CYCLE_1)
	s_and_not1_b32 s2, s2, exec_lo
	s_and_b32 s14, s1, exec_lo
	s_or_b32 s2, s2, s14
.LBB106_15:                             ;   in Loop: Header=BB106_4 Depth=1
	s_delay_alu instid0(SALU_CYCLE_1)
	s_and_saveexec_b32 s14, s2
; %bb.16:                               ;   in Loop: Header=BB106_4 Depth=1
	ds_store_b64 v14, v[0:1]
; %bb.17:                               ;   in Loop: Header=BB106_4 Depth=1
	s_or_b32 exec_lo, exec_lo, s14
	s_wait_dscnt 0x0
	s_barrier_signal -1
	s_barrier_wait -1
	s_and_saveexec_b32 s2, s4
	s_cbranch_execz .LBB106_2
; %bb.18:                               ;   in Loop: Header=BB106_4 Depth=1
	ds_load_2addr_b64 v[18:21], v2 offset1:16
	ds_load_2addr_b64 v[22:25], v16 offset1:16
	ds_load_2addr_b64 v[26:29], v2 offset0:32 offset1:48
	ds_load_2addr_b64 v[30:33], v16 offset0:32 offset1:48
	;; [unrolled: 1-line block ×8, first 2 shown]
	s_mul_u64 s[14:15], s[34:35], s[6:7]
	s_wait_dscnt 0x8
	v_dual_mul_f32 v17, v18, v23 :: v_dual_mul_f32 v58, v20, v25
	v_dual_mul_f32 v23, v19, v23 :: v_dual_mul_f32 v25, v21, v25
	s_wait_dscnt 0x6
	v_dual_mul_f32 v59, v26, v31 :: v_dual_mul_f32 v60, v28, v33
	s_delay_alu instid0(VALU_DEP_3) | instskip(NEXT) | instid1(VALU_DEP_3)
	v_dual_mul_f32 v31, v27, v31 :: v_dual_fmac_f32 v58, v21, v24
	v_dual_fmac_f32 v17, v19, v22 :: v_dual_fma_f32 v61, v18, v22, -v23
	v_dual_fma_f32 v62, v20, v24, -v25 :: v_dual_mul_f32 v22, v29, v33
	s_delay_alu instid0(VALU_DEP_4) | instskip(NEXT) | instid1(VALU_DEP_3)
	v_dual_fmac_f32 v59, v27, v30 :: v_dual_fmac_f32 v60, v29, v32
	v_dual_fma_f32 v63, v26, v30, -v31 :: v_dual_add_f32 v17, 0, v17
	s_wait_dscnt 0x4
	v_dual_mul_f32 v65, v34, v39 :: v_dual_mul_f32 v66, v36, v41
	v_dual_mul_f32 v30, v35, v39 :: v_dual_mul_f32 v31, v37, v41
	s_delay_alu instid0(VALU_DEP_3) | instskip(NEXT) | instid1(VALU_DEP_3)
	v_add_f32_e32 v17, v17, v58
	v_fmac_f32_e32 v65, v35, v38
	ds_load_2addr_b64 v[18:21], v2 offset0:160 offset1:176
	v_dual_fma_f32 v58, v34, v38, -v30 :: v_dual_add_f32 v38, 0, v61
	v_fma_f32 v64, v28, v32, -v22
	ds_load_2addr_b64 v[22:25], v16 offset0:160 offset1:176
	v_add_f32_e32 v17, v17, v59
	s_wait_dscnt 0x4
	v_mul_f32_e32 v59, v42, v47
	v_dual_add_f32 v38, v38, v62 :: v_dual_fmac_f32 v66, v37, v40
	v_fma_f32 v61, v36, v40, -v31
	v_dual_add_f32 v17, v17, v60 :: v_dual_mul_f32 v60, v44, v49
	s_delay_alu instid0(VALU_DEP_3) | instskip(SKIP_1) | instid1(VALU_DEP_3)
	v_add_f32_e32 v38, v38, v63
	v_dual_mul_f32 v39, v43, v47 :: v_dual_mul_f32 v40, v45, v49
	v_dual_add_f32 v17, v17, v65 :: v_dual_fmac_f32 v59, v43, v46
	s_delay_alu instid0(VALU_DEP_4) | instskip(NEXT) | instid1(VALU_DEP_4)
	v_fmac_f32_e32 v60, v45, v48
	v_add_f32_e32 v43, v38, v64
	ds_load_2addr_b64 v[26:29], v2 offset0:192 offset1:208
	v_add_f32_e32 v17, v17, v66
	v_dual_fma_f32 v42, v42, v46, -v39 :: v_dual_fma_f32 v44, v44, v48, -v40
	s_wait_dscnt 0x3
	v_dual_add_f32 v43, v43, v58 :: v_dual_mul_f32 v45, v50, v55
	s_delay_alu instid0(VALU_DEP_3) | instskip(SKIP_1) | instid1(VALU_DEP_2)
	v_dual_add_f32 v17, v17, v59 :: v_dual_mul_f32 v46, v52, v57
	s_wait_dscnt 0x1
	v_dual_mul_f32 v47, v18, v23 :: v_dual_add_f32 v43, v43, v61
	ds_load_2addr_b64 v[30:33], v16 offset0:192 offset1:208
	ds_load_2addr_b64 v[34:37], v2 offset0:224 offset1:240
	v_dual_fmac_f32 v45, v51, v54 :: v_dual_add_f32 v17, v17, v60
	v_dual_mul_f32 v48, v20, v25 :: v_dual_mul_f32 v49, v51, v55
	v_dual_add_f32 v42, v43, v42 :: v_dual_fmac_f32 v46, v53, v56
	ds_load_2addr_b64 v[38:41], v16 offset0:224 offset1:240
	v_dual_add_f32 v17, v17, v45 :: v_dual_fma_f32 v45, v50, v54, -v49
	v_dual_mul_f32 v43, v53, v57 :: v_dual_add_f32 v42, v42, v44
	v_dual_fmac_f32 v47, v19, v22 :: v_dual_mul_f32 v19, v19, v23
	s_delay_alu instid0(VALU_DEP_2) | instskip(NEXT) | instid1(VALU_DEP_3)
	v_dual_add_f32 v17, v17, v46 :: v_dual_fma_f32 v23, v52, v56, -v43
	v_dual_add_f32 v42, v42, v45 :: v_dual_fmac_f32 v48, v21, v24
	s_delay_alu instid0(VALU_DEP_2) | instskip(SKIP_2) | instid1(VALU_DEP_3)
	v_dual_fma_f32 v18, v18, v22, -v19 :: v_dual_add_f32 v17, v17, v47
	s_wait_dscnt 0x2
	v_dual_mul_f32 v43, v26, v31 :: v_dual_mul_f32 v21, v21, v25
	v_dual_add_f32 v19, v42, v23 :: v_dual_mul_f32 v22, v28, v33
	s_delay_alu instid0(VALU_DEP_2) | instskip(NEXT) | instid1(VALU_DEP_2)
	v_dual_add_f32 v17, v17, v48 :: v_dual_fmac_f32 v43, v27, v30
	v_dual_add_f32 v18, v19, v18 :: v_dual_fma_f32 v19, v20, v24, -v21
	s_delay_alu instid0(VALU_DEP_3) | instskip(NEXT) | instid1(VALU_DEP_3)
	v_dual_mul_f32 v20, v27, v31 :: v_dual_fmac_f32 v22, v29, v32
	v_add_f32_e32 v17, v17, v43
	s_wait_dscnt 0x0
	v_mul_f32_e32 v21, v34, v39
	v_add_f32_e32 v18, v18, v19
	v_dual_fma_f32 v19, v26, v30, -v20 :: v_dual_mul_f32 v20, v29, v33
	v_add_f32_e32 v17, v17, v22
	s_delay_alu instid0(VALU_DEP_4) | instskip(SKIP_1) | instid1(VALU_DEP_4)
	v_fmac_f32_e32 v21, v35, v38
	v_lshl_add_u64 v[24:25], s[14:15], 3, v[8:9]
	v_dual_add_f32 v18, v18, v19 :: v_dual_fma_f32 v19, v28, v32, -v20
	v_dual_mul_f32 v20, v35, v39 :: v_dual_mul_f32 v22, v36, v41
	s_delay_alu instid0(VALU_DEP_2) | instskip(NEXT) | instid1(VALU_DEP_2)
	v_dual_add_f32 v17, v17, v21 :: v_dual_add_f32 v18, v18, v19
	v_dual_fma_f32 v19, v34, v38, -v20 :: v_dual_mul_f32 v20, v37, v41
	s_delay_alu instid0(VALU_DEP_1) | instskip(NEXT) | instid1(VALU_DEP_1)
	v_dual_fmac_f32 v22, v37, v40 :: v_dual_add_f32 v19, v18, v19
	v_dual_fma_f32 v20, v36, v40, -v20 :: v_dual_add_f32 v18, v17, v22
	s_delay_alu instid0(VALU_DEP_1) | instskip(NEXT) | instid1(VALU_DEP_2)
	v_add_f32_e32 v20, v19, v20
	v_pk_mul_f32 v[18:19], v[12:13], v[18:19] op_sel:[1,0] op_sel_hi:[0,0]
	s_delay_alu instid0(VALU_DEP_1) | instskip(SKIP_1) | instid1(VALU_DEP_2)
	v_pk_fma_f32 v[22:23], v[12:13], v[20:21], v[18:19] op_sel_hi:[1,0,1]
	v_pk_fma_f32 v[12:13], v[12:13], v[20:21], v[18:19] neg_lo:[0,0,1] neg_hi:[0,0,1]
	v_mov_b32_e32 v13, v23
	global_store_b64 v[24:25], v[12:13], off
	s_branch .LBB106_2
.LBB106_19:
	s_sendmsg sendmsg(MSG_DEALLOC_VGPRS)
	s_endpgm
	.section	.rodata,"a",@progbits
	.p2align	6, 0x0
	.amdhsa_kernel _ZL23rocblas_trmm_rTx_kernelILi16ELb1E19rocblas_complex_numIfEPKS1_S2_S1_Ev13rocblas_fill_17rocblas_diagonal_iiT2_lPT3_llS8_llPT4_lli
		.amdhsa_group_segment_fixed_size 4096
		.amdhsa_private_segment_fixed_size 0
		.amdhsa_kernarg_size 108
		.amdhsa_user_sgpr_count 2
		.amdhsa_user_sgpr_dispatch_ptr 0
		.amdhsa_user_sgpr_queue_ptr 0
		.amdhsa_user_sgpr_kernarg_segment_ptr 1
		.amdhsa_user_sgpr_dispatch_id 0
		.amdhsa_user_sgpr_kernarg_preload_length 0
		.amdhsa_user_sgpr_kernarg_preload_offset 0
		.amdhsa_user_sgpr_private_segment_size 0
		.amdhsa_wavefront_size32 1
		.amdhsa_uses_dynamic_stack 0
		.amdhsa_enable_private_segment 0
		.amdhsa_system_sgpr_workgroup_id_x 1
		.amdhsa_system_sgpr_workgroup_id_y 0
		.amdhsa_system_sgpr_workgroup_id_z 1
		.amdhsa_system_sgpr_workgroup_info 0
		.amdhsa_system_vgpr_workitem_id 1
		.amdhsa_next_free_vgpr 67
		.amdhsa_next_free_sgpr 36
		.amdhsa_named_barrier_count 0
		.amdhsa_reserve_vcc 1
		.amdhsa_float_round_mode_32 0
		.amdhsa_float_round_mode_16_64 0
		.amdhsa_float_denorm_mode_32 3
		.amdhsa_float_denorm_mode_16_64 3
		.amdhsa_fp16_overflow 0
		.amdhsa_memory_ordered 1
		.amdhsa_forward_progress 1
		.amdhsa_inst_pref_size 13
		.amdhsa_round_robin_scheduling 0
		.amdhsa_exception_fp_ieee_invalid_op 0
		.amdhsa_exception_fp_denorm_src 0
		.amdhsa_exception_fp_ieee_div_zero 0
		.amdhsa_exception_fp_ieee_overflow 0
		.amdhsa_exception_fp_ieee_underflow 0
		.amdhsa_exception_fp_ieee_inexact 0
		.amdhsa_exception_int_div_zero 0
	.end_amdhsa_kernel
	.section	.text._ZL23rocblas_trmm_rTx_kernelILi16ELb1E19rocblas_complex_numIfEPKS1_S2_S1_Ev13rocblas_fill_17rocblas_diagonal_iiT2_lPT3_llS8_llPT4_lli,"axG",@progbits,_ZL23rocblas_trmm_rTx_kernelILi16ELb1E19rocblas_complex_numIfEPKS1_S2_S1_Ev13rocblas_fill_17rocblas_diagonal_iiT2_lPT3_llS8_llPT4_lli,comdat
.Lfunc_end106:
	.size	_ZL23rocblas_trmm_rTx_kernelILi16ELb1E19rocblas_complex_numIfEPKS1_S2_S1_Ev13rocblas_fill_17rocblas_diagonal_iiT2_lPT3_llS8_llPT4_lli, .Lfunc_end106-_ZL23rocblas_trmm_rTx_kernelILi16ELb1E19rocblas_complex_numIfEPKS1_S2_S1_Ev13rocblas_fill_17rocblas_diagonal_iiT2_lPT3_llS8_llPT4_lli
                                        ; -- End function
	.set _ZL23rocblas_trmm_rTx_kernelILi16ELb1E19rocblas_complex_numIfEPKS1_S2_S1_Ev13rocblas_fill_17rocblas_diagonal_iiT2_lPT3_llS8_llPT4_lli.num_vgpr, 67
	.set _ZL23rocblas_trmm_rTx_kernelILi16ELb1E19rocblas_complex_numIfEPKS1_S2_S1_Ev13rocblas_fill_17rocblas_diagonal_iiT2_lPT3_llS8_llPT4_lli.num_agpr, 0
	.set _ZL23rocblas_trmm_rTx_kernelILi16ELb1E19rocblas_complex_numIfEPKS1_S2_S1_Ev13rocblas_fill_17rocblas_diagonal_iiT2_lPT3_llS8_llPT4_lli.numbered_sgpr, 36
	.set _ZL23rocblas_trmm_rTx_kernelILi16ELb1E19rocblas_complex_numIfEPKS1_S2_S1_Ev13rocblas_fill_17rocblas_diagonal_iiT2_lPT3_llS8_llPT4_lli.num_named_barrier, 0
	.set _ZL23rocblas_trmm_rTx_kernelILi16ELb1E19rocblas_complex_numIfEPKS1_S2_S1_Ev13rocblas_fill_17rocblas_diagonal_iiT2_lPT3_llS8_llPT4_lli.private_seg_size, 0
	.set _ZL23rocblas_trmm_rTx_kernelILi16ELb1E19rocblas_complex_numIfEPKS1_S2_S1_Ev13rocblas_fill_17rocblas_diagonal_iiT2_lPT3_llS8_llPT4_lli.uses_vcc, 1
	.set _ZL23rocblas_trmm_rTx_kernelILi16ELb1E19rocblas_complex_numIfEPKS1_S2_S1_Ev13rocblas_fill_17rocblas_diagonal_iiT2_lPT3_llS8_llPT4_lli.uses_flat_scratch, 0
	.set _ZL23rocblas_trmm_rTx_kernelILi16ELb1E19rocblas_complex_numIfEPKS1_S2_S1_Ev13rocblas_fill_17rocblas_diagonal_iiT2_lPT3_llS8_llPT4_lli.has_dyn_sized_stack, 0
	.set _ZL23rocblas_trmm_rTx_kernelILi16ELb1E19rocblas_complex_numIfEPKS1_S2_S1_Ev13rocblas_fill_17rocblas_diagonal_iiT2_lPT3_llS8_llPT4_lli.has_recursion, 0
	.set _ZL23rocblas_trmm_rTx_kernelILi16ELb1E19rocblas_complex_numIfEPKS1_S2_S1_Ev13rocblas_fill_17rocblas_diagonal_iiT2_lPT3_llS8_llPT4_lli.has_indirect_call, 0
	.section	.AMDGPU.csdata,"",@progbits
; Kernel info:
; codeLenInByte = 1572
; TotalNumSgprs: 38
; NumVgprs: 67
; ScratchSize: 0
; MemoryBound: 0
; FloatMode: 240
; IeeeMode: 1
; LDSByteSize: 4096 bytes/workgroup (compile time only)
; SGPRBlocks: 0
; VGPRBlocks: 4
; NumSGPRsForWavesPerEU: 38
; NumVGPRsForWavesPerEU: 67
; NamedBarCnt: 0
; Occupancy: 12
; WaveLimiterHint : 0
; COMPUTE_PGM_RSRC2:SCRATCH_EN: 0
; COMPUTE_PGM_RSRC2:USER_SGPR: 2
; COMPUTE_PGM_RSRC2:TRAP_HANDLER: 0
; COMPUTE_PGM_RSRC2:TGID_X_EN: 1
; COMPUTE_PGM_RSRC2:TGID_Y_EN: 0
; COMPUTE_PGM_RSRC2:TGID_Z_EN: 1
; COMPUTE_PGM_RSRC2:TIDIG_COMP_CNT: 1
	.section	.text._ZL23rocblas_trmm_rTx_kernelILi16ELb1E19rocblas_complex_numIfES1_KS1_S1_Ev13rocblas_fill_17rocblas_diagonal_iiT2_lPT3_llS7_llPT4_lli,"axG",@progbits,_ZL23rocblas_trmm_rTx_kernelILi16ELb1E19rocblas_complex_numIfES1_KS1_S1_Ev13rocblas_fill_17rocblas_diagonal_iiT2_lPT3_llS7_llPT4_lli,comdat
	.globl	_ZL23rocblas_trmm_rTx_kernelILi16ELb1E19rocblas_complex_numIfES1_KS1_S1_Ev13rocblas_fill_17rocblas_diagonal_iiT2_lPT3_llS7_llPT4_lli ; -- Begin function _ZL23rocblas_trmm_rTx_kernelILi16ELb1E19rocblas_complex_numIfES1_KS1_S1_Ev13rocblas_fill_17rocblas_diagonal_iiT2_lPT3_llS7_llPT4_lli
	.p2align	8
	.type	_ZL23rocblas_trmm_rTx_kernelILi16ELb1E19rocblas_complex_numIfES1_KS1_S1_Ev13rocblas_fill_17rocblas_diagonal_iiT2_lPT3_llS7_llPT4_lli,@function
_ZL23rocblas_trmm_rTx_kernelILi16ELb1E19rocblas_complex_numIfES1_KS1_S1_Ev13rocblas_fill_17rocblas_diagonal_iiT2_lPT3_llS7_llPT4_lli: ; @_ZL23rocblas_trmm_rTx_kernelILi16ELb1E19rocblas_complex_numIfES1_KS1_S1_Ev13rocblas_fill_17rocblas_diagonal_iiT2_lPT3_llS7_llPT4_lli
; %bb.0:
	s_load_b32 s5, s[0:1], 0x68
	s_bfe_u32 s2, ttmp6, 0x40014
	s_lshr_b32 s3, ttmp7, 16
	s_add_co_i32 s2, s2, 1
	s_bfe_u32 s6, ttmp6, 0x40008
	s_mul_i32 s4, s3, s2
	s_getreg_b32 s2, hwreg(HW_REG_IB_STS2, 6, 4)
	s_add_co_i32 s6, s6, s4
	s_cmp_eq_u32 s2, 0
	s_mov_b32 s7, 0
	s_cselect_b32 s6, s3, s6
	s_wait_kmcnt 0x0
	s_cmp_ge_u32 s6, s5
	s_cbranch_scc1 .LBB107_19
; %bb.1:
	s_clause 0x2
	s_load_b64 s[28:29], s[0:1], 0x10
	s_load_b512 s[8:23], s[0:1], 0x20
	s_load_b128 s[24:27], s[0:1], 0x0
	v_bfe_u32 v12, v0, 10, 10
	v_mov_b32_e32 v13, 0
	v_and_b32_e32 v0, 0x3ff, v0
	s_load_b64 s[30:31], s[0:1], 0x60
	s_delay_alu instid0(VALU_DEP_3) | instskip(NEXT) | instid1(VALU_DEP_2)
	v_dual_lshlrev_b32 v2, 4, v12 :: v_dual_lshlrev_b32 v11, 3, v12
	v_cmp_eq_u32_e32 vcc_lo, v12, v0
	s_wait_xcnt 0x0
	v_cmp_lt_u32_e64 s0, v0, v12
	v_cmp_gt_u32_e64 s1, v0, v12
	v_add_lshl_u32 v9, v2, v0, 3
	v_mov_b32_e32 v1, v13
	v_lshl_add_u32 v8, v0, 3, 0x800
	s_delay_alu instid0(VALU_DEP_3) | instskip(NEXT) | instid1(VALU_DEP_3)
	v_add_nc_u32_e32 v10, 0x800, v9
	v_lshlrev_b64_e32 v[14:15], 3, v[0:1]
	s_wait_kmcnt 0x0
	s_cmp_neq_f32 s28, 0
	v_mul_u64_e32 v[2:3], s[10:11], v[12:13]
	v_mul_u64_e32 v[4:5], s[16:17], v[12:13]
	;; [unrolled: 1-line block ×3, first 2 shown]
	s_cselect_b32 s3, -1, 0
	s_cmp_neq_f32 s29, 0
	s_cselect_b32 s4, -1, 0
	s_add_co_i32 s11, s26, -1
	s_or_b32 s10, s3, s4
	s_ashr_i32 s3, s11, 31
	s_bfe_u32 s17, ttmp6, 0x4000c
	s_lshr_b32 s3, s3, 28
	s_add_co_i32 s17, s17, 1
	s_add_co_i32 s11, s11, s3
	s_and_b32 s16, ttmp6, 15
	s_mul_i32 s4, ttmp9, s17
	s_and_b32 s3, s11, -16
	s_add_co_i32 s16, s16, s4
	s_ashr_i32 s4, s11, 4
	s_sub_co_i32 s11, s26, s3
	s_cmp_eq_u32 s2, 0
	v_cmp_gt_i32_e64 s2, s27, v12
	s_cselect_b32 s16, ttmp9, s16
	v_cmp_gt_i32_e64 s3, s27, v0
	s_cmp_ge_i32 s16, s4
	s_cselect_b32 s4, s11, 16
	s_lshl_b32 s16, s16, 4
	v_cmp_gt_i32_e64 s4, s4, v0
	s_ashr_i32 s17, s16, 31
	v_lshl_add_u64 v[0:1], v[2:3], 3, s[8:9]
	s_lshl_b64 s[16:17], s[16:17], 3
	s_and_b32 s11, s2, s3
	s_add_nc_u64 s[14:15], s[14:15], s[16:17]
	s_add_nc_u64 s[16:17], s[20:21], s[16:17]
	v_lshl_add_u64 v[2:3], v[4:5], 3, s[14:15]
	v_lshl_add_u64 v[4:5], v[6:7], 3, s[16:17]
	s_and_b32 s4, s2, s4
	s_cmp_eq_u32 s25, 0x84
	v_add_nc_u64_e32 v[0:1], v[0:1], v[14:15]
	s_cselect_b32 s2, -1, 0
	v_add_nc_u64_e32 v[2:3], v[2:3], v[14:15]
	v_add_nc_u64_e32 v[4:5], v[4:5], v[14:15]
	v_mov_b64_e32 v[6:7], 0
	s_and_b32 s8, vcc_lo, s2
	s_cmp_lg_u32 s24, 0x79
	s_mov_b32 s2, s29
	s_cselect_b32 s9, -1, 0
	s_mov_b32 s3, s28
	s_branch .LBB107_4
.LBB107_2:                              ;   in Loop: Header=BB107_4 Depth=1
	s_wait_xcnt 0x0
	s_or_b32 exec_lo, exec_lo, s14
.LBB107_3:                              ;   in Loop: Header=BB107_4 Depth=1
	s_add_co_i32 s6, s6, 0x10000
	s_delay_alu instid0(SALU_CYCLE_1)
	s_cmp_lt_u32 s6, s5
	s_cbranch_scc0 .LBB107_19
.LBB107_4:                              ; =>This Inner Loop Header: Depth=1
	s_and_not1_b32 vcc_lo, exec_lo, s10
	s_cbranch_vccnz .LBB107_3
; %bb.5:                                ;   in Loop: Header=BB107_4 Depth=1
	ds_store_b64 v9, v[6:7]
	ds_store_b64 v10, v[6:7]
	s_and_saveexec_b32 s14, s11
	s_cbranch_execnz .LBB107_10
; %bb.6:                                ;   in Loop: Header=BB107_4 Depth=1
	s_or_b32 exec_lo, exec_lo, s14
	s_and_saveexec_b32 s14, s4
	s_cbranch_execnz .LBB107_11
.LBB107_7:                              ;   in Loop: Header=BB107_4 Depth=1
	s_or_b32 exec_lo, exec_lo, s14
	s_and_saveexec_b32 s14, s8
	s_cbranch_execnz .LBB107_12
.LBB107_8:                              ;   in Loop: Header=BB107_4 Depth=1
	s_or_b32 exec_lo, exec_lo, s14
	s_delay_alu instid0(SALU_CYCLE_1)
	s_and_b32 vcc_lo, exec_lo, s9
	s_cbranch_vccz .LBB107_13
.LBB107_9:                              ;   in Loop: Header=BB107_4 Depth=1
	s_and_b32 s14, s0, exec_lo
	s_cbranch_execz .LBB107_14
	s_branch .LBB107_15
.LBB107_10:                             ;   in Loop: Header=BB107_4 Depth=1
	s_mul_u64 s[16:17], s[12:13], s[6:7]
	s_delay_alu instid0(SALU_CYCLE_1)
	v_lshl_add_u64 v[12:13], s[16:17], 3, v[0:1]
	global_load_b64 v[12:13], v[12:13], off
	s_wait_loadcnt 0x0
	s_wait_xcnt 0x0
	v_xor_b32_e32 v13, 0x80000000, v13
	ds_store_b64 v9, v[12:13]
	s_or_b32 exec_lo, exec_lo, s14
	s_and_saveexec_b32 s14, s4
	s_cbranch_execz .LBB107_7
.LBB107_11:                             ;   in Loop: Header=BB107_4 Depth=1
	s_mul_u64 s[16:17], s[18:19], s[6:7]
	s_delay_alu instid0(SALU_CYCLE_1)
	v_lshl_add_u64 v[12:13], s[16:17], 3, v[2:3]
	global_load_b64 v[12:13], v[12:13], off
	s_wait_loadcnt 0x0
	ds_store_b64 v10, v[12:13]
	s_wait_xcnt 0x0
	s_or_b32 exec_lo, exec_lo, s14
	s_and_saveexec_b32 s14, s8
	s_cbranch_execz .LBB107_8
.LBB107_12:                             ;   in Loop: Header=BB107_4 Depth=1
	v_mov_b64_e32 v[12:13], 0x3f800000
	ds_store_b64 v9, v[12:13]
	s_or_b32 exec_lo, exec_lo, s14
	s_delay_alu instid0(SALU_CYCLE_1)
	s_and_b32 vcc_lo, exec_lo, s9
	s_cbranch_vccnz .LBB107_9
.LBB107_13:                             ;   in Loop: Header=BB107_4 Depth=1
	s_mov_b32 s14, 0
.LBB107_14:                             ;   in Loop: Header=BB107_4 Depth=1
	s_delay_alu instid0(SALU_CYCLE_1) | instskip(SKIP_1) | instid1(SALU_CYCLE_1)
	s_and_not1_b32 s14, s14, exec_lo
	s_and_b32 s15, s1, exec_lo
	s_or_b32 s14, s14, s15
.LBB107_15:                             ;   in Loop: Header=BB107_4 Depth=1
	s_delay_alu instid0(SALU_CYCLE_1)
	s_and_saveexec_b32 s15, s14
; %bb.16:                               ;   in Loop: Header=BB107_4 Depth=1
	ds_store_b64 v9, v[6:7]
; %bb.17:                               ;   in Loop: Header=BB107_4 Depth=1
	s_or_b32 exec_lo, exec_lo, s15
	s_wait_dscnt 0x0
	s_barrier_signal -1
	s_barrier_wait -1
	s_and_saveexec_b32 s14, s4
	s_cbranch_execz .LBB107_2
; %bb.18:                               ;   in Loop: Header=BB107_4 Depth=1
	ds_load_2addr_b64 v[12:15], v11 offset1:16
	ds_load_2addr_b64 v[16:19], v8 offset1:16
	ds_load_2addr_b64 v[20:23], v11 offset0:32 offset1:48
	ds_load_2addr_b64 v[24:27], v8 offset0:32 offset1:48
	;; [unrolled: 1-line block ×9, first 2 shown]
	s_mul_u64 s[16:17], s[30:31], s[6:7]
	s_wait_dscnt 0x9
	v_dual_mul_f32 v56, v12, v17 :: v_dual_mul_f32 v57, v14, v19
	v_dual_mul_f32 v17, v13, v17 :: v_dual_mul_f32 v19, v15, v19
	s_wait_dscnt 0x7
	s_delay_alu instid0(VALU_DEP_2) | instskip(NEXT) | instid1(VALU_DEP_3)
	v_dual_mul_f32 v58, v20, v25 :: v_dual_fmac_f32 v56, v13, v16
	v_fmac_f32_e32 v57, v15, v18
	s_delay_alu instid0(VALU_DEP_3) | instskip(SKIP_1) | instid1(VALU_DEP_4)
	v_dual_fma_f32 v59, v12, v16, -v17 :: v_dual_mul_f32 v61, v22, v27
	v_dual_mul_f32 v16, v21, v25 :: v_dual_mul_f32 v17, v23, v27
	v_dual_fma_f32 v60, v14, v18, -v19 :: v_dual_fmac_f32 v58, v21, v24
	s_delay_alu instid0(VALU_DEP_2)
	v_dual_fmac_f32 v61, v23, v26 :: v_dual_fma_f32 v62, v20, v24, -v16
	s_wait_dscnt 0x5
	v_dual_add_f32 v20, 0, v56 :: v_dual_mul_f32 v63, v28, v33
	v_add_f32_e32 v21, 0, v59
	ds_load_2addr_b64 v[12:15], v8 offset0:160 offset1:176
	v_dual_fma_f32 v56, v22, v26, -v17 :: v_dual_add_f32 v20, v20, v57
	v_dual_mul_f32 v57, v30, v35 :: v_dual_mul_f32 v24, v29, v33
	v_dual_mul_f32 v25, v31, v35 :: v_dual_add_f32 v33, v21, v60
	s_delay_alu instid0(VALU_DEP_3) | instskip(NEXT) | instid1(VALU_DEP_3)
	v_dual_add_f32 v26, v20, v58 :: v_dual_fmac_f32 v63, v29, v32
	v_dual_fmac_f32 v57, v31, v34 :: v_dual_fma_f32 v32, v28, v32, -v24
	s_delay_alu instid0(VALU_DEP_2) | instskip(SKIP_2) | instid1(VALU_DEP_2)
	v_dual_add_f32 v33, v33, v62 :: v_dual_add_f32 v35, v26, v61
	s_wait_dscnt 0x4
	v_dual_fma_f32 v34, v30, v34, -v25 :: v_dual_mul_f32 v58, v36, v41
	v_dual_mul_f32 v59, v38, v43 :: v_dual_add_f32 v33, v33, v56
	s_wait_dscnt 0x2
	v_dual_add_f32 v35, v35, v63 :: v_dual_mul_f32 v60, v44, v49
	s_delay_alu instid0(VALU_DEP_3)
	v_fmac_f32_e32 v58, v37, v40
	ds_load_2addr_b64 v[16:19], v11 offset0:192 offset1:208
	ds_load_2addr_b64 v[20:23], v8 offset0:192 offset1:208
	v_dual_add_f32 v35, v35, v57 :: v_dual_add_f32 v32, v33, v32
	s_wait_dscnt 0x2
	v_dual_mul_f32 v33, v37, v41 :: v_dual_mul_f32 v37, v54, v15
	v_fmac_f32_e32 v59, v39, v42
	s_delay_alu instid0(VALU_DEP_3) | instskip(SKIP_1) | instid1(VALU_DEP_4)
	v_add_f32_e32 v35, v35, v58
	v_dual_add_f32 v32, v32, v34 :: v_dual_fmac_f32 v60, v45, v48
	v_dual_mul_f32 v34, v39, v43 :: v_dual_fma_f32 v33, v36, v40, -v33
	s_delay_alu instid0(VALU_DEP_3) | instskip(SKIP_1) | instid1(VALU_DEP_3)
	v_add_f32_e32 v35, v35, v59
	v_dual_mul_f32 v56, v46, v51 :: v_dual_mul_f32 v57, v52, v13
	v_dual_mul_f32 v36, v45, v49 :: v_dual_fma_f32 v34, v38, v42, -v34
	s_delay_alu instid0(VALU_DEP_2)
	v_dual_add_f32 v32, v32, v33 :: v_dual_fmac_f32 v56, v47, v50
	ds_load_2addr_b64 v[24:27], v11 offset0:224 offset1:240
	ds_load_2addr_b64 v[28:31], v8 offset0:224 offset1:240
	v_add_f32_e32 v33, v35, v60
	v_dual_mul_f32 v35, v47, v51 :: v_dual_fma_f32 v36, v44, v48, -v36
	v_dual_add_f32 v32, v32, v34 :: v_dual_fmac_f32 v57, v53, v12
	v_mul_f32_e32 v13, v53, v13
	s_delay_alu instid0(VALU_DEP_3) | instskip(NEXT) | instid1(VALU_DEP_3)
	v_dual_add_f32 v33, v33, v56 :: v_dual_fma_f32 v34, v46, v50, -v35
	v_dual_add_f32 v32, v32, v36 :: v_dual_fmac_f32 v37, v55, v14
	s_wait_dscnt 0x2
	v_dual_mul_f32 v35, v16, v21 :: v_dual_mul_f32 v15, v55, v15
	s_delay_alu instid0(VALU_DEP_3) | instskip(NEXT) | instid1(VALU_DEP_2)
	v_dual_add_f32 v33, v33, v57 :: v_dual_fma_f32 v12, v52, v12, -v13
	v_dual_add_f32 v13, v32, v34 :: v_dual_fmac_f32 v35, v17, v20
	s_delay_alu instid0(VALU_DEP_2) | instskip(NEXT) | instid1(VALU_DEP_2)
	v_dual_add_f32 v32, v33, v37 :: v_dual_mul_f32 v33, v18, v23
	v_dual_add_f32 v12, v13, v12 :: v_dual_fma_f32 v13, v54, v14, -v15
	s_delay_alu instid0(VALU_DEP_2) | instskip(SKIP_1) | instid1(VALU_DEP_3)
	v_dual_mul_f32 v14, v17, v21 :: v_dual_add_f32 v15, v32, v35
	s_wait_dscnt 0x0
	v_dual_fmac_f32 v33, v19, v22 :: v_dual_mul_f32 v17, v24, v29
	s_delay_alu instid0(VALU_DEP_3) | instskip(NEXT) | instid1(VALU_DEP_3)
	v_add_f32_e32 v12, v12, v13
	v_dual_fma_f32 v13, v16, v20, -v14 :: v_dual_mul_f32 v14, v19, v23
	s_delay_alu instid0(VALU_DEP_3) | instskip(NEXT) | instid1(VALU_DEP_2)
	v_dual_add_f32 v15, v15, v33 :: v_dual_fmac_f32 v17, v25, v28
	v_dual_mul_f32 v16, v26, v31 :: v_dual_add_f32 v12, v12, v13
	s_delay_alu instid0(VALU_DEP_3) | instskip(SKIP_1) | instid1(VALU_DEP_3)
	v_dual_fma_f32 v13, v18, v22, -v14 :: v_dual_mul_f32 v14, v25, v29
	v_lshl_add_u64 v[20:21], s[16:17], 3, v[4:5]
	v_fmac_f32_e32 v16, v27, v30
	v_add_f32_e32 v15, v15, v17
	s_delay_alu instid0(VALU_DEP_4) | instskip(SKIP_1) | instid1(VALU_DEP_2)
	v_dual_add_f32 v13, v12, v13 :: v_dual_mul_f32 v17, v27, v31
	v_fma_f32 v14, v24, v28, -v14
	v_dual_add_f32 v12, v15, v16 :: v_dual_fma_f32 v16, v26, v30, -v17
	s_delay_alu instid0(VALU_DEP_2) | instskip(SKIP_1) | instid1(VALU_DEP_2)
	v_add_f32_e32 v13, v13, v14
	v_mov_b64_e32 v[14:15], s[2:3]
	v_add_f32_e32 v16, v13, v16
	s_delay_alu instid0(VALU_DEP_2) | instskip(SKIP_1) | instid1(VALU_DEP_1)
	v_pk_mul_f32 v[12:13], v[14:15], v[12:13] op_sel_hi:[1,0]
	v_mov_b64_e32 v[14:15], s[28:29]
	v_pk_fma_f32 v[18:19], v[14:15], v[16:17], v[12:13] op_sel_hi:[1,0,1]
	v_pk_fma_f32 v[12:13], v[14:15], v[16:17], v[12:13] neg_lo:[0,0,1] neg_hi:[0,0,1]
	s_delay_alu instid0(VALU_DEP_2)
	v_mov_b32_e32 v13, v19
	global_store_b64 v[20:21], v[12:13], off
	s_branch .LBB107_2
.LBB107_19:
	s_endpgm
	.section	.rodata,"a",@progbits
	.p2align	6, 0x0
	.amdhsa_kernel _ZL23rocblas_trmm_rTx_kernelILi16ELb1E19rocblas_complex_numIfES1_KS1_S1_Ev13rocblas_fill_17rocblas_diagonal_iiT2_lPT3_llS7_llPT4_lli
		.amdhsa_group_segment_fixed_size 4096
		.amdhsa_private_segment_fixed_size 0
		.amdhsa_kernarg_size 108
		.amdhsa_user_sgpr_count 2
		.amdhsa_user_sgpr_dispatch_ptr 0
		.amdhsa_user_sgpr_queue_ptr 0
		.amdhsa_user_sgpr_kernarg_segment_ptr 1
		.amdhsa_user_sgpr_dispatch_id 0
		.amdhsa_user_sgpr_kernarg_preload_length 0
		.amdhsa_user_sgpr_kernarg_preload_offset 0
		.amdhsa_user_sgpr_private_segment_size 0
		.amdhsa_wavefront_size32 1
		.amdhsa_uses_dynamic_stack 0
		.amdhsa_enable_private_segment 0
		.amdhsa_system_sgpr_workgroup_id_x 1
		.amdhsa_system_sgpr_workgroup_id_y 0
		.amdhsa_system_sgpr_workgroup_id_z 1
		.amdhsa_system_sgpr_workgroup_info 0
		.amdhsa_system_vgpr_workitem_id 1
		.amdhsa_next_free_vgpr 64
		.amdhsa_next_free_sgpr 32
		.amdhsa_named_barrier_count 0
		.amdhsa_reserve_vcc 1
		.amdhsa_float_round_mode_32 0
		.amdhsa_float_round_mode_16_64 0
		.amdhsa_float_denorm_mode_32 3
		.amdhsa_float_denorm_mode_16_64 3
		.amdhsa_fp16_overflow 0
		.amdhsa_memory_ordered 1
		.amdhsa_forward_progress 1
		.amdhsa_inst_pref_size 13
		.amdhsa_round_robin_scheduling 0
		.amdhsa_exception_fp_ieee_invalid_op 0
		.amdhsa_exception_fp_denorm_src 0
		.amdhsa_exception_fp_ieee_div_zero 0
		.amdhsa_exception_fp_ieee_overflow 0
		.amdhsa_exception_fp_ieee_underflow 0
		.amdhsa_exception_fp_ieee_inexact 0
		.amdhsa_exception_int_div_zero 0
	.end_amdhsa_kernel
	.section	.text._ZL23rocblas_trmm_rTx_kernelILi16ELb1E19rocblas_complex_numIfES1_KS1_S1_Ev13rocblas_fill_17rocblas_diagonal_iiT2_lPT3_llS7_llPT4_lli,"axG",@progbits,_ZL23rocblas_trmm_rTx_kernelILi16ELb1E19rocblas_complex_numIfES1_KS1_S1_Ev13rocblas_fill_17rocblas_diagonal_iiT2_lPT3_llS7_llPT4_lli,comdat
.Lfunc_end107:
	.size	_ZL23rocblas_trmm_rTx_kernelILi16ELb1E19rocblas_complex_numIfES1_KS1_S1_Ev13rocblas_fill_17rocblas_diagonal_iiT2_lPT3_llS7_llPT4_lli, .Lfunc_end107-_ZL23rocblas_trmm_rTx_kernelILi16ELb1E19rocblas_complex_numIfES1_KS1_S1_Ev13rocblas_fill_17rocblas_diagonal_iiT2_lPT3_llS7_llPT4_lli
                                        ; -- End function
	.set _ZL23rocblas_trmm_rTx_kernelILi16ELb1E19rocblas_complex_numIfES1_KS1_S1_Ev13rocblas_fill_17rocblas_diagonal_iiT2_lPT3_llS7_llPT4_lli.num_vgpr, 64
	.set _ZL23rocblas_trmm_rTx_kernelILi16ELb1E19rocblas_complex_numIfES1_KS1_S1_Ev13rocblas_fill_17rocblas_diagonal_iiT2_lPT3_llS7_llPT4_lli.num_agpr, 0
	.set _ZL23rocblas_trmm_rTx_kernelILi16ELb1E19rocblas_complex_numIfES1_KS1_S1_Ev13rocblas_fill_17rocblas_diagonal_iiT2_lPT3_llS7_llPT4_lli.numbered_sgpr, 32
	.set _ZL23rocblas_trmm_rTx_kernelILi16ELb1E19rocblas_complex_numIfES1_KS1_S1_Ev13rocblas_fill_17rocblas_diagonal_iiT2_lPT3_llS7_llPT4_lli.num_named_barrier, 0
	.set _ZL23rocblas_trmm_rTx_kernelILi16ELb1E19rocblas_complex_numIfES1_KS1_S1_Ev13rocblas_fill_17rocblas_diagonal_iiT2_lPT3_llS7_llPT4_lli.private_seg_size, 0
	.set _ZL23rocblas_trmm_rTx_kernelILi16ELb1E19rocblas_complex_numIfES1_KS1_S1_Ev13rocblas_fill_17rocblas_diagonal_iiT2_lPT3_llS7_llPT4_lli.uses_vcc, 1
	.set _ZL23rocblas_trmm_rTx_kernelILi16ELb1E19rocblas_complex_numIfES1_KS1_S1_Ev13rocblas_fill_17rocblas_diagonal_iiT2_lPT3_llS7_llPT4_lli.uses_flat_scratch, 0
	.set _ZL23rocblas_trmm_rTx_kernelILi16ELb1E19rocblas_complex_numIfES1_KS1_S1_Ev13rocblas_fill_17rocblas_diagonal_iiT2_lPT3_llS7_llPT4_lli.has_dyn_sized_stack, 0
	.set _ZL23rocblas_trmm_rTx_kernelILi16ELb1E19rocblas_complex_numIfES1_KS1_S1_Ev13rocblas_fill_17rocblas_diagonal_iiT2_lPT3_llS7_llPT4_lli.has_recursion, 0
	.set _ZL23rocblas_trmm_rTx_kernelILi16ELb1E19rocblas_complex_numIfES1_KS1_S1_Ev13rocblas_fill_17rocblas_diagonal_iiT2_lPT3_llS7_llPT4_lli.has_indirect_call, 0
	.section	.AMDGPU.csdata,"",@progbits
; Kernel info:
; codeLenInByte = 1576
; TotalNumSgprs: 34
; NumVgprs: 64
; ScratchSize: 0
; MemoryBound: 0
; FloatMode: 240
; IeeeMode: 1
; LDSByteSize: 4096 bytes/workgroup (compile time only)
; SGPRBlocks: 0
; VGPRBlocks: 3
; NumSGPRsForWavesPerEU: 34
; NumVGPRsForWavesPerEU: 64
; NamedBarCnt: 0
; Occupancy: 16
; WaveLimiterHint : 0
; COMPUTE_PGM_RSRC2:SCRATCH_EN: 0
; COMPUTE_PGM_RSRC2:USER_SGPR: 2
; COMPUTE_PGM_RSRC2:TRAP_HANDLER: 0
; COMPUTE_PGM_RSRC2:TGID_X_EN: 1
; COMPUTE_PGM_RSRC2:TGID_Y_EN: 0
; COMPUTE_PGM_RSRC2:TGID_Z_EN: 1
; COMPUTE_PGM_RSRC2:TIDIG_COMP_CNT: 1
	.section	.text._ZL30rocblas_trmm_outofplace_kernelI19rocblas_complex_numIdELi32ELi2ELb1ELb0ELb0ELb0EPKS1_S2_S1_Ev17rocblas_diagonal_iiT6_lPT7_lllS7_lllPT8_llli,"axG",@progbits,_ZL30rocblas_trmm_outofplace_kernelI19rocblas_complex_numIdELi32ELi2ELb1ELb0ELb0ELb0EPKS1_S2_S1_Ev17rocblas_diagonal_iiT6_lPT7_lllS7_lllPT8_llli,comdat
	.globl	_ZL30rocblas_trmm_outofplace_kernelI19rocblas_complex_numIdELi32ELi2ELb1ELb0ELb0ELb0EPKS1_S2_S1_Ev17rocblas_diagonal_iiT6_lPT7_lllS7_lllPT8_llli ; -- Begin function _ZL30rocblas_trmm_outofplace_kernelI19rocblas_complex_numIdELi32ELi2ELb1ELb0ELb0ELb0EPKS1_S2_S1_Ev17rocblas_diagonal_iiT6_lPT7_lllS7_lllPT8_llli
	.p2align	8
	.type	_ZL30rocblas_trmm_outofplace_kernelI19rocblas_complex_numIdELi32ELi2ELb1ELb0ELb0ELb0EPKS1_S2_S1_Ev17rocblas_diagonal_iiT6_lPT7_lllS7_lllPT8_llli,@function
_ZL30rocblas_trmm_outofplace_kernelI19rocblas_complex_numIdELi32ELi2ELb1ELb0ELb0ELb0EPKS1_S2_S1_Ev17rocblas_diagonal_iiT6_lPT7_lllS7_lllPT8_llli: ; @_ZL30rocblas_trmm_outofplace_kernelI19rocblas_complex_numIdELi32ELi2ELb1ELb0ELb0ELb0EPKS1_S2_S1_Ev17rocblas_diagonal_iiT6_lPT7_lllS7_lllPT8_llli
; %bb.0:
	s_load_b32 s11, s[0:1], 0x80
	s_bfe_u32 s2, ttmp6, 0x40014
	s_lshr_b32 s3, ttmp7, 16
	s_add_co_i32 s2, s2, 1
	s_bfe_u32 s5, ttmp6, 0x40008
	s_mul_i32 s4, s3, s2
	s_getreg_b32 s2, hwreg(HW_REG_IB_STS2, 6, 4)
	s_add_co_i32 s5, s5, s4
	s_cmp_eq_u32 s2, 0
	s_mov_b32 s35, 0
	s_cselect_b32 s34, s3, s5
	s_wait_kmcnt 0x0
	s_cmp_ge_u32 s34, s11
	s_cbranch_scc1 .LBB108_67
; %bb.1:
	s_clause 0x3
	s_load_b96 s[8:10], s[0:1], 0x0
	s_load_b512 s[12:27], s[0:1], 0x10
	s_load_b128 s[28:31], s[0:1], 0x70
	s_load_b256 s[36:43], s[0:1], 0x50
	s_bfe_u32 s4, ttmp6, 0x4000c
	s_bfe_u32 s6, ttmp6, 0x40010
	s_add_co_i32 s4, s4, 1
	v_bfe_u32 v26, v0, 10, 10
	v_mov_b32_e32 v2, 0
	s_and_b32 s5, ttmp7, 0xffff
	s_add_nc_u64 s[44:45], s[0:1], 0x88
	s_add_co_i32 s6, s6, 1
	s_wait_xcnt 0x0
	s_mul_i32 s0, ttmp9, s4
	s_and_b32 s3, ttmp6, 15
	s_mul_i32 s1, s5, s6
	v_dual_lshlrev_b32 v3, 9, v26 :: v_dual_mov_b32 v27, v2
	v_mov_b32_e32 v1, v2
	s_add_co_i32 s3, s3, s0
	s_bfe_u32 s7, ttmp6, 0x40004
	s_wait_kmcnt 0x0
	s_add_co_i32 s4, s10, -1
	s_add_co_i32 s7, s7, s1
	s_ashr_i32 s6, s4, 31
	v_mul_u64_e32 v[4:5], s[20:21], v[26:27]
	s_lshr_b32 s0, s6, 27
	v_lshl_add_u32 v8, v26, 4, 0x100
	s_add_co_i32 s4, s4, s0
	s_lshl_b64 s[0:1], s[42:43], 4
	s_ashr_i32 s33, s4, 5
	s_cmp_eq_u32 s2, 0
	v_and_b32_e32 v0, 0x3ff, v0
	s_cselect_b32 s48, s5, s7
	s_cselect_b32 s2, ttmp9, s3
	s_cmp_le_i32 s48, s33
	v_dual_mov_b32 v29, v2 :: v_dual_add_nc_u32 v80, 0x4000, v3
	s_cselect_b32 s49, -1, 0
	s_lshl_b32 s50, s2, 5
	s_cmp_gt_i32 s2, -1
	v_dual_lshlrev_b32 v28, 4, v0 :: v_dual_add_nc_u32 v30, s50, v0
	s_cselect_b32 s51, -1, 0
	s_cmp_eq_u32 s8, 0x84
	s_mov_b32 s42, s9
	s_cselect_b32 s52, -1, 0
	s_lshl_b64 s[2:3], s[18:19], 4
	v_dual_add_nc_u32 v81, v28, v3 :: v_dual_ashrrev_i32 v31, 31, v30
	s_add_nc_u64 s[4:5], s[16:17], s[2:3]
	s_lshl_b64 s[2:3], s[26:27], 4
	v_mad_nc_u64_u32 v[6:7], s20, v8, s[4:5]
	s_add_nc_u64 s[2:3], s[24:25], s[2:3]
	v_add_nc_u64_e32 v[32:33], 16, v[30:31]
	v_sub_nc_u64_e32 v[36:37], v[30:31], v[26:27]
	v_dual_add_nc_u32 v82, v80, v28 :: v_dual_add_nc_u32 v34, 16, v30
	v_lshl_add_u64 v[4:5], v[4:5], 4, s[4:5]
	s_ashr_i32 s43, s9, 31
	s_add_nc_u64 s[16:17], s[40:41], s[0:1]
	s_delay_alu instid0(VALU_DEP_4) | instskip(NEXT) | instid1(VALU_DEP_4)
	v_cmp_le_i64_e64 s1, s[42:43], v[32:33]
	v_add_nc_u64_e32 v[38:39], -16, v[36:37]
	v_mad_u32 v7, s21, v8, v7
	v_add_nc_u64_e32 v[8:9], s[2:3], v[28:29]
	v_lshlrev_b64_e32 v[42:43], 4, v[30:31]
	v_add_nc_u64_e32 v[46:47], 0x100, v[4:5]
	v_cmp_le_i32_e64 s0, s9, v30
	v_cmp_gt_i32_e64 s2, s9, v30
	v_cmp_gt_i32_e64 s3, s9, v34
	v_ashrrev_i32_e32 v35, 31, v34
	v_add_nc_u64_e32 v[40:41], 0x100, v[8:9]
	v_lshl_add_u32 v29, s48, 5, v26
	v_mov_b32_e32 v3, 0x3ff00000
	v_add_nc_u64_e32 v[44:45], 0x100, v[6:7]
	s_mov_b32 s46, s10
	s_ashr_i32 s47, s10, 31
	s_lshl_b64 s[18:19], s[20:21], 9
	s_add_nc_u64 s[20:21], s[42:43], -16
	s_lshl_b64 s[24:25], s[38:39], 4
	s_lshl_b64 s[26:27], s[36:37], 4
	s_lshl_b64 s[22:23], s[22:23], 4
	s_branch .LBB108_4
.LBB108_2:                              ;   in Loop: Header=BB108_4 Depth=1
	s_add_co_i32 s34, s34, 0x10000
	s_delay_alu instid0(SALU_CYCLE_1)
	s_cmp_ge_u32 s34, s11
	s_cselect_b32 s4, -1, 0
.LBB108_3:                              ;   in Loop: Header=BB108_4 Depth=1
	s_delay_alu instid0(SALU_CYCLE_1)
	s_and_b32 vcc_lo, exec_lo, s4
	s_cbranch_vccnz .LBB108_67
.LBB108_4:                              ; =>This Loop Header: Depth=1
                                        ;     Child Loop BB108_8 Depth 2
                                        ;       Child Loop BB108_11 Depth 3
	s_mul_u64 s[4:5], s[14:15], s[34:35]
	s_delay_alu instid0(SALU_CYCLE_1) | instskip(NEXT) | instid1(SALU_CYCLE_1)
	s_lshl_b64 s[4:5], s[4:5], 4
	s_add_nc_u64 s[4:5], s[12:13], s[4:5]
	global_load_b128 v[6:9], v2, s[4:5]
	s_wait_loadcnt 0x0
	v_cmp_eq_f64_e32 vcc_lo, 0, v[6:7]
	s_wait_xcnt 0x0
	v_cmp_eq_f64_e64 s4, 0, v[8:9]
	s_and_b32 s4, vcc_lo, s4
	s_delay_alu instid0(SALU_CYCLE_1)
	s_and_b32 vcc_lo, exec_lo, s4
	s_mov_b32 s4, -1
	s_cbranch_vccnz .LBB108_3
; %bb.5:                                ;   in Loop: Header=BB108_4 Depth=1
	s_and_not1_b32 vcc_lo, exec_lo, s49
	s_cbranch_vccnz .LBB108_2
; %bb.6:                                ;   in Loop: Header=BB108_4 Depth=1
	s_load_b32 s9, s[44:45], 0x4
	v_mad_nc_u64_u32 v[48:49], s24, s34, v[40:41]
	v_mad_nc_u64_u32 v[50:51], s22, s34, v[44:45]
	;; [unrolled: 1-line block ×3, first 2 shown]
	s_mul_i32 s6, s23, s34
	s_mul_u64 s[4:5], s[30:31], s[34:35]
	v_mov_b32_e32 v54, v29
	s_lshl_b64 s[4:5], s[4:5], 4
	s_mov_b32 s54, s48
	s_add_nc_u64 s[38:39], s[16:17], s[4:5]
	s_delay_alu instid0(VALU_DEP_4) | instskip(NEXT) | instid1(VALU_DEP_3)
	v_mad_u32 v49, s25, s34, v49
	v_dual_add_nc_u32 v51, s6, v51 :: v_dual_add_nc_u32 v53, s6, v53
	s_wait_kmcnt 0x0
	s_lshl_b32 s53, s9, 5
	s_branch .LBB108_8
.LBB108_7:                              ;   in Loop: Header=BB108_8 Depth=2
	s_wait_xcnt 0x0
	s_or_b32 exec_lo, exec_lo, s4
	v_add_nc_u32_e32 v54, s53, v54
	s_add_co_i32 s54, s9, s54
	s_delay_alu instid0(SALU_CYCLE_1)
	s_cmp_gt_i32 s54, s33
	s_cbranch_scc1 .LBB108_2
.LBB108_8:                              ;   Parent Loop BB108_4 Depth=1
                                        ; =>  This Loop Header: Depth=2
                                        ;       Child Loop BB108_11 Depth 3
	v_lshl_add_u32 v56, s54, 5, v26
	v_mov_b64_e32 v[66:67], 0
	v_mov_b64_e32 v[68:69], 0
	v_mov_b64_e32 v[22:23], 0
	v_mov_b64_e32 v[24:25], 0
	v_mov_b64_e32 v[74:75], 0
	v_mov_b64_e32 v[72:73], 0
	v_mov_b64_e32 v[20:21], 0
	v_mov_b64_e32 v[18:19], 0
	v_ashrrev_i32_e32 v57, 31, v56
	s_and_not1_b32 vcc_lo, exec_lo, s51
	s_cbranch_vccnz .LBB108_59
; %bb.9:                                ;   in Loop: Header=BB108_8 Depth=2
	v_ashrrev_i32_e32 v55, 31, v54
	v_mad_nc_u64_u32 v[58:59], s26, v54, v[48:49]
	v_sub_nc_u64_e32 v[10:11], s[46:47], v[56:57]
	v_mov_b64_e32 v[18:19], 0
	v_mov_b64_e32 v[20:21], 0
	v_lshl_add_u64 v[4:5], v[54:55], 4, 0x100
	v_mov_b64_e32 v[72:73], 0
	v_mov_b64_e32 v[74:75], 0
	;; [unrolled: 1-line block ×3, first 2 shown]
	v_cmp_lt_i64_e64 s4, 16, v[10:11]
	v_mad_nc_u64_u32 v[60:61], s36, v4, v[48:49]
	v_mov_b64_e32 v[22:23], 0
	v_mad_u32 v12, s27, v54, v59
	v_mov_b64_e32 v[68:69], 0
	v_mov_b64_e32 v[66:67], 0
	v_mov_b64_e32 v[62:63], v[52:53]
	v_mov_b64_e32 v[64:65], v[50:51]
	s_mov_b64 s[40:41], 0
	v_cmp_lt_i64_e32 vcc_lo, 0, v[10:11]
	v_mad_u32 v4, s37, v4, v61
	v_mad_u32 v59, s26, v55, v12
	s_delay_alu instid0(VALU_DEP_2)
	v_mad_u32 v61, s36, v5, v4
	s_branch .LBB108_11
.LBB108_10:                             ;   in Loop: Header=BB108_11 Depth=3
	s_wait_xcnt 0x0
	s_or_b32 exec_lo, exec_lo, s5
	s_wait_dscnt 0x0
	s_barrier_signal -1
	s_barrier_wait -1
	ds_load_b128 v[76:79], v80
	ds_load_b128 v[84:87], v80 offset:16
	ds_load_b128 v[14:17], v80 offset:32
	ds_load_b128 v[10:13], v80 offset:48
	ds_load_b128 v[88:91], v28
	v_add_nc_u64_e32 v[58:59], 0x200, v[58:59]
	v_add_nc_u64_e32 v[60:61], 0x200, v[60:61]
	;; [unrolled: 1-line block ×4, first 2 shown]
	s_add_nc_u64 s[40:41], s[40:41], 32
	s_delay_alu instid0(SALU_CYCLE_1) | instskip(NEXT) | instid1(SALU_CYCLE_1)
	s_sub_co_i32 s5, s40, 32
	s_cmp_ge_i32 s5, s50
	s_wait_dscnt 0x0
	v_mul_f64_e32 v[4:5], v[78:79], v[90:91]
	v_mul_f64_e32 v[70:71], v[76:77], v[90:91]
	s_delay_alu instid0(VALU_DEP_2) | instskip(NEXT) | instid1(VALU_DEP_2)
	v_fma_f64 v[4:5], v[76:77], v[88:89], -v[4:5]
	v_fmac_f64_e32 v[70:71], v[78:79], v[88:89]
	s_delay_alu instid0(VALU_DEP_2) | instskip(NEXT) | instid1(VALU_DEP_2)
	v_add_f64_e32 v[4:5], v[66:67], v[4:5]
	v_add_f64_e32 v[70:71], v[70:71], v[68:69]
	ds_load_b128 v[66:69], v28 offset:256
	s_wait_dscnt 0x0
	v_mul_f64_e32 v[92:93], v[78:79], v[68:69]
	s_delay_alu instid0(VALU_DEP_1) | instskip(SKIP_1) | instid1(VALU_DEP_2)
	v_fma_f64 v[92:93], v[76:77], v[66:67], -v[92:93]
	v_mul_f64_e32 v[76:77], v[76:77], v[68:69]
	v_add_f64_e32 v[92:93], v[22:23], v[92:93]
	s_delay_alu instid0(VALU_DEP_2) | instskip(NEXT) | instid1(VALU_DEP_1)
	v_fmac_f64_e32 v[76:77], v[78:79], v[66:67]
	v_add_f64_e32 v[94:95], v[76:77], v[24:25]
	ds_load_b128 v[22:25], v80 offset:8192
	s_wait_dscnt 0x0
	v_mul_f64_e32 v[78:79], v[22:23], v[90:91]
	v_mul_f64_e32 v[76:77], v[24:25], v[90:91]
	s_delay_alu instid0(VALU_DEP_2) | instskip(NEXT) | instid1(VALU_DEP_2)
	v_fmac_f64_e32 v[78:79], v[24:25], v[88:89]
	v_fma_f64 v[76:77], v[22:23], v[88:89], -v[76:77]
	s_delay_alu instid0(VALU_DEP_2) | instskip(SKIP_1) | instid1(VALU_DEP_3)
	v_add_f64_e32 v[78:79], v[78:79], v[72:73]
	v_mul_f64_e32 v[72:73], v[24:25], v[68:69]
	v_add_f64_e32 v[76:77], v[74:75], v[76:77]
	s_delay_alu instid0(VALU_DEP_2) | instskip(SKIP_1) | instid1(VALU_DEP_2)
	v_fma_f64 v[72:73], v[22:23], v[66:67], -v[72:73]
	v_mul_f64_e32 v[22:23], v[22:23], v[68:69]
	v_add_f64_e32 v[72:73], v[20:21], v[72:73]
	s_delay_alu instid0(VALU_DEP_2) | instskip(NEXT) | instid1(VALU_DEP_1)
	v_fmac_f64_e32 v[22:23], v[24:25], v[66:67]
	v_add_f64_e32 v[74:75], v[22:23], v[18:19]
	ds_load_b128 v[22:25], v28 offset:512
	s_wait_dscnt 0x0
	v_mul_f64_e32 v[18:19], v[86:87], v[24:25]
	v_mul_f64_e32 v[20:21], v[84:85], v[24:25]
	s_delay_alu instid0(VALU_DEP_2) | instskip(NEXT) | instid1(VALU_DEP_2)
	v_fma_f64 v[18:19], v[84:85], v[22:23], -v[18:19]
	v_fmac_f64_e32 v[20:21], v[86:87], v[22:23]
	s_delay_alu instid0(VALU_DEP_2) | instskip(NEXT) | instid1(VALU_DEP_2)
	v_add_f64_e32 v[68:69], v[4:5], v[18:19]
	v_add_f64_e32 v[70:71], v[20:21], v[70:71]
	ds_load_b128 v[18:21], v28 offset:768
	s_wait_dscnt 0x0
	v_mul_f64_e32 v[4:5], v[86:87], v[20:21]
	v_mul_f64_e32 v[66:67], v[84:85], v[20:21]
	s_delay_alu instid0(VALU_DEP_2) | instskip(NEXT) | instid1(VALU_DEP_2)
	v_fma_f64 v[4:5], v[84:85], v[18:19], -v[4:5]
	v_fmac_f64_e32 v[66:67], v[86:87], v[18:19]
	ds_load_b128 v[84:87], v80 offset:8208
	s_wait_dscnt 0x0
	v_mul_f64_e32 v[88:89], v[86:87], v[24:25]
	v_mul_f64_e32 v[24:25], v[84:85], v[24:25]
	v_add_f64_e32 v[4:5], v[92:93], v[4:5]
	v_add_f64_e32 v[66:67], v[66:67], v[94:95]
	s_delay_alu instid0(VALU_DEP_4) | instskip(NEXT) | instid1(VALU_DEP_4)
	v_fma_f64 v[88:89], v[84:85], v[22:23], -v[88:89]
	v_fmac_f64_e32 v[24:25], v[86:87], v[22:23]
	s_delay_alu instid0(VALU_DEP_2) | instskip(SKIP_2) | instid1(VALU_DEP_4)
	v_add_f64_e32 v[22:23], v[76:77], v[88:89]
	v_mul_f64_e32 v[76:77], v[86:87], v[20:21]
	v_mul_f64_e32 v[20:21], v[84:85], v[20:21]
	v_add_f64_e32 v[24:25], v[24:25], v[78:79]
	s_delay_alu instid0(VALU_DEP_3) | instskip(NEXT) | instid1(VALU_DEP_3)
	v_fma_f64 v[76:77], v[84:85], v[18:19], -v[76:77]
	v_fmac_f64_e32 v[20:21], v[86:87], v[18:19]
	s_delay_alu instid0(VALU_DEP_2) | instskip(NEXT) | instid1(VALU_DEP_2)
	v_add_f64_e32 v[18:19], v[72:73], v[76:77]
	v_add_f64_e32 v[20:21], v[20:21], v[74:75]
	ds_load_b128 v[72:75], v28 offset:1024
	s_wait_dscnt 0x0
	v_mul_f64_e32 v[76:77], v[16:17], v[74:75]
	v_mul_f64_e32 v[78:79], v[14:15], v[74:75]
	s_delay_alu instid0(VALU_DEP_2) | instskip(NEXT) | instid1(VALU_DEP_2)
	v_fma_f64 v[76:77], v[14:15], v[72:73], -v[76:77]
	v_fmac_f64_e32 v[78:79], v[16:17], v[72:73]
	s_delay_alu instid0(VALU_DEP_2) | instskip(NEXT) | instid1(VALU_DEP_2)
	v_add_f64_e32 v[84:85], v[68:69], v[76:77]
	v_add_f64_e32 v[86:87], v[78:79], v[70:71]
	ds_load_b128 v[76:79], v28 offset:1280
	s_wait_dscnt 0x0
	v_mul_f64_e32 v[68:69], v[16:17], v[78:79]
	s_delay_alu instid0(VALU_DEP_1) | instskip(SKIP_1) | instid1(VALU_DEP_2)
	v_fma_f64 v[68:69], v[14:15], v[76:77], -v[68:69]
	v_mul_f64_e32 v[14:15], v[14:15], v[78:79]
	v_add_f64_e32 v[4:5], v[4:5], v[68:69]
	s_delay_alu instid0(VALU_DEP_2) | instskip(NEXT) | instid1(VALU_DEP_1)
	v_fmac_f64_e32 v[14:15], v[16:17], v[76:77]
	v_add_f64_e32 v[88:89], v[14:15], v[66:67]
	ds_load_b128 v[14:17], v80 offset:8224
	s_wait_dscnt 0x0
	v_mul_f64_e32 v[66:67], v[16:17], v[74:75]
	v_mul_f64_e32 v[68:69], v[14:15], v[74:75]
	s_delay_alu instid0(VALU_DEP_2) | instskip(NEXT) | instid1(VALU_DEP_2)
	v_fma_f64 v[66:67], v[14:15], v[72:73], -v[66:67]
	v_fmac_f64_e32 v[68:69], v[16:17], v[72:73]
	s_delay_alu instid0(VALU_DEP_2) | instskip(SKIP_1) | instid1(VALU_DEP_3)
	v_add_f64_e32 v[70:71], v[22:23], v[66:67]
	v_mul_f64_e32 v[22:23], v[16:17], v[78:79]
	v_add_f64_e32 v[72:73], v[68:69], v[24:25]
	s_delay_alu instid0(VALU_DEP_2) | instskip(SKIP_1) | instid1(VALU_DEP_2)
	v_fma_f64 v[22:23], v[14:15], v[76:77], -v[22:23]
	v_mul_f64_e32 v[14:15], v[14:15], v[78:79]
	v_add_f64_e32 v[66:67], v[18:19], v[22:23]
	s_delay_alu instid0(VALU_DEP_2) | instskip(NEXT) | instid1(VALU_DEP_1)
	v_fmac_f64_e32 v[14:15], v[16:17], v[76:77]
	v_add_f64_e32 v[68:69], v[14:15], v[20:21]
	ds_load_b128 v[18:21], v28 offset:1536
	s_wait_dscnt 0x0
	v_mul_f64_e32 v[14:15], v[12:13], v[20:21]
	v_mul_f64_e32 v[16:17], v[10:11], v[20:21]
	s_delay_alu instid0(VALU_DEP_2) | instskip(NEXT) | instid1(VALU_DEP_2)
	v_fma_f64 v[14:15], v[10:11], v[18:19], -v[14:15]
	v_fmac_f64_e32 v[16:17], v[12:13], v[18:19]
	s_delay_alu instid0(VALU_DEP_2) | instskip(NEXT) | instid1(VALU_DEP_2)
	v_add_f64_e32 v[22:23], v[84:85], v[14:15]
	v_add_f64_e32 v[24:25], v[16:17], v[86:87]
	ds_load_b128 v[14:17], v28 offset:1792
	s_wait_dscnt 0x0
	v_mul_f64_e32 v[74:75], v[12:13], v[16:17]
	s_delay_alu instid0(VALU_DEP_1) | instskip(SKIP_1) | instid1(VALU_DEP_2)
	v_fma_f64 v[74:75], v[10:11], v[14:15], -v[74:75]
	v_mul_f64_e32 v[10:11], v[10:11], v[16:17]
	v_add_f64_e32 v[4:5], v[4:5], v[74:75]
	ds_load_b128 v[74:77], v80 offset:8240
	v_fmac_f64_e32 v[10:11], v[12:13], v[14:15]
	s_wait_dscnt 0x0
	v_mul_f64_e32 v[12:13], v[76:77], v[20:21]
	v_mul_f64_e32 v[20:21], v[74:75], v[20:21]
	s_delay_alu instid0(VALU_DEP_3) | instskip(NEXT) | instid1(VALU_DEP_3)
	v_add_f64_e32 v[10:11], v[10:11], v[88:89]
	v_fma_f64 v[12:13], v[74:75], v[18:19], -v[12:13]
	s_delay_alu instid0(VALU_DEP_3) | instskip(NEXT) | instid1(VALU_DEP_2)
	v_fmac_f64_e32 v[20:21], v[76:77], v[18:19]
	v_add_f64_e32 v[12:13], v[70:71], v[12:13]
	s_delay_alu instid0(VALU_DEP_2) | instskip(SKIP_2) | instid1(VALU_DEP_2)
	v_add_f64_e32 v[18:19], v[20:21], v[72:73]
	v_mul_f64_e32 v[20:21], v[76:77], v[16:17]
	v_mul_f64_e32 v[16:17], v[74:75], v[16:17]
	v_fma_f64 v[20:21], v[74:75], v[14:15], -v[20:21]
	s_delay_alu instid0(VALU_DEP_2)
	v_fmac_f64_e32 v[16:17], v[76:77], v[14:15]
	ds_load_b128 v[70:73], v80 offset:64
	ds_load_b128 v[74:77], v28 offset:2048
	;; [unrolled: 1-line block ×3, first 2 shown]
	v_add_f64_e32 v[14:15], v[66:67], v[20:21]
	v_add_f64_e32 v[66:67], v[16:17], v[68:69]
	s_wait_dscnt 0x1
	v_mul_f64_e32 v[16:17], v[72:73], v[76:77]
	v_mul_f64_e32 v[20:21], v[70:71], v[76:77]
	s_delay_alu instid0(VALU_DEP_2) | instskip(NEXT) | instid1(VALU_DEP_2)
	v_fma_f64 v[16:17], v[70:71], v[74:75], -v[16:17]
	v_fmac_f64_e32 v[20:21], v[72:73], v[74:75]
	s_delay_alu instid0(VALU_DEP_2) | instskip(SKIP_2) | instid1(VALU_DEP_3)
	v_add_f64_e32 v[68:69], v[22:23], v[16:17]
	s_wait_dscnt 0x0
	v_mul_f64_e32 v[16:17], v[72:73], v[86:87]
	v_add_f64_e32 v[24:25], v[20:21], v[24:25]
	v_mul_f64_e32 v[20:21], v[70:71], v[86:87]
	s_delay_alu instid0(VALU_DEP_3) | instskip(NEXT) | instid1(VALU_DEP_2)
	v_fma_f64 v[16:17], v[70:71], v[84:85], -v[16:17]
	v_fmac_f64_e32 v[20:21], v[72:73], v[84:85]
	ds_load_b128 v[70:73], v80 offset:8256
	s_wait_dscnt 0x0
	v_mul_f64_e32 v[22:23], v[70:71], v[76:77]
	v_add_f64_e32 v[4:5], v[4:5], v[16:17]
	v_mul_f64_e32 v[16:17], v[72:73], v[76:77]
	v_add_f64_e32 v[10:11], v[20:21], v[10:11]
	s_delay_alu instid0(VALU_DEP_4) | instskip(NEXT) | instid1(VALU_DEP_3)
	v_fmac_f64_e32 v[22:23], v[72:73], v[74:75]
	v_fma_f64 v[16:17], v[70:71], v[74:75], -v[16:17]
	s_delay_alu instid0(VALU_DEP_2) | instskip(SKIP_1) | instid1(VALU_DEP_3)
	v_add_f64_e32 v[22:23], v[22:23], v[18:19]
	v_mul_f64_e32 v[18:19], v[70:71], v[86:87]
	v_add_f64_e32 v[20:21], v[12:13], v[16:17]
	v_mul_f64_e32 v[12:13], v[72:73], v[86:87]
	s_delay_alu instid0(VALU_DEP_3) | instskip(NEXT) | instid1(VALU_DEP_2)
	v_fmac_f64_e32 v[18:19], v[72:73], v[84:85]
	v_fma_f64 v[12:13], v[70:71], v[84:85], -v[12:13]
	ds_load_b128 v[70:73], v80 offset:80
	ds_load_b128 v[74:77], v28 offset:2560
	v_add_f64_e32 v[18:19], v[18:19], v[66:67]
	v_add_f64_e32 v[16:17], v[14:15], v[12:13]
	s_wait_dscnt 0x0
	v_mul_f64_e32 v[12:13], v[72:73], v[76:77]
	v_mul_f64_e32 v[14:15], v[70:71], v[76:77]
	s_delay_alu instid0(VALU_DEP_2) | instskip(NEXT) | instid1(VALU_DEP_2)
	v_fma_f64 v[12:13], v[70:71], v[74:75], -v[12:13]
	v_fmac_f64_e32 v[14:15], v[72:73], v[74:75]
	s_delay_alu instid0(VALU_DEP_2) | instskip(SKIP_4) | instid1(VALU_DEP_1)
	v_add_f64_e32 v[12:13], v[68:69], v[12:13]
	ds_load_b128 v[66:69], v28 offset:2816
	v_add_f64_e32 v[14:15], v[14:15], v[24:25]
	s_wait_dscnt 0x0
	v_mul_f64_e32 v[24:25], v[72:73], v[68:69]
	v_fma_f64 v[24:25], v[70:71], v[66:67], -v[24:25]
	v_mul_f64_e32 v[70:71], v[70:71], v[68:69]
	s_delay_alu instid0(VALU_DEP_2) | instskip(NEXT) | instid1(VALU_DEP_2)
	v_add_f64_e32 v[4:5], v[4:5], v[24:25]
	v_fmac_f64_e32 v[70:71], v[72:73], v[66:67]
	s_delay_alu instid0(VALU_DEP_1) | instskip(SKIP_4) | instid1(VALU_DEP_2)
	v_add_f64_e32 v[10:11], v[70:71], v[10:11]
	ds_load_b128 v[70:73], v80 offset:8272
	s_wait_dscnt 0x0
	v_mul_f64_e32 v[24:25], v[72:73], v[76:77]
	v_mul_f64_e32 v[76:77], v[70:71], v[76:77]
	v_fma_f64 v[24:25], v[70:71], v[74:75], -v[24:25]
	s_delay_alu instid0(VALU_DEP_2) | instskip(NEXT) | instid1(VALU_DEP_2)
	v_fmac_f64_e32 v[76:77], v[72:73], v[74:75]
	v_add_f64_e32 v[20:21], v[20:21], v[24:25]
	v_mul_f64_e32 v[24:25], v[72:73], v[68:69]
	v_mul_f64_e32 v[68:69], v[70:71], v[68:69]
	s_delay_alu instid0(VALU_DEP_4) | instskip(NEXT) | instid1(VALU_DEP_3)
	v_add_f64_e32 v[22:23], v[76:77], v[22:23]
	v_fma_f64 v[24:25], v[70:71], v[66:67], -v[24:25]
	s_delay_alu instid0(VALU_DEP_3) | instskip(NEXT) | instid1(VALU_DEP_2)
	v_fmac_f64_e32 v[68:69], v[72:73], v[66:67]
	v_add_f64_e32 v[16:17], v[16:17], v[24:25]
	s_delay_alu instid0(VALU_DEP_2)
	v_add_f64_e32 v[18:19], v[68:69], v[18:19]
	ds_load_b128 v[66:69], v80 offset:96
	ds_load_b128 v[70:73], v28 offset:3072
	s_wait_dscnt 0x0
	v_mul_f64_e32 v[74:75], v[66:67], v[72:73]
	v_mul_f64_e32 v[24:25], v[68:69], v[72:73]
	s_delay_alu instid0(VALU_DEP_2) | instskip(NEXT) | instid1(VALU_DEP_2)
	v_fmac_f64_e32 v[74:75], v[68:69], v[70:71]
	v_fma_f64 v[24:25], v[66:67], v[70:71], -v[24:25]
	s_delay_alu instid0(VALU_DEP_2) | instskip(SKIP_4) | instid1(VALU_DEP_1)
	v_add_f64_e32 v[14:15], v[74:75], v[14:15]
	ds_load_b128 v[74:77], v28 offset:3328
	v_add_f64_e32 v[12:13], v[12:13], v[24:25]
	s_wait_dscnt 0x0
	v_mul_f64_e32 v[24:25], v[68:69], v[76:77]
	v_fma_f64 v[24:25], v[66:67], v[74:75], -v[24:25]
	v_mul_f64_e32 v[66:67], v[66:67], v[76:77]
	s_delay_alu instid0(VALU_DEP_2) | instskip(NEXT) | instid1(VALU_DEP_2)
	v_add_f64_e32 v[4:5], v[4:5], v[24:25]
	v_fmac_f64_e32 v[66:67], v[68:69], v[74:75]
	s_delay_alu instid0(VALU_DEP_1) | instskip(SKIP_4) | instid1(VALU_DEP_2)
	v_add_f64_e32 v[10:11], v[66:67], v[10:11]
	ds_load_b128 v[66:69], v80 offset:8288
	s_wait_dscnt 0x0
	v_mul_f64_e32 v[24:25], v[68:69], v[72:73]
	v_mul_f64_e32 v[72:73], v[66:67], v[72:73]
	v_fma_f64 v[24:25], v[66:67], v[70:71], -v[24:25]
	s_delay_alu instid0(VALU_DEP_2) | instskip(NEXT) | instid1(VALU_DEP_2)
	v_fmac_f64_e32 v[72:73], v[68:69], v[70:71]
	v_add_f64_e32 v[20:21], v[20:21], v[24:25]
	v_mul_f64_e32 v[24:25], v[68:69], v[76:77]
	s_delay_alu instid0(VALU_DEP_3) | instskip(NEXT) | instid1(VALU_DEP_2)
	v_add_f64_e32 v[22:23], v[72:73], v[22:23]
	v_fma_f64 v[24:25], v[66:67], v[74:75], -v[24:25]
	v_mul_f64_e32 v[66:67], v[66:67], v[76:77]
	s_delay_alu instid0(VALU_DEP_2) | instskip(NEXT) | instid1(VALU_DEP_2)
	v_add_f64_e32 v[16:17], v[16:17], v[24:25]
	v_fmac_f64_e32 v[66:67], v[68:69], v[74:75]
	s_delay_alu instid0(VALU_DEP_1)
	v_add_f64_e32 v[18:19], v[66:67], v[18:19]
	ds_load_b128 v[66:69], v80 offset:112
	ds_load_b128 v[70:73], v28 offset:3584
	s_wait_dscnt 0x0
	v_mul_f64_e32 v[74:75], v[66:67], v[72:73]
	v_mul_f64_e32 v[24:25], v[68:69], v[72:73]
	s_delay_alu instid0(VALU_DEP_2) | instskip(NEXT) | instid1(VALU_DEP_2)
	v_fmac_f64_e32 v[74:75], v[68:69], v[70:71]
	v_fma_f64 v[24:25], v[66:67], v[70:71], -v[24:25]
	s_delay_alu instid0(VALU_DEP_2) | instskip(SKIP_4) | instid1(VALU_DEP_1)
	v_add_f64_e32 v[14:15], v[74:75], v[14:15]
	ds_load_b128 v[74:77], v28 offset:3840
	v_add_f64_e32 v[12:13], v[12:13], v[24:25]
	s_wait_dscnt 0x0
	v_mul_f64_e32 v[24:25], v[68:69], v[76:77]
	v_fma_f64 v[24:25], v[66:67], v[74:75], -v[24:25]
	v_mul_f64_e32 v[66:67], v[66:67], v[76:77]
	s_delay_alu instid0(VALU_DEP_2) | instskip(NEXT) | instid1(VALU_DEP_2)
	v_add_f64_e32 v[4:5], v[4:5], v[24:25]
	v_fmac_f64_e32 v[66:67], v[68:69], v[74:75]
	s_delay_alu instid0(VALU_DEP_1) | instskip(SKIP_4) | instid1(VALU_DEP_2)
	v_add_f64_e32 v[10:11], v[66:67], v[10:11]
	ds_load_b128 v[66:69], v80 offset:8304
	s_wait_dscnt 0x0
	v_mul_f64_e32 v[24:25], v[68:69], v[72:73]
	v_mul_f64_e32 v[72:73], v[66:67], v[72:73]
	v_fma_f64 v[24:25], v[66:67], v[70:71], -v[24:25]
	s_delay_alu instid0(VALU_DEP_2) | instskip(NEXT) | instid1(VALU_DEP_2)
	v_fmac_f64_e32 v[72:73], v[68:69], v[70:71]
	v_add_f64_e32 v[20:21], v[20:21], v[24:25]
	v_mul_f64_e32 v[24:25], v[68:69], v[76:77]
	s_delay_alu instid0(VALU_DEP_3) | instskip(NEXT) | instid1(VALU_DEP_2)
	v_add_f64_e32 v[22:23], v[72:73], v[22:23]
	v_fma_f64 v[24:25], v[66:67], v[74:75], -v[24:25]
	v_mul_f64_e32 v[66:67], v[66:67], v[76:77]
	s_delay_alu instid0(VALU_DEP_2) | instskip(NEXT) | instid1(VALU_DEP_2)
	v_add_f64_e32 v[16:17], v[16:17], v[24:25]
	v_fmac_f64_e32 v[66:67], v[68:69], v[74:75]
	s_delay_alu instid0(VALU_DEP_1)
	;; [unrolled: 39-line block ×23, first 2 shown]
	v_add_f64_e32 v[18:19], v[66:67], v[18:19]
	ds_load_b128 v[66:69], v80 offset:464
	ds_load_b128 v[70:73], v28 offset:14848
	s_wait_dscnt 0x0
	v_mul_f64_e32 v[10:11], v[68:69], v[72:73]
	v_mul_f64_e32 v[74:75], v[66:67], v[72:73]
	s_delay_alu instid0(VALU_DEP_2) | instskip(NEXT) | instid1(VALU_DEP_2)
	v_fma_f64 v[10:11], v[66:67], v[70:71], -v[10:11]
	v_fmac_f64_e32 v[74:75], v[68:69], v[70:71]
	s_delay_alu instid0(VALU_DEP_2) | instskip(NEXT) | instid1(VALU_DEP_2)
	v_add_f64_e32 v[10:11], v[12:13], v[10:11]
	v_add_f64_e32 v[12:13], v[74:75], v[14:15]
	ds_load_b128 v[74:77], v28 offset:15104
	s_wait_dscnt 0x0
	v_mul_f64_e32 v[14:15], v[68:69], v[76:77]
	s_delay_alu instid0(VALU_DEP_1) | instskip(SKIP_1) | instid1(VALU_DEP_2)
	v_fma_f64 v[14:15], v[66:67], v[74:75], -v[14:15]
	v_mul_f64_e32 v[66:67], v[66:67], v[76:77]
	v_add_f64_e32 v[4:5], v[4:5], v[14:15]
	s_delay_alu instid0(VALU_DEP_2) | instskip(NEXT) | instid1(VALU_DEP_1)
	v_fmac_f64_e32 v[66:67], v[68:69], v[74:75]
	v_add_f64_e32 v[14:15], v[66:67], v[24:25]
	ds_load_b128 v[66:69], v80 offset:8656
	s_wait_dscnt 0x0
	v_mul_f64_e32 v[24:25], v[68:69], v[72:73]
	v_mul_f64_e32 v[72:73], v[66:67], v[72:73]
	s_delay_alu instid0(VALU_DEP_2) | instskip(NEXT) | instid1(VALU_DEP_2)
	v_fma_f64 v[24:25], v[66:67], v[70:71], -v[24:25]
	v_fmac_f64_e32 v[72:73], v[68:69], v[70:71]
	s_delay_alu instid0(VALU_DEP_2) | instskip(SKIP_1) | instid1(VALU_DEP_3)
	v_add_f64_e32 v[24:25], v[20:21], v[24:25]
	v_mul_f64_e32 v[20:21], v[68:69], v[76:77]
	v_add_f64_e32 v[22:23], v[72:73], v[22:23]
	s_delay_alu instid0(VALU_DEP_2) | instskip(SKIP_1) | instid1(VALU_DEP_2)
	v_fma_f64 v[20:21], v[66:67], v[74:75], -v[20:21]
	v_mul_f64_e32 v[66:67], v[66:67], v[76:77]
	v_add_f64_e32 v[16:17], v[16:17], v[20:21]
	s_delay_alu instid0(VALU_DEP_2) | instskip(NEXT) | instid1(VALU_DEP_1)
	v_fmac_f64_e32 v[66:67], v[68:69], v[74:75]
	v_add_f64_e32 v[66:67], v[66:67], v[18:19]
	ds_load_b128 v[18:21], v80 offset:480
	ds_load_b128 v[68:71], v28 offset:15360
	;; [unrolled: 1-line block ×4, first 2 shown]
	s_wait_dscnt 0x2
	v_mul_f64_e32 v[72:73], v[20:21], v[70:71]
	v_mul_f64_e32 v[74:75], v[18:19], v[70:71]
	s_delay_alu instid0(VALU_DEP_2) | instskip(NEXT) | instid1(VALU_DEP_2)
	v_fma_f64 v[72:73], v[18:19], v[68:69], -v[72:73]
	v_fmac_f64_e32 v[74:75], v[20:21], v[68:69]
	s_delay_alu instid0(VALU_DEP_2) | instskip(NEXT) | instid1(VALU_DEP_2)
	v_add_f64_e32 v[10:11], v[10:11], v[72:73]
	v_add_f64_e32 v[12:13], v[74:75], v[12:13]
	s_wait_dscnt 0x1
	v_mul_f64_e32 v[72:73], v[20:21], v[86:87]
	v_mul_f64_e32 v[74:75], v[18:19], v[86:87]
	s_delay_alu instid0(VALU_DEP_2) | instskip(NEXT) | instid1(VALU_DEP_2)
	v_fma_f64 v[72:73], v[18:19], v[84:85], -v[72:73]
	v_fmac_f64_e32 v[74:75], v[20:21], v[84:85]
	s_delay_alu instid0(VALU_DEP_2) | instskip(NEXT) | instid1(VALU_DEP_2)
	v_add_f64_e32 v[18:19], v[4:5], v[72:73]
	v_add_f64_e32 v[20:21], v[74:75], v[14:15]
	;; [unrolled: 9-line block ×3, first 2 shown]
	v_mul_f64_e32 v[4:5], v[90:91], v[86:87]
	v_mul_f64_e32 v[14:15], v[88:89], v[86:87]
	s_delay_alu instid0(VALU_DEP_2) | instskip(NEXT) | instid1(VALU_DEP_2)
	v_fma_f64 v[4:5], v[88:89], v[84:85], -v[4:5]
	v_fmac_f64_e32 v[14:15], v[90:91], v[84:85]
	s_delay_alu instid0(VALU_DEP_2) | instskip(NEXT) | instid1(VALU_DEP_2)
	v_add_f64_e32 v[4:5], v[16:17], v[4:5]
	v_add_f64_e32 v[70:71], v[14:15], v[66:67]
	ds_load_b128 v[22:25], v80 offset:496
	ds_load_b128 v[14:17], v28 offset:15872
	s_wait_dscnt 0x0
	v_mul_f64_e32 v[66:67], v[24:25], v[16:17]
	v_mul_f64_e32 v[68:69], v[22:23], v[16:17]
	s_delay_alu instid0(VALU_DEP_2) | instskip(NEXT) | instid1(VALU_DEP_2)
	v_fma_f64 v[66:67], v[22:23], v[14:15], -v[66:67]
	v_fmac_f64_e32 v[68:69], v[24:25], v[14:15]
	s_delay_alu instid0(VALU_DEP_2) | instskip(NEXT) | instid1(VALU_DEP_2)
	v_add_f64_e32 v[66:67], v[10:11], v[66:67]
	v_add_f64_e32 v[68:69], v[68:69], v[12:13]
	ds_load_b128 v[10:13], v28 offset:16128
	s_wait_dscnt 0x0
	v_mul_f64_e32 v[74:75], v[24:25], v[12:13]
	v_mul_f64_e32 v[78:79], v[22:23], v[12:13]
	s_delay_alu instid0(VALU_DEP_2) | instskip(NEXT) | instid1(VALU_DEP_2)
	v_fma_f64 v[74:75], v[22:23], v[10:11], -v[74:75]
	v_fmac_f64_e32 v[78:79], v[24:25], v[10:11]
	s_delay_alu instid0(VALU_DEP_2) | instskip(NEXT) | instid1(VALU_DEP_2)
	v_add_f64_e32 v[22:23], v[18:19], v[74:75]
	v_add_f64_e32 v[24:25], v[78:79], v[20:21]
	ds_load_b128 v[18:21], v80 offset:8688
	s_wait_dscnt 0x0
	s_barrier_signal -1
	s_barrier_wait -1
	v_mul_f64_e32 v[74:75], v[20:21], v[16:17]
	v_mul_f64_e32 v[16:17], v[18:19], v[16:17]
	s_delay_alu instid0(VALU_DEP_2) | instskip(NEXT) | instid1(VALU_DEP_2)
	v_fma_f64 v[74:75], v[18:19], v[14:15], -v[74:75]
	v_fmac_f64_e32 v[16:17], v[20:21], v[14:15]
	v_mul_f64_e32 v[14:15], v[20:21], v[12:13]
	v_mul_f64_e32 v[12:13], v[18:19], v[12:13]
	s_delay_alu instid0(VALU_DEP_4) | instskip(NEXT) | instid1(VALU_DEP_4)
	v_add_f64_e32 v[74:75], v[72:73], v[74:75]
	v_add_f64_e32 v[72:73], v[16:17], v[76:77]
	s_delay_alu instid0(VALU_DEP_4) | instskip(NEXT) | instid1(VALU_DEP_4)
	v_fma_f64 v[14:15], v[18:19], v[10:11], -v[14:15]
	v_fmac_f64_e32 v[12:13], v[20:21], v[10:11]
	s_delay_alu instid0(VALU_DEP_2) | instskip(NEXT) | instid1(VALU_DEP_2)
	v_add_f64_e32 v[20:21], v[4:5], v[14:15]
	v_add_f64_e32 v[18:19], v[12:13], v[70:71]
	s_cbranch_scc1 .LBB108_59
.LBB108_11:                             ;   Parent Loop BB108_4 Depth=1
                                        ;     Parent Loop BB108_8 Depth=2
                                        ; =>    This Inner Loop Header: Depth=3
	v_add_nc_u64_e32 v[10:11], s[40:41], v[26:27]
	v_cmp_eq_u64_e64 s7, s[40:41], v[36:37]
	v_add_nc_u64_e32 v[12:13], v[62:63], v[42:43]
	s_delay_alu instid0(VALU_DEP_3) | instskip(SKIP_3) | instid1(SALU_CYCLE_1)
	v_cmp_le_i64_e64 s6, s[42:43], v[10:11]
	v_cmp_gt_i64_e64 s5, v[10:11], v[30:31]
	s_and_b32 s56, s52, s7
	s_or_b32 s7, s6, s5
	s_or_b32 s7, s7, s56
	s_delay_alu instid0(SALU_CYCLE_1) | instskip(NEXT) | instid1(SALU_CYCLE_1)
	s_nor_b32 s7, s0, s7
	s_and_saveexec_b32 s8, s7
	s_delay_alu instid0(SALU_CYCLE_1)
	s_xor_b32 s7, exec_lo, s8
	s_cbranch_execz .LBB108_13
; %bb.12:                               ;   in Loop: Header=BB108_11 Depth=3
	global_load_b128 v[14:17], v[12:13], off offset:-256
	s_wait_loadcnt 0x0
	ds_store_2addr_b64 v81, v[14:15], v[16:17] offset1:1
.LBB108_13:                             ;   in Loop: Header=BB108_11 Depth=3
	s_wait_xcnt 0x0
	s_or_saveexec_b32 s7, s7
	s_xor_b32 s55, s56, -1
	s_xor_b32 exec_lo, exec_lo, s7
	s_cbranch_execz .LBB108_19
; %bb.14:                               ;   in Loop: Header=BB108_11 Depth=3
	s_and_saveexec_b32 s8, s55
	s_delay_alu instid0(SALU_CYCLE_1)
	s_xor_b32 s8, exec_lo, s8
; %bb.15:                               ;   in Loop: Header=BB108_11 Depth=3
	v_dual_mov_b32 v14, v2 :: v_dual_mov_b32 v15, v2
	v_dual_mov_b32 v16, v2 :: v_dual_mov_b32 v17, v2
	ds_store_b128 v81, v[14:17]
; %bb.16:                               ;   in Loop: Header=BB108_11 Depth=3
	s_and_not1_saveexec_b32 s8, s8
; %bb.17:                               ;   in Loop: Header=BB108_11 Depth=3
	v_dual_mov_b32 v4, v2 :: v_dual_mov_b32 v5, v2
	ds_store_b128 v81, v[2:5]
; %bb.18:                               ;   in Loop: Header=BB108_11 Depth=3
	s_or_b32 exec_lo, exec_lo, s8
.LBB108_19:                             ;   in Loop: Header=BB108_11 Depth=3
	s_delay_alu instid0(SALU_CYCLE_1) | instskip(SKIP_2) | instid1(VALU_DEP_2)
	s_or_b32 exec_lo, exec_lo, s7
	v_add_nc_u64_e32 v[4:5], 16, v[36:37]
	v_cmp_lt_i64_e64 s8, v[32:33], v[10:11]
	v_cmp_eq_u64_e64 s7, s[40:41], v[4:5]
	s_or_b32 s6, s6, s8
	s_and_b32 s7, s52, s7
	s_delay_alu instid0(SALU_CYCLE_1) | instskip(NEXT) | instid1(SALU_CYCLE_1)
	s_or_b32 s6, s6, s7
	s_nor_b32 s6, s1, s6
	s_delay_alu instid0(SALU_CYCLE_1) | instskip(NEXT) | instid1(SALU_CYCLE_1)
	s_and_saveexec_b32 s8, s6
	s_xor_b32 s6, exec_lo, s8
	s_cbranch_execz .LBB108_21
; %bb.20:                               ;   in Loop: Header=BB108_11 Depth=3
	global_load_b128 v[12:15], v[12:13], off
	v_add_nc_u32_e32 v4, 0x100, v81
	s_wait_loadcnt 0x0
	ds_store_2addr_b64 v4, v[12:13], v[14:15] offset1:1
.LBB108_21:                             ;   in Loop: Header=BB108_11 Depth=3
	s_wait_xcnt 0x0
	s_and_not1_saveexec_b32 s6, s6
	s_cbranch_execz .LBB108_27
; %bb.22:                               ;   in Loop: Header=BB108_11 Depth=3
	s_xor_b32 s7, s7, -1
	s_delay_alu instid0(SALU_CYCLE_1) | instskip(NEXT) | instid1(SALU_CYCLE_1)
	s_and_saveexec_b32 s8, s7
	s_xor_b32 s7, exec_lo, s8
; %bb.23:                               ;   in Loop: Header=BB108_11 Depth=3
	v_dual_mov_b32 v12, v2 :: v_dual_mov_b32 v13, v2
	v_dual_mov_b32 v14, v2 :: v_dual_mov_b32 v15, v2
	ds_store_b128 v81, v[12:15] offset:256
; %bb.24:                               ;   in Loop: Header=BB108_11 Depth=3
	s_and_not1_saveexec_b32 s7, s7
; %bb.25:                               ;   in Loop: Header=BB108_11 Depth=3
	v_dual_mov_b32 v4, v2 :: v_dual_mov_b32 v5, v2
	ds_store_b128 v81, v[2:5] offset:256
; %bb.26:                               ;   in Loop: Header=BB108_11 Depth=3
	s_or_b32 exec_lo, exec_lo, s7
.LBB108_27:                             ;   in Loop: Header=BB108_11 Depth=3
	s_delay_alu instid0(SALU_CYCLE_1) | instskip(SKIP_3) | instid1(VALU_DEP_3)
	s_or_b32 exec_lo, exec_lo, s6
	v_add_nc_u64_e32 v[4:5], 16, v[10:11]
	v_cmp_eq_u64_e64 s7, s[40:41], v[38:39]
	v_add_nc_u64_e32 v[10:11], v[64:65], v[42:43]
	v_cmp_le_i64_e64 s6, s[42:43], v[4:5]
	v_cmp_gt_i64_e64 s8, v[4:5], v[30:31]
	s_and_b32 s57, s52, s7
	s_or_b32 s7, s6, s8
	s_delay_alu instid0(SALU_CYCLE_1) | instskip(NEXT) | instid1(SALU_CYCLE_1)
	s_or_b32 s7, s7, s57
	s_nor_b32 s7, s0, s7
	s_delay_alu instid0(SALU_CYCLE_1) | instskip(NEXT) | instid1(SALU_CYCLE_1)
	s_and_saveexec_b32 s8, s7
	s_xor_b32 s7, exec_lo, s8
	s_cbranch_execz .LBB108_29
; %bb.28:                               ;   in Loop: Header=BB108_11 Depth=3
	global_load_b128 v[12:15], v[10:11], off offset:-256
	v_add_nc_u32_e32 v4, 0x2000, v81
	s_wait_loadcnt 0x0
	ds_store_2addr_b64 v4, v[12:13], v[14:15] offset1:1
.LBB108_29:                             ;   in Loop: Header=BB108_11 Depth=3
	s_wait_xcnt 0x0
	s_and_not1_saveexec_b32 s7, s7
	s_cbranch_execz .LBB108_35
; %bb.30:                               ;   in Loop: Header=BB108_11 Depth=3
	s_xor_b32 s8, s57, -1
	s_delay_alu instid0(SALU_CYCLE_1) | instskip(NEXT) | instid1(SALU_CYCLE_1)
	s_and_saveexec_b32 s57, s8
	s_xor_b32 s8, exec_lo, s57
; %bb.31:                               ;   in Loop: Header=BB108_11 Depth=3
	v_dual_mov_b32 v12, v2 :: v_dual_mov_b32 v13, v2
	v_dual_mov_b32 v14, v2 :: v_dual_mov_b32 v15, v2
	ds_store_b128 v81, v[12:15] offset:8192
; %bb.32:                               ;   in Loop: Header=BB108_11 Depth=3
	s_and_not1_saveexec_b32 s8, s8
; %bb.33:                               ;   in Loop: Header=BB108_11 Depth=3
	v_dual_mov_b32 v4, v2 :: v_dual_mov_b32 v5, v2
	ds_store_b128 v81, v[2:5] offset:8192
; %bb.34:                               ;   in Loop: Header=BB108_11 Depth=3
	s_or_b32 exec_lo, exec_lo, s8
.LBB108_35:                             ;   in Loop: Header=BB108_11 Depth=3
	s_delay_alu instid0(SALU_CYCLE_1) | instskip(SKIP_1) | instid1(SALU_CYCLE_1)
	s_or_b32 exec_lo, exec_lo, s7
	s_or_b32 s5, s6, s5
	s_or_b32 s5, s5, s56
	s_delay_alu instid0(SALU_CYCLE_1) | instskip(NEXT) | instid1(SALU_CYCLE_1)
	s_nor_b32 s5, s1, s5
	s_and_saveexec_b32 s6, s5
	s_delay_alu instid0(SALU_CYCLE_1)
	s_xor_b32 s5, exec_lo, s6
	s_cbranch_execz .LBB108_37
; %bb.36:                               ;   in Loop: Header=BB108_11 Depth=3
	global_load_b128 v[10:13], v[10:11], off
	v_add_nc_u32_e32 v4, 0x2100, v81
	s_wait_loadcnt 0x0
	ds_store_2addr_b64 v4, v[10:11], v[12:13] offset1:1
.LBB108_37:                             ;   in Loop: Header=BB108_11 Depth=3
	s_wait_xcnt 0x0
	s_and_not1_saveexec_b32 s5, s5
	s_cbranch_execz .LBB108_43
; %bb.38:                               ;   in Loop: Header=BB108_11 Depth=3
	s_and_saveexec_b32 s6, s55
	s_delay_alu instid0(SALU_CYCLE_1)
	s_xor_b32 s6, exec_lo, s6
; %bb.39:                               ;   in Loop: Header=BB108_11 Depth=3
	v_dual_mov_b32 v10, v2 :: v_dual_mov_b32 v11, v2
	v_dual_mov_b32 v12, v2 :: v_dual_mov_b32 v13, v2
	ds_store_b128 v81, v[10:13] offset:8448
; %bb.40:                               ;   in Loop: Header=BB108_11 Depth=3
	s_and_not1_saveexec_b32 s6, s6
; %bb.41:                               ;   in Loop: Header=BB108_11 Depth=3
	v_dual_mov_b32 v4, v2 :: v_dual_mov_b32 v5, v2
	ds_store_b128 v81, v[2:5] offset:8448
; %bb.42:                               ;   in Loop: Header=BB108_11 Depth=3
	s_or_b32 exec_lo, exec_lo, s6
.LBB108_43:                             ;   in Loop: Header=BB108_11 Depth=3
	s_delay_alu instid0(SALU_CYCLE_1) | instskip(SKIP_1) | instid1(VALU_DEP_1)
	s_or_b32 exec_lo, exec_lo, s5
	v_add_nc_u64_e32 v[4:5], s[40:41], v[0:1]
	v_cmp_gt_i64_e64 s5, s[42:43], v[4:5]
	s_and_b32 s6, vcc_lo, s5
	s_delay_alu instid0(SALU_CYCLE_1) | instskip(NEXT) | instid1(SALU_CYCLE_1)
	s_xor_b32 s6, s6, -1
	s_and_saveexec_b32 s7, s6
	s_delay_alu instid0(SALU_CYCLE_1)
	s_xor_b32 s6, exec_lo, s7
; %bb.44:                               ;   in Loop: Header=BB108_11 Depth=3
	v_dual_mov_b32 v10, v2 :: v_dual_mov_b32 v11, v2
	v_dual_mov_b32 v12, v2 :: v_dual_mov_b32 v13, v2
	ds_store_b128 v82, v[10:13]
; %bb.45:                               ;   in Loop: Header=BB108_11 Depth=3
	s_and_not1_saveexec_b32 s6, s6
	s_cbranch_execz .LBB108_47
; %bb.46:                               ;   in Loop: Header=BB108_11 Depth=3
	global_load_b128 v[10:13], v[58:59], off offset:-256
	s_wait_loadcnt 0x0
	ds_store_2addr_b64 v82, v[10:11], v[12:13] offset1:1
.LBB108_47:                             ;   in Loop: Header=BB108_11 Depth=3
	s_wait_xcnt 0x0
	s_or_b32 exec_lo, exec_lo, s6
	v_cmp_gt_i64_e64 s6, s[20:21], v[4:5]
	s_and_b32 s7, vcc_lo, s6
	s_delay_alu instid0(SALU_CYCLE_1) | instskip(NEXT) | instid1(SALU_CYCLE_1)
	s_xor_b32 s7, s7, -1
	s_and_saveexec_b32 s8, s7
	s_delay_alu instid0(SALU_CYCLE_1)
	s_xor_b32 s7, exec_lo, s8
; %bb.48:                               ;   in Loop: Header=BB108_11 Depth=3
	v_dual_mov_b32 v10, v2 :: v_dual_mov_b32 v11, v2
	v_dual_mov_b32 v12, v2 :: v_dual_mov_b32 v13, v2
	ds_store_b128 v82, v[10:13] offset:256
; %bb.49:                               ;   in Loop: Header=BB108_11 Depth=3
	s_and_not1_saveexec_b32 s7, s7
	s_cbranch_execz .LBB108_51
; %bb.50:                               ;   in Loop: Header=BB108_11 Depth=3
	global_load_b128 v[10:13], v[58:59], off
	v_add_nc_u32_e32 v4, 0x100, v82
	s_wait_loadcnt 0x0
	ds_store_2addr_b64 v4, v[10:11], v[12:13] offset1:1
.LBB108_51:                             ;   in Loop: Header=BB108_11 Depth=3
	s_wait_xcnt 0x0
	s_or_b32 exec_lo, exec_lo, s7
	s_and_b32 s5, s4, s5
	s_delay_alu instid0(SALU_CYCLE_1) | instskip(NEXT) | instid1(SALU_CYCLE_1)
	s_xor_b32 s5, s5, -1
	s_and_saveexec_b32 s7, s5
	s_delay_alu instid0(SALU_CYCLE_1)
	s_xor_b32 s5, exec_lo, s7
; %bb.52:                               ;   in Loop: Header=BB108_11 Depth=3
	v_dual_mov_b32 v10, v2 :: v_dual_mov_b32 v11, v2
	v_dual_mov_b32 v12, v2 :: v_dual_mov_b32 v13, v2
	ds_store_b128 v82, v[10:13] offset:8192
; %bb.53:                               ;   in Loop: Header=BB108_11 Depth=3
	s_and_not1_saveexec_b32 s5, s5
	s_cbranch_execz .LBB108_55
; %bb.54:                               ;   in Loop: Header=BB108_11 Depth=3
	global_load_b128 v[10:13], v[60:61], off offset:-256
	v_add_nc_u32_e32 v4, 0x2000, v82
	s_wait_loadcnt 0x0
	ds_store_2addr_b64 v4, v[10:11], v[12:13] offset1:1
.LBB108_55:                             ;   in Loop: Header=BB108_11 Depth=3
	s_wait_xcnt 0x0
	s_or_b32 exec_lo, exec_lo, s5
	s_and_b32 s5, s4, s6
	s_delay_alu instid0(SALU_CYCLE_1) | instskip(NEXT) | instid1(SALU_CYCLE_1)
	s_xor_b32 s5, s5, -1
	s_and_saveexec_b32 s6, s5
	s_delay_alu instid0(SALU_CYCLE_1)
	s_xor_b32 s5, exec_lo, s6
; %bb.56:                               ;   in Loop: Header=BB108_11 Depth=3
	v_dual_mov_b32 v10, v2 :: v_dual_mov_b32 v11, v2
	v_dual_mov_b32 v12, v2 :: v_dual_mov_b32 v13, v2
	ds_store_b128 v82, v[10:13] offset:8448
; %bb.57:                               ;   in Loop: Header=BB108_11 Depth=3
	s_and_not1_saveexec_b32 s5, s5
	s_cbranch_execz .LBB108_10
; %bb.58:                               ;   in Loop: Header=BB108_11 Depth=3
	global_load_b128 v[10:13], v[60:61], off
	v_add_nc_u32_e32 v4, 0x2100, v82
	s_wait_loadcnt 0x0
	ds_store_2addr_b64 v4, v[10:11], v[12:13] offset1:1
	s_branch .LBB108_10
.LBB108_59:                             ;   in Loop: Header=BB108_8 Depth=2
	s_delay_alu instid0(VALU_DEP_1) | instskip(SKIP_2) | instid1(VALU_DEP_2)
	v_mul_u64_e32 v[4:5], s[28:29], v[56:57]
	v_cmp_gt_i32_e32 vcc_lo, s10, v56
	s_and_b32 s5, s2, vcc_lo
	v_lshl_add_u64 v[4:5], v[4:5], 4, s[38:39]
	s_and_saveexec_b32 s4, s5
	s_cbranch_execz .LBB108_61
; %bb.60:                               ;   in Loop: Header=BB108_8 Depth=2
	s_delay_alu instid0(VALU_DEP_1)
	v_lshl_add_u64 v[14:15], v[30:31], 4, v[4:5]
	v_mul_f64_e32 v[16:17], v[8:9], v[68:69]
	v_mul_f64_e32 v[58:59], v[6:7], v[68:69]
	global_load_b128 v[10:13], v[14:15], off
	v_fma_f64 v[16:17], v[6:7], v[66:67], -v[16:17]
	v_fmac_f64_e32 v[58:59], v[8:9], v[66:67]
	s_wait_loadcnt 0x0
	s_delay_alu instid0(VALU_DEP_2) | instskip(NEXT) | instid1(VALU_DEP_2)
	v_add_f64_e32 v[10:11], v[10:11], v[16:17]
	v_add_f64_e32 v[12:13], v[58:59], v[12:13]
	global_store_b128 v[14:15], v[10:13], off
.LBB108_61:                             ;   in Loop: Header=BB108_8 Depth=2
	s_wait_xcnt 0x0
	s_or_b32 exec_lo, exec_lo, s4
	s_and_b32 s5, s3, vcc_lo
	s_delay_alu instid0(SALU_CYCLE_1)
	s_and_saveexec_b32 s4, s5
	s_cbranch_execz .LBB108_63
; %bb.62:                               ;   in Loop: Header=BB108_8 Depth=2
	v_lshl_add_u64 v[4:5], v[34:35], 4, v[4:5]
	v_mul_f64_e32 v[14:15], v[8:9], v[24:25]
	v_mul_f64_e32 v[16:17], v[6:7], v[24:25]
	global_load_b128 v[10:13], v[4:5], off
	v_fma_f64 v[14:15], v[6:7], v[22:23], -v[14:15]
	v_fmac_f64_e32 v[16:17], v[8:9], v[22:23]
	s_wait_loadcnt 0x0
	s_delay_alu instid0(VALU_DEP_2) | instskip(NEXT) | instid1(VALU_DEP_2)
	v_add_f64_e32 v[10:11], v[10:11], v[14:15]
	v_add_f64_e32 v[12:13], v[16:17], v[12:13]
	global_store_b128 v[4:5], v[10:13], off
.LBB108_63:                             ;   in Loop: Header=BB108_8 Depth=2
	s_wait_xcnt 0x0
	s_or_b32 exec_lo, exec_lo, s4
	v_add_nc_u32_e32 v4, 16, v56
	s_delay_alu instid0(VALU_DEP_1) | instskip(SKIP_1) | instid1(VALU_DEP_2)
	v_ashrrev_i32_e32 v5, 31, v4
	v_cmp_gt_i32_e32 vcc_lo, s10, v4
	v_mul_u64_e32 v[10:11], s[28:29], v[4:5]
	s_and_b32 s5, s2, vcc_lo
	s_delay_alu instid0(VALU_DEP_1)
	v_lshl_add_u64 v[4:5], v[10:11], 4, s[38:39]
	s_and_saveexec_b32 s4, s5
	s_cbranch_execz .LBB108_65
; %bb.64:                               ;   in Loop: Header=BB108_8 Depth=2
	s_delay_alu instid0(VALU_DEP_1)
	v_lshl_add_u64 v[14:15], v[30:31], 4, v[4:5]
	v_mul_f64_e32 v[16:17], v[8:9], v[72:73]
	v_mul_f64_e32 v[22:23], v[6:7], v[72:73]
	global_load_b128 v[10:13], v[14:15], off
	v_fma_f64 v[16:17], v[6:7], v[74:75], -v[16:17]
	v_fmac_f64_e32 v[22:23], v[8:9], v[74:75]
	s_wait_loadcnt 0x0
	s_delay_alu instid0(VALU_DEP_2) | instskip(NEXT) | instid1(VALU_DEP_2)
	v_add_f64_e32 v[10:11], v[10:11], v[16:17]
	v_add_f64_e32 v[12:13], v[22:23], v[12:13]
	global_store_b128 v[14:15], v[10:13], off
.LBB108_65:                             ;   in Loop: Header=BB108_8 Depth=2
	s_wait_xcnt 0x0
	s_or_b32 exec_lo, exec_lo, s4
	s_and_b32 s5, s3, vcc_lo
	s_delay_alu instid0(SALU_CYCLE_1)
	s_and_saveexec_b32 s4, s5
	s_cbranch_execz .LBB108_7
; %bb.66:                               ;   in Loop: Header=BB108_8 Depth=2
	v_lshl_add_u64 v[4:5], v[34:35], 4, v[4:5]
	v_mul_f64_e32 v[14:15], v[8:9], v[18:19]
	v_mul_f64_e32 v[16:17], v[6:7], v[18:19]
	global_load_b128 v[10:13], v[4:5], off
	v_fma_f64 v[14:15], v[6:7], v[20:21], -v[14:15]
	v_fmac_f64_e32 v[16:17], v[8:9], v[20:21]
	s_wait_loadcnt 0x0
	s_delay_alu instid0(VALU_DEP_2) | instskip(NEXT) | instid1(VALU_DEP_2)
	v_add_f64_e32 v[10:11], v[10:11], v[14:15]
	v_add_f64_e32 v[12:13], v[16:17], v[12:13]
	global_store_b128 v[4:5], v[10:13], off
	s_branch .LBB108_7
.LBB108_67:
	s_sendmsg sendmsg(MSG_DEALLOC_VGPRS)
	s_endpgm
	.section	.rodata,"a",@progbits
	.p2align	6, 0x0
	.amdhsa_kernel _ZL30rocblas_trmm_outofplace_kernelI19rocblas_complex_numIdELi32ELi2ELb1ELb0ELb0ELb0EPKS1_S2_S1_Ev17rocblas_diagonal_iiT6_lPT7_lllS7_lllPT8_llli
		.amdhsa_group_segment_fixed_size 32768
		.amdhsa_private_segment_fixed_size 0
		.amdhsa_kernarg_size 392
		.amdhsa_user_sgpr_count 2
		.amdhsa_user_sgpr_dispatch_ptr 0
		.amdhsa_user_sgpr_queue_ptr 0
		.amdhsa_user_sgpr_kernarg_segment_ptr 1
		.amdhsa_user_sgpr_dispatch_id 0
		.amdhsa_user_sgpr_kernarg_preload_length 0
		.amdhsa_user_sgpr_kernarg_preload_offset 0
		.amdhsa_user_sgpr_private_segment_size 0
		.amdhsa_wavefront_size32 1
		.amdhsa_uses_dynamic_stack 0
		.amdhsa_enable_private_segment 0
		.amdhsa_system_sgpr_workgroup_id_x 1
		.amdhsa_system_sgpr_workgroup_id_y 1
		.amdhsa_system_sgpr_workgroup_id_z 1
		.amdhsa_system_sgpr_workgroup_info 0
		.amdhsa_system_vgpr_workitem_id 1
		.amdhsa_next_free_vgpr 96
		.amdhsa_next_free_sgpr 58
		.amdhsa_named_barrier_count 0
		.amdhsa_reserve_vcc 1
		.amdhsa_float_round_mode_32 0
		.amdhsa_float_round_mode_16_64 0
		.amdhsa_float_denorm_mode_32 3
		.amdhsa_float_denorm_mode_16_64 3
		.amdhsa_fp16_overflow 0
		.amdhsa_memory_ordered 1
		.amdhsa_forward_progress 1
		.amdhsa_inst_pref_size 67
		.amdhsa_round_robin_scheduling 0
		.amdhsa_exception_fp_ieee_invalid_op 0
		.amdhsa_exception_fp_denorm_src 0
		.amdhsa_exception_fp_ieee_div_zero 0
		.amdhsa_exception_fp_ieee_overflow 0
		.amdhsa_exception_fp_ieee_underflow 0
		.amdhsa_exception_fp_ieee_inexact 0
		.amdhsa_exception_int_div_zero 0
	.end_amdhsa_kernel
	.section	.text._ZL30rocblas_trmm_outofplace_kernelI19rocblas_complex_numIdELi32ELi2ELb1ELb0ELb0ELb0EPKS1_S2_S1_Ev17rocblas_diagonal_iiT6_lPT7_lllS7_lllPT8_llli,"axG",@progbits,_ZL30rocblas_trmm_outofplace_kernelI19rocblas_complex_numIdELi32ELi2ELb1ELb0ELb0ELb0EPKS1_S2_S1_Ev17rocblas_diagonal_iiT6_lPT7_lllS7_lllPT8_llli,comdat
.Lfunc_end108:
	.size	_ZL30rocblas_trmm_outofplace_kernelI19rocblas_complex_numIdELi32ELi2ELb1ELb0ELb0ELb0EPKS1_S2_S1_Ev17rocblas_diagonal_iiT6_lPT7_lllS7_lllPT8_llli, .Lfunc_end108-_ZL30rocblas_trmm_outofplace_kernelI19rocblas_complex_numIdELi32ELi2ELb1ELb0ELb0ELb0EPKS1_S2_S1_Ev17rocblas_diagonal_iiT6_lPT7_lllS7_lllPT8_llli
                                        ; -- End function
	.set _ZL30rocblas_trmm_outofplace_kernelI19rocblas_complex_numIdELi32ELi2ELb1ELb0ELb0ELb0EPKS1_S2_S1_Ev17rocblas_diagonal_iiT6_lPT7_lllS7_lllPT8_llli.num_vgpr, 96
	.set _ZL30rocblas_trmm_outofplace_kernelI19rocblas_complex_numIdELi32ELi2ELb1ELb0ELb0ELb0EPKS1_S2_S1_Ev17rocblas_diagonal_iiT6_lPT7_lllS7_lllPT8_llli.num_agpr, 0
	.set _ZL30rocblas_trmm_outofplace_kernelI19rocblas_complex_numIdELi32ELi2ELb1ELb0ELb0ELb0EPKS1_S2_S1_Ev17rocblas_diagonal_iiT6_lPT7_lllS7_lllPT8_llli.numbered_sgpr, 58
	.set _ZL30rocblas_trmm_outofplace_kernelI19rocblas_complex_numIdELi32ELi2ELb1ELb0ELb0ELb0EPKS1_S2_S1_Ev17rocblas_diagonal_iiT6_lPT7_lllS7_lllPT8_llli.num_named_barrier, 0
	.set _ZL30rocblas_trmm_outofplace_kernelI19rocblas_complex_numIdELi32ELi2ELb1ELb0ELb0ELb0EPKS1_S2_S1_Ev17rocblas_diagonal_iiT6_lPT7_lllS7_lllPT8_llli.private_seg_size, 0
	.set _ZL30rocblas_trmm_outofplace_kernelI19rocblas_complex_numIdELi32ELi2ELb1ELb0ELb0ELb0EPKS1_S2_S1_Ev17rocblas_diagonal_iiT6_lPT7_lllS7_lllPT8_llli.uses_vcc, 1
	.set _ZL30rocblas_trmm_outofplace_kernelI19rocblas_complex_numIdELi32ELi2ELb1ELb0ELb0ELb0EPKS1_S2_S1_Ev17rocblas_diagonal_iiT6_lPT7_lllS7_lllPT8_llli.uses_flat_scratch, 0
	.set _ZL30rocblas_trmm_outofplace_kernelI19rocblas_complex_numIdELi32ELi2ELb1ELb0ELb0ELb0EPKS1_S2_S1_Ev17rocblas_diagonal_iiT6_lPT7_lllS7_lllPT8_llli.has_dyn_sized_stack, 0
	.set _ZL30rocblas_trmm_outofplace_kernelI19rocblas_complex_numIdELi32ELi2ELb1ELb0ELb0ELb0EPKS1_S2_S1_Ev17rocblas_diagonal_iiT6_lPT7_lllS7_lllPT8_llli.has_recursion, 0
	.set _ZL30rocblas_trmm_outofplace_kernelI19rocblas_complex_numIdELi32ELi2ELb1ELb0ELb0ELb0EPKS1_S2_S1_Ev17rocblas_diagonal_iiT6_lPT7_lllS7_lllPT8_llli.has_indirect_call, 0
	.section	.AMDGPU.csdata,"",@progbits
; Kernel info:
; codeLenInByte = 8516
; TotalNumSgprs: 60
; NumVgprs: 96
; ScratchSize: 0
; MemoryBound: 0
; FloatMode: 240
; IeeeMode: 1
; LDSByteSize: 32768 bytes/workgroup (compile time only)
; SGPRBlocks: 0
; VGPRBlocks: 5
; NumSGPRsForWavesPerEU: 60
; NumVGPRsForWavesPerEU: 96
; NamedBarCnt: 0
; Occupancy: 10
; WaveLimiterHint : 0
; COMPUTE_PGM_RSRC2:SCRATCH_EN: 0
; COMPUTE_PGM_RSRC2:USER_SGPR: 2
; COMPUTE_PGM_RSRC2:TRAP_HANDLER: 0
; COMPUTE_PGM_RSRC2:TGID_X_EN: 1
; COMPUTE_PGM_RSRC2:TGID_Y_EN: 1
; COMPUTE_PGM_RSRC2:TGID_Z_EN: 1
; COMPUTE_PGM_RSRC2:TIDIG_COMP_CNT: 1
	.section	.text._ZL30rocblas_trmm_outofplace_kernelI19rocblas_complex_numIdELi32ELi2ELb1ELb0ELb0ELb0ES1_KS1_S1_Ev17rocblas_diagonal_iiT6_lPT7_lllS6_lllPT8_llli,"axG",@progbits,_ZL30rocblas_trmm_outofplace_kernelI19rocblas_complex_numIdELi32ELi2ELb1ELb0ELb0ELb0ES1_KS1_S1_Ev17rocblas_diagonal_iiT6_lPT7_lllS6_lllPT8_llli,comdat
	.globl	_ZL30rocblas_trmm_outofplace_kernelI19rocblas_complex_numIdELi32ELi2ELb1ELb0ELb0ELb0ES1_KS1_S1_Ev17rocblas_diagonal_iiT6_lPT7_lllS6_lllPT8_llli ; -- Begin function _ZL30rocblas_trmm_outofplace_kernelI19rocblas_complex_numIdELi32ELi2ELb1ELb0ELb0ELb0ES1_KS1_S1_Ev17rocblas_diagonal_iiT6_lPT7_lllS6_lllPT8_llli
	.p2align	8
	.type	_ZL30rocblas_trmm_outofplace_kernelI19rocblas_complex_numIdELi32ELi2ELb1ELb0ELb0ELb0ES1_KS1_S1_Ev17rocblas_diagonal_iiT6_lPT7_lllS6_lllPT8_llli,@function
_ZL30rocblas_trmm_outofplace_kernelI19rocblas_complex_numIdELi32ELi2ELb1ELb0ELb0ELb0ES1_KS1_S1_Ev17rocblas_diagonal_iiT6_lPT7_lllS6_lllPT8_llli: ; @_ZL30rocblas_trmm_outofplace_kernelI19rocblas_complex_numIdELi32ELi2ELb1ELb0ELb0ELb0ES1_KS1_S1_Ev17rocblas_diagonal_iiT6_lPT7_lllS6_lllPT8_llli
; %bb.0:
	s_load_b32 s33, s[0:1], 0x88
	s_bfe_u32 s2, ttmp6, 0x40014
	s_lshr_b32 s3, ttmp7, 16
	s_add_co_i32 s2, s2, 1
	s_bfe_u32 s5, ttmp6, 0x40008
	s_mul_i32 s4, s3, s2
	s_getreg_b32 s2, hwreg(HW_REG_IB_STS2, 6, 4)
	s_add_co_i32 s5, s5, s4
	s_cmp_eq_u32 s2, 0
	s_cselect_b32 s34, s3, s5
	s_wait_kmcnt 0x0
	s_cmp_ge_u32 s34, s33
	s_cbranch_scc1 .LBB109_66
; %bb.1:
	s_load_b128 s[28:31], s[0:1], 0x10
	s_wait_kmcnt 0x0
	v_cmp_eq_f64_e64 s3, s[28:29], 0
	v_cmp_eq_f64_e64 s4, s[30:31], 0
	s_and_b32 s3, s3, s4
	s_delay_alu instid0(SALU_CYCLE_1)
	s_and_b32 vcc_lo, exec_lo, s3
	s_cbranch_vccnz .LBB109_66
; %bb.2:
	s_clause 0x1
	s_load_b96 s[36:38], s[0:1], 0x0
	s_load_b512 s[4:19], s[0:1], 0x28
	s_bfe_u32 s39, ttmp6, 0x4000c
	s_bfe_u32 s43, ttmp6, 0x40010
	s_add_co_i32 s39, s39, 1
	v_bfe_u32 v20, v0, 10, 10
	v_mov_b32_e32 v2, 0
	s_and_b32 s42, ttmp7, 0xffff
	s_add_nc_u64 s[40:41], s[0:1], 0x90
	s_load_b256 s[20:27], s[0:1], 0x68
	s_add_co_i32 s43, s43, 1
	s_wait_xcnt 0x0
	s_mul_i32 s0, ttmp9, s39
	s_mul_i32 s1, s42, s43
	v_dual_lshlrev_b32 v3, 9, v20 :: v_dual_mov_b32 v21, v2
	v_mov_b32_e32 v1, v2
	s_and_b32 s3, ttmp6, 15
	s_bfe_u32 s44, ttmp6, 0x40004
	s_add_co_i32 s3, s3, s0
	s_add_co_i32 s44, s44, s1
	s_wait_kmcnt 0x0
	s_add_co_i32 s39, s38, -1
	v_mul_u64_e32 v[4:5], s[8:9], v[20:21]
	s_ashr_i32 s43, s39, 31
	v_lshl_add_u32 v8, v20, 4, 0x100
	s_lshr_b32 s43, s43, 27
	v_and_b32_e32 v0, 0x3ff, v0
	s_add_co_i32 s39, s39, s43
	v_dual_mov_b32 v23, v2 :: v_dual_add_nc_u32 v78, 0x4000, v3
	s_ashr_i32 s39, s39, 5
	s_cmp_eq_u32 s2, 0
	s_mov_b32 s35, 0
	s_cselect_b32 s48, s42, s44
	s_cselect_b32 s0, ttmp9, s3
	s_cmp_le_i32 s48, s39
	s_mov_b32 s42, s37
	s_cselect_b32 s49, -1, 0
	s_lshl_b32 s50, s0, 5
	s_cmp_gt_i32 s0, -1
	v_dual_lshlrev_b32 v22, 4, v0 :: v_dual_add_nc_u32 v24, s50, v0
	s_cselect_b32 s51, -1, 0
	s_cmp_eq_u32 s36, 0x84
	s_mov_b32 s44, s38
	s_cselect_b32 s52, -1, 0
	s_lshl_b64 s[2:3], s[6:7], 4
	v_dual_add_nc_u32 v79, v22, v3 :: v_dual_ashrrev_i32 v25, 31, v24
	s_add_nc_u64 s[4:5], s[4:5], s[2:3]
	s_lshl_b64 s[2:3], s[14:15], 4
	v_mad_nc_u64_u32 v[6:7], s8, v8, s[4:5]
	s_add_nc_u64 s[2:3], s[12:13], s[2:3]
	v_add_nc_u64_e32 v[26:27], 16, v[24:25]
	v_sub_nc_u64_e32 v[30:31], v[24:25], v[20:21]
	v_lshl_add_u64 v[4:5], v[4:5], 4, s[4:5]
	v_dual_add_nc_u32 v80, v78, v22 :: v_dual_add_nc_u32 v28, 16, v24
	s_ashr_i32 s43, s37, 31
	s_lshl_b64 s[0:1], s[22:23], 4
	v_lshlrev_b64_e32 v[38:39], 4, v[24:25]
	s_add_nc_u64 s[20:21], s[20:21], s[0:1]
	v_mad_u32 v7, s9, v8, v7
	v_add_nc_u64_e32 v[8:9], s[2:3], v[22:23]
	v_cmp_le_i64_e64 s1, s[42:43], v[26:27]
	v_add_nc_u64_e32 v[32:33], 16, v[30:31]
	v_add_nc_u64_e32 v[34:35], -16, v[30:31]
	v_add_nc_u64_e32 v[42:43], 0x100, v[4:5]
	v_cmp_le_i32_e64 s0, s37, v24
	v_add_nc_u32_e32 v81, 0x2000, v80
	v_add_nc_u64_e32 v[36:37], 0x100, v[8:9]
	v_add_nc_u32_e32 v82, 0x2100, v80
	v_cmp_gt_i32_e64 s2, s37, v24
	v_add_nc_u64_e32 v[40:41], 0x100, v[6:7]
	v_cmp_gt_i32_e64 s3, s37, v28
	v_ashrrev_i32_e32 v29, 31, v28
	v_lshl_add_u32 v23, s48, 5, v20
	v_mov_b32_e32 v3, 0x3ff00000
	s_ashr_i32 s45, s38, 31
	s_lshl_b64 s[22:23], s[8:9], 9
	s_add_nc_u64 s[46:47], s[42:43], -16
	s_lshl_b64 s[12:13], s[18:19], 4
	s_lshl_b64 s[14:15], s[16:17], 4
	;; [unrolled: 1-line block ×3, first 2 shown]
	s_branch .LBB109_4
.LBB109_3:                              ;   in Loop: Header=BB109_4 Depth=1
	s_add_co_i32 s34, s34, 0x10000
	s_delay_alu instid0(SALU_CYCLE_1)
	s_cmp_ge_u32 s34, s33
	s_cbranch_scc1 .LBB109_66
.LBB109_4:                              ; =>This Loop Header: Depth=1
                                        ;     Child Loop BB109_7 Depth 2
                                        ;       Child Loop BB109_10 Depth 3
	s_and_not1_b32 vcc_lo, exec_lo, s49
	s_cbranch_vccnz .LBB109_3
; %bb.5:                                ;   in Loop: Header=BB109_4 Depth=1
	s_load_b32 s9, s[40:41], 0x4
	v_mad_nc_u64_u32 v[44:45], s12, s34, v[36:37]
	v_mad_nc_u64_u32 v[46:47], s10, s34, v[40:41]
	;; [unrolled: 1-line block ×3, first 2 shown]
	s_mul_i32 s6, s11, s34
	s_mul_u64 s[4:5], s[26:27], s[34:35]
	v_mov_b32_e32 v50, v23
	s_lshl_b64 s[4:5], s[4:5], 4
	s_mov_b32 s54, s48
	s_add_nc_u64 s[18:19], s[20:21], s[4:5]
	s_delay_alu instid0(VALU_DEP_4) | instskip(NEXT) | instid1(VALU_DEP_3)
	v_mad_u32 v45, s13, s34, v45
	v_dual_add_nc_u32 v47, s6, v47 :: v_dual_add_nc_u32 v49, s6, v49
	s_wait_kmcnt 0x0
	s_lshl_b32 s53, s9, 5
	s_branch .LBB109_7
.LBB109_6:                              ;   in Loop: Header=BB109_7 Depth=2
	s_wait_xcnt 0x0
	s_or_b32 exec_lo, exec_lo, s4
	v_add_nc_u32_e32 v50, s53, v50
	s_add_co_i32 s54, s9, s54
	s_delay_alu instid0(SALU_CYCLE_1)
	s_cmp_gt_i32 s54, s39
	s_cbranch_scc1 .LBB109_3
.LBB109_7:                              ;   Parent Loop BB109_4 Depth=1
                                        ; =>  This Loop Header: Depth=2
                                        ;       Child Loop BB109_10 Depth 3
	v_lshl_add_u32 v52, s54, 5, v20
	v_mov_b64_e32 v[62:63], 0
	v_mov_b64_e32 v[64:65], 0
	;; [unrolled: 1-line block ×8, first 2 shown]
	v_ashrrev_i32_e32 v53, 31, v52
	s_and_not1_b32 vcc_lo, exec_lo, s51
	s_cbranch_vccnz .LBB109_58
; %bb.8:                                ;   in Loop: Header=BB109_7 Depth=2
	v_ashrrev_i32_e32 v51, 31, v50
	v_mad_nc_u64_u32 v[54:55], s14, v50, v[44:45]
	v_sub_nc_u64_e32 v[6:7], s[44:45], v[52:53]
	v_mov_b64_e32 v[12:13], 0
	v_mov_b64_e32 v[14:15], 0
	v_lshl_add_u64 v[4:5], v[50:51], 4, 0x100
	v_mov_b64_e32 v[70:71], 0
	v_mov_b64_e32 v[74:75], 0
	;; [unrolled: 1-line block ×3, first 2 shown]
	v_cmp_lt_i64_e64 s4, 16, v[6:7]
	v_mad_nc_u64_u32 v[56:57], s16, v4, v[44:45]
	v_mov_b64_e32 v[16:17], 0
	v_mad_u32 v8, s15, v50, v55
	v_mov_b64_e32 v[64:65], 0
	v_mov_b64_e32 v[62:63], 0
	;; [unrolled: 1-line block ×4, first 2 shown]
	s_mov_b64 s[36:37], 0
	v_cmp_lt_i64_e32 vcc_lo, 0, v[6:7]
	v_mad_u32 v4, s17, v4, v57
	v_mad_u32 v55, s14, v51, v8
	s_delay_alu instid0(VALU_DEP_2)
	v_mad_u32 v57, s16, v5, v4
	s_branch .LBB109_10
.LBB109_9:                              ;   in Loop: Header=BB109_10 Depth=3
	s_wait_xcnt 0x0
	s_or_b32 exec_lo, exec_lo, s5
	s_wait_dscnt 0x0
	s_barrier_signal -1
	s_barrier_wait -1
	ds_load_b128 v[66:69], v78
	ds_load_b128 v[84:87], v78 offset:16
	ds_load_b128 v[8:11], v78 offset:32
	;; [unrolled: 1-line block ×3, first 2 shown]
	ds_load_b128 v[88:91], v22
	v_add_nc_u64_e32 v[54:55], 0x200, v[54:55]
	v_add_nc_u64_e32 v[56:57], 0x200, v[56:57]
	;; [unrolled: 1-line block ×4, first 2 shown]
	s_add_nc_u64 s[36:37], s[36:37], 32
	s_delay_alu instid0(SALU_CYCLE_1) | instskip(NEXT) | instid1(SALU_CYCLE_1)
	s_sub_co_i32 s5, s36, 32
	s_cmp_ge_i32 s5, s50
	s_wait_dscnt 0x0
	v_mul_f64_e32 v[72:73], v[68:69], v[90:91]
	v_mul_f64_e32 v[76:77], v[66:67], v[90:91]
	s_delay_alu instid0(VALU_DEP_2) | instskip(NEXT) | instid1(VALU_DEP_2)
	v_fma_f64 v[72:73], v[66:67], v[88:89], -v[72:73]
	v_fmac_f64_e32 v[76:77], v[68:69], v[88:89]
	s_delay_alu instid0(VALU_DEP_2) | instskip(NEXT) | instid1(VALU_DEP_2)
	v_add_f64_e32 v[92:93], v[62:63], v[72:73]
	v_add_f64_e32 v[94:95], v[76:77], v[64:65]
	ds_load_b128 v[62:65], v22 offset:256
	s_wait_dscnt 0x0
	v_mul_f64_e32 v[72:73], v[68:69], v[64:65]
	s_delay_alu instid0(VALU_DEP_1) | instskip(SKIP_1) | instid1(VALU_DEP_2)
	v_fma_f64 v[72:73], v[66:67], v[62:63], -v[72:73]
	v_mul_f64_e32 v[66:67], v[66:67], v[64:65]
	v_add_f64_e32 v[96:97], v[16:17], v[72:73]
	s_delay_alu instid0(VALU_DEP_2) | instskip(NEXT) | instid1(VALU_DEP_1)
	v_fmac_f64_e32 v[66:67], v[68:69], v[62:63]
	v_add_f64_e32 v[98:99], v[66:67], v[18:19]
	ds_load_b128 v[16:19], v78 offset:8192
	s_wait_dscnt 0x0
	v_mul_f64_e32 v[66:67], v[18:19], v[90:91]
	v_mul_f64_e32 v[68:69], v[16:17], v[90:91]
	s_delay_alu instid0(VALU_DEP_2) | instskip(NEXT) | instid1(VALU_DEP_2)
	v_fma_f64 v[66:67], v[16:17], v[88:89], -v[66:67]
	v_fmac_f64_e32 v[68:69], v[18:19], v[88:89]
	s_delay_alu instid0(VALU_DEP_2) | instskip(SKIP_1) | instid1(VALU_DEP_3)
	v_add_f64_e32 v[74:75], v[74:75], v[66:67]
	v_mul_f64_e32 v[66:67], v[18:19], v[64:65]
	v_add_f64_e32 v[76:77], v[68:69], v[70:71]
	s_delay_alu instid0(VALU_DEP_2) | instskip(SKIP_1) | instid1(VALU_DEP_2)
	v_fma_f64 v[66:67], v[16:17], v[62:63], -v[66:67]
	v_mul_f64_e32 v[16:17], v[16:17], v[64:65]
	v_add_f64_e32 v[70:71], v[14:15], v[66:67]
	s_delay_alu instid0(VALU_DEP_2) | instskip(NEXT) | instid1(VALU_DEP_1)
	v_fmac_f64_e32 v[16:17], v[18:19], v[62:63]
	v_add_f64_e32 v[72:73], v[16:17], v[12:13]
	ds_load_b128 v[16:19], v22 offset:512
	s_wait_dscnt 0x0
	v_mul_f64_e32 v[12:13], v[86:87], v[18:19]
	v_mul_f64_e32 v[14:15], v[84:85], v[18:19]
	s_delay_alu instid0(VALU_DEP_2) | instskip(NEXT) | instid1(VALU_DEP_2)
	v_fma_f64 v[12:13], v[84:85], v[16:17], -v[12:13]
	v_fmac_f64_e32 v[14:15], v[86:87], v[16:17]
	s_delay_alu instid0(VALU_DEP_2) | instskip(NEXT) | instid1(VALU_DEP_2)
	v_add_f64_e32 v[66:67], v[92:93], v[12:13]
	v_add_f64_e32 v[68:69], v[14:15], v[94:95]
	ds_load_b128 v[12:15], v22 offset:768
	s_wait_dscnt 0x0
	v_mul_f64_e32 v[62:63], v[86:87], v[14:15]
	v_mul_f64_e32 v[64:65], v[84:85], v[14:15]
	s_delay_alu instid0(VALU_DEP_2) | instskip(NEXT) | instid1(VALU_DEP_2)
	v_fma_f64 v[62:63], v[84:85], v[12:13], -v[62:63]
	v_fmac_f64_e32 v[64:65], v[86:87], v[12:13]
	ds_load_b128 v[84:87], v78 offset:8208
	s_wait_dscnt 0x0
	v_mul_f64_e32 v[88:89], v[86:87], v[18:19]
	v_mul_f64_e32 v[18:19], v[84:85], v[18:19]
	v_add_f64_e32 v[62:63], v[96:97], v[62:63]
	v_add_f64_e32 v[64:65], v[64:65], v[98:99]
	s_delay_alu instid0(VALU_DEP_4) | instskip(NEXT) | instid1(VALU_DEP_4)
	v_fma_f64 v[88:89], v[84:85], v[16:17], -v[88:89]
	v_fmac_f64_e32 v[18:19], v[86:87], v[16:17]
	s_delay_alu instid0(VALU_DEP_2) | instskip(SKIP_2) | instid1(VALU_DEP_4)
	v_add_f64_e32 v[16:17], v[74:75], v[88:89]
	v_mul_f64_e32 v[74:75], v[86:87], v[14:15]
	v_mul_f64_e32 v[14:15], v[84:85], v[14:15]
	v_add_f64_e32 v[18:19], v[18:19], v[76:77]
	s_delay_alu instid0(VALU_DEP_3) | instskip(NEXT) | instid1(VALU_DEP_3)
	v_fma_f64 v[74:75], v[84:85], v[12:13], -v[74:75]
	v_fmac_f64_e32 v[14:15], v[86:87], v[12:13]
	s_delay_alu instid0(VALU_DEP_2) | instskip(NEXT) | instid1(VALU_DEP_2)
	v_add_f64_e32 v[12:13], v[70:71], v[74:75]
	v_add_f64_e32 v[14:15], v[14:15], v[72:73]
	ds_load_b128 v[70:73], v22 offset:1024
	s_wait_dscnt 0x0
	v_mul_f64_e32 v[74:75], v[10:11], v[72:73]
	v_mul_f64_e32 v[76:77], v[8:9], v[72:73]
	s_delay_alu instid0(VALU_DEP_2) | instskip(NEXT) | instid1(VALU_DEP_2)
	v_fma_f64 v[74:75], v[8:9], v[70:71], -v[74:75]
	v_fmac_f64_e32 v[76:77], v[10:11], v[70:71]
	s_delay_alu instid0(VALU_DEP_2) | instskip(NEXT) | instid1(VALU_DEP_2)
	v_add_f64_e32 v[84:85], v[66:67], v[74:75]
	v_add_f64_e32 v[86:87], v[76:77], v[68:69]
	ds_load_b128 v[74:77], v22 offset:1280
	s_wait_dscnt 0x0
	v_mul_f64_e32 v[66:67], v[10:11], v[76:77]
	s_delay_alu instid0(VALU_DEP_1) | instskip(SKIP_1) | instid1(VALU_DEP_2)
	v_fma_f64 v[66:67], v[8:9], v[74:75], -v[66:67]
	v_mul_f64_e32 v[8:9], v[8:9], v[76:77]
	v_add_f64_e32 v[88:89], v[62:63], v[66:67]
	s_delay_alu instid0(VALU_DEP_2) | instskip(NEXT) | instid1(VALU_DEP_1)
	v_fmac_f64_e32 v[8:9], v[10:11], v[74:75]
	v_add_f64_e32 v[90:91], v[8:9], v[64:65]
	ds_load_b128 v[8:11], v78 offset:8224
	s_wait_dscnt 0x0
	v_mul_f64_e32 v[62:63], v[10:11], v[72:73]
	v_mul_f64_e32 v[64:65], v[8:9], v[72:73]
	s_delay_alu instid0(VALU_DEP_2) | instskip(NEXT) | instid1(VALU_DEP_2)
	v_fma_f64 v[62:63], v[8:9], v[70:71], -v[62:63]
	v_fmac_f64_e32 v[64:65], v[10:11], v[70:71]
	s_delay_alu instid0(VALU_DEP_2) | instskip(SKIP_1) | instid1(VALU_DEP_3)
	v_add_f64_e32 v[66:67], v[16:17], v[62:63]
	v_mul_f64_e32 v[16:17], v[10:11], v[76:77]
	v_add_f64_e32 v[68:69], v[64:65], v[18:19]
	s_delay_alu instid0(VALU_DEP_2) | instskip(SKIP_1) | instid1(VALU_DEP_2)
	v_fma_f64 v[16:17], v[8:9], v[74:75], -v[16:17]
	v_mul_f64_e32 v[8:9], v[8:9], v[76:77]
	v_add_f64_e32 v[62:63], v[12:13], v[16:17]
	s_delay_alu instid0(VALU_DEP_2) | instskip(NEXT) | instid1(VALU_DEP_1)
	v_fmac_f64_e32 v[8:9], v[10:11], v[74:75]
	v_add_f64_e32 v[64:65], v[8:9], v[14:15]
	ds_load_b128 v[12:15], v22 offset:1536
	s_wait_dscnt 0x0
	v_mul_f64_e32 v[8:9], v[6:7], v[14:15]
	v_mul_f64_e32 v[10:11], v[4:5], v[14:15]
	s_delay_alu instid0(VALU_DEP_2) | instskip(NEXT) | instid1(VALU_DEP_2)
	v_fma_f64 v[8:9], v[4:5], v[12:13], -v[8:9]
	v_fmac_f64_e32 v[10:11], v[6:7], v[12:13]
	s_delay_alu instid0(VALU_DEP_2) | instskip(NEXT) | instid1(VALU_DEP_2)
	v_add_f64_e32 v[16:17], v[84:85], v[8:9]
	v_add_f64_e32 v[18:19], v[10:11], v[86:87]
	ds_load_b128 v[8:11], v22 offset:1792
	s_wait_dscnt 0x0
	v_mul_f64_e32 v[70:71], v[6:7], v[10:11]
	v_mul_f64_e32 v[72:73], v[4:5], v[10:11]
	s_delay_alu instid0(VALU_DEP_2) | instskip(NEXT) | instid1(VALU_DEP_2)
	v_fma_f64 v[70:71], v[4:5], v[8:9], -v[70:71]
	v_fmac_f64_e32 v[72:73], v[6:7], v[8:9]
	s_delay_alu instid0(VALU_DEP_2) | instskip(NEXT) | instid1(VALU_DEP_2)
	v_add_f64_e32 v[4:5], v[88:89], v[70:71]
	v_add_f64_e32 v[6:7], v[72:73], v[90:91]
	ds_load_b128 v[70:73], v78 offset:8240
	s_wait_dscnt 0x0
	v_mul_f64_e32 v[74:75], v[72:73], v[14:15]
	v_mul_f64_e32 v[14:15], v[70:71], v[14:15]
	s_delay_alu instid0(VALU_DEP_2) | instskip(NEXT) | instid1(VALU_DEP_2)
	v_fma_f64 v[74:75], v[70:71], v[12:13], -v[74:75]
	v_fmac_f64_e32 v[14:15], v[72:73], v[12:13]
	s_delay_alu instid0(VALU_DEP_2) | instskip(SKIP_2) | instid1(VALU_DEP_4)
	v_add_f64_e32 v[12:13], v[66:67], v[74:75]
	v_mul_f64_e32 v[66:67], v[72:73], v[10:11]
	v_mul_f64_e32 v[10:11], v[70:71], v[10:11]
	v_add_f64_e32 v[14:15], v[14:15], v[68:69]
	s_delay_alu instid0(VALU_DEP_3) | instskip(NEXT) | instid1(VALU_DEP_3)
	v_fma_f64 v[66:67], v[70:71], v[8:9], -v[66:67]
	v_fmac_f64_e32 v[10:11], v[72:73], v[8:9]
	s_delay_alu instid0(VALU_DEP_2)
	v_add_f64_e32 v[8:9], v[62:63], v[66:67]
	ds_load_b128 v[66:69], v78 offset:64
	ds_load_b128 v[70:73], v22 offset:2048
	v_add_f64_e32 v[10:11], v[10:11], v[64:65]
	ds_load_b128 v[74:77], v22 offset:2304
	s_wait_dscnt 0x1
	v_mul_f64_e32 v[62:63], v[68:69], v[72:73]
	v_mul_f64_e32 v[64:65], v[66:67], v[72:73]
	s_delay_alu instid0(VALU_DEP_2) | instskip(NEXT) | instid1(VALU_DEP_2)
	v_fma_f64 v[62:63], v[66:67], v[70:71], -v[62:63]
	v_fmac_f64_e32 v[64:65], v[68:69], v[70:71]
	s_delay_alu instid0(VALU_DEP_2) | instskip(NEXT) | instid1(VALU_DEP_2)
	v_add_f64_e32 v[62:63], v[16:17], v[62:63]
	v_add_f64_e32 v[64:65], v[64:65], v[18:19]
	s_wait_dscnt 0x0
	v_mul_f64_e32 v[16:17], v[68:69], v[76:77]
	v_mul_f64_e32 v[18:19], v[66:67], v[76:77]
	s_delay_alu instid0(VALU_DEP_2) | instskip(NEXT) | instid1(VALU_DEP_2)
	v_fma_f64 v[16:17], v[66:67], v[74:75], -v[16:17]
	v_fmac_f64_e32 v[18:19], v[68:69], v[74:75]
	s_delay_alu instid0(VALU_DEP_2) | instskip(NEXT) | instid1(VALU_DEP_2)
	v_add_f64_e32 v[84:85], v[4:5], v[16:17]
	v_add_f64_e32 v[86:87], v[18:19], v[6:7]
	ds_load_b128 v[4:7], v78 offset:8256
	s_wait_dscnt 0x0
	v_mul_f64_e32 v[16:17], v[6:7], v[72:73]
	v_mul_f64_e32 v[18:19], v[4:5], v[72:73]
	s_delay_alu instid0(VALU_DEP_2) | instskip(NEXT) | instid1(VALU_DEP_2)
	v_fma_f64 v[16:17], v[4:5], v[70:71], -v[16:17]
	v_fmac_f64_e32 v[18:19], v[6:7], v[70:71]
	s_delay_alu instid0(VALU_DEP_2) | instskip(SKIP_1) | instid1(VALU_DEP_3)
	v_add_f64_e32 v[16:17], v[12:13], v[16:17]
	v_mul_f64_e32 v[12:13], v[6:7], v[76:77]
	v_add_f64_e32 v[18:19], v[18:19], v[14:15]
	s_delay_alu instid0(VALU_DEP_2) | instskip(SKIP_1) | instid1(VALU_DEP_2)
	v_fma_f64 v[12:13], v[4:5], v[74:75], -v[12:13]
	v_mul_f64_e32 v[4:5], v[4:5], v[76:77]
	v_add_f64_e32 v[12:13], v[8:9], v[12:13]
	s_delay_alu instid0(VALU_DEP_2) | instskip(NEXT) | instid1(VALU_DEP_1)
	v_fmac_f64_e32 v[4:5], v[6:7], v[74:75]
	v_add_f64_e32 v[14:15], v[4:5], v[10:11]
	ds_load_b128 v[4:7], v78 offset:80
	ds_load_b128 v[66:69], v22 offset:2560
	s_wait_dscnt 0x0
	v_mul_f64_e32 v[8:9], v[6:7], v[68:69]
	v_mul_f64_e32 v[10:11], v[4:5], v[68:69]
	s_delay_alu instid0(VALU_DEP_2) | instskip(NEXT) | instid1(VALU_DEP_2)
	v_fma_f64 v[8:9], v[4:5], v[66:67], -v[8:9]
	v_fmac_f64_e32 v[10:11], v[6:7], v[66:67]
	s_delay_alu instid0(VALU_DEP_2) | instskip(NEXT) | instid1(VALU_DEP_2)
	v_add_f64_e32 v[8:9], v[62:63], v[8:9]
	v_add_f64_e32 v[10:11], v[10:11], v[64:65]
	ds_load_b128 v[62:65], v22 offset:2816
	s_wait_dscnt 0x0
	v_mul_f64_e32 v[70:71], v[6:7], v[64:65]
	v_mul_f64_e32 v[72:73], v[4:5], v[64:65]
	s_delay_alu instid0(VALU_DEP_2) | instskip(NEXT) | instid1(VALU_DEP_2)
	v_fma_f64 v[70:71], v[4:5], v[62:63], -v[70:71]
	v_fmac_f64_e32 v[72:73], v[6:7], v[62:63]
	s_delay_alu instid0(VALU_DEP_2) | instskip(NEXT) | instid1(VALU_DEP_2)
	v_add_f64_e32 v[4:5], v[84:85], v[70:71]
	v_add_f64_e32 v[6:7], v[72:73], v[86:87]
	ds_load_b128 v[70:73], v78 offset:8272
	s_wait_dscnt 0x0
	v_mul_f64_e32 v[74:75], v[72:73], v[68:69]
	v_mul_f64_e32 v[68:69], v[70:71], v[68:69]
	s_delay_alu instid0(VALU_DEP_2) | instskip(NEXT) | instid1(VALU_DEP_2)
	v_fma_f64 v[74:75], v[70:71], v[66:67], -v[74:75]
	v_fmac_f64_e32 v[68:69], v[72:73], v[66:67]
	v_mul_f64_e32 v[66:67], v[72:73], v[64:65]
	v_mul_f64_e32 v[64:65], v[70:71], v[64:65]
	s_delay_alu instid0(VALU_DEP_4) | instskip(NEXT) | instid1(VALU_DEP_4)
	v_add_f64_e32 v[16:17], v[16:17], v[74:75]
	v_add_f64_e32 v[18:19], v[68:69], v[18:19]
	s_delay_alu instid0(VALU_DEP_4) | instskip(NEXT) | instid1(VALU_DEP_4)
	v_fma_f64 v[66:67], v[70:71], v[62:63], -v[66:67]
	v_fmac_f64_e32 v[64:65], v[72:73], v[62:63]
	s_delay_alu instid0(VALU_DEP_2) | instskip(NEXT) | instid1(VALU_DEP_2)
	v_add_f64_e32 v[12:13], v[12:13], v[66:67]
	v_add_f64_e32 v[14:15], v[64:65], v[14:15]
	ds_load_b128 v[62:65], v78 offset:96
	ds_load_b128 v[66:69], v22 offset:3072
	s_wait_dscnt 0x0
	v_mul_f64_e32 v[70:71], v[64:65], v[68:69]
	v_mul_f64_e32 v[72:73], v[62:63], v[68:69]
	s_delay_alu instid0(VALU_DEP_2) | instskip(NEXT) | instid1(VALU_DEP_2)
	v_fma_f64 v[70:71], v[62:63], v[66:67], -v[70:71]
	v_fmac_f64_e32 v[72:73], v[64:65], v[66:67]
	s_delay_alu instid0(VALU_DEP_2) | instskip(NEXT) | instid1(VALU_DEP_2)
	v_add_f64_e32 v[8:9], v[8:9], v[70:71]
	v_add_f64_e32 v[10:11], v[72:73], v[10:11]
	ds_load_b128 v[70:73], v22 offset:3328
	s_wait_dscnt 0x0
	v_mul_f64_e32 v[74:75], v[64:65], v[72:73]
	s_delay_alu instid0(VALU_DEP_1) | instskip(SKIP_1) | instid1(VALU_DEP_2)
	v_fma_f64 v[74:75], v[62:63], v[70:71], -v[74:75]
	v_mul_f64_e32 v[62:63], v[62:63], v[72:73]
	v_add_f64_e32 v[74:75], v[4:5], v[74:75]
	s_delay_alu instid0(VALU_DEP_2) | instskip(NEXT) | instid1(VALU_DEP_1)
	v_fmac_f64_e32 v[62:63], v[64:65], v[70:71]
	v_add_f64_e32 v[76:77], v[62:63], v[6:7]
	ds_load_b128 v[4:7], v78 offset:8288
	s_wait_dscnt 0x0
	v_mul_f64_e32 v[62:63], v[6:7], v[68:69]
	v_mul_f64_e32 v[64:65], v[4:5], v[68:69]
	s_delay_alu instid0(VALU_DEP_2) | instskip(NEXT) | instid1(VALU_DEP_2)
	v_fma_f64 v[62:63], v[4:5], v[66:67], -v[62:63]
	v_fmac_f64_e32 v[64:65], v[6:7], v[66:67]
	s_delay_alu instid0(VALU_DEP_2) | instskip(SKIP_1) | instid1(VALU_DEP_3)
	v_add_f64_e32 v[16:17], v[16:17], v[62:63]
	v_mul_f64_e32 v[62:63], v[6:7], v[72:73]
	v_add_f64_e32 v[18:19], v[64:65], v[18:19]
	s_delay_alu instid0(VALU_DEP_2) | instskip(SKIP_1) | instid1(VALU_DEP_2)
	v_fma_f64 v[62:63], v[4:5], v[70:71], -v[62:63]
	v_mul_f64_e32 v[4:5], v[4:5], v[72:73]
	v_add_f64_e32 v[12:13], v[12:13], v[62:63]
	s_delay_alu instid0(VALU_DEP_2) | instskip(NEXT) | instid1(VALU_DEP_1)
	v_fmac_f64_e32 v[4:5], v[6:7], v[70:71]
	v_add_f64_e32 v[14:15], v[4:5], v[14:15]
	ds_load_b128 v[4:7], v78 offset:112
	ds_load_b128 v[62:65], v22 offset:3584
	s_wait_dscnt 0x0
	v_mul_f64_e32 v[66:67], v[6:7], v[64:65]
	v_mul_f64_e32 v[68:69], v[4:5], v[64:65]
	s_delay_alu instid0(VALU_DEP_2) | instskip(NEXT) | instid1(VALU_DEP_2)
	v_fma_f64 v[66:67], v[4:5], v[62:63], -v[66:67]
	v_fmac_f64_e32 v[68:69], v[6:7], v[62:63]
	s_delay_alu instid0(VALU_DEP_2) | instskip(NEXT) | instid1(VALU_DEP_2)
	v_add_f64_e32 v[8:9], v[8:9], v[66:67]
	v_add_f64_e32 v[10:11], v[68:69], v[10:11]
	ds_load_b128 v[66:69], v22 offset:3840
	s_wait_dscnt 0x0
	v_mul_f64_e32 v[70:71], v[6:7], v[68:69]
	v_mul_f64_e32 v[72:73], v[4:5], v[68:69]
	s_delay_alu instid0(VALU_DEP_2) | instskip(NEXT) | instid1(VALU_DEP_2)
	v_fma_f64 v[70:71], v[4:5], v[66:67], -v[70:71]
	v_fmac_f64_e32 v[72:73], v[6:7], v[66:67]
	s_delay_alu instid0(VALU_DEP_2) | instskip(NEXT) | instid1(VALU_DEP_2)
	v_add_f64_e32 v[4:5], v[74:75], v[70:71]
	v_add_f64_e32 v[6:7], v[72:73], v[76:77]
	ds_load_b128 v[70:73], v78 offset:8304
	s_wait_dscnt 0x0
	v_mul_f64_e32 v[74:75], v[72:73], v[64:65]
	v_mul_f64_e32 v[64:65], v[70:71], v[64:65]
	s_delay_alu instid0(VALU_DEP_2) | instskip(NEXT) | instid1(VALU_DEP_2)
	v_fma_f64 v[74:75], v[70:71], v[62:63], -v[74:75]
	v_fmac_f64_e32 v[64:65], v[72:73], v[62:63]
	v_mul_f64_e32 v[62:63], v[72:73], v[68:69]
	s_delay_alu instid0(VALU_DEP_3) | instskip(NEXT) | instid1(VALU_DEP_3)
	v_add_f64_e32 v[16:17], v[16:17], v[74:75]
	v_add_f64_e32 v[18:19], v[64:65], v[18:19]
	v_mul_f64_e32 v[64:65], v[70:71], v[68:69]
	s_delay_alu instid0(VALU_DEP_4) | instskip(NEXT) | instid1(VALU_DEP_2)
	v_fma_f64 v[62:63], v[70:71], v[66:67], -v[62:63]
	v_fmac_f64_e32 v[64:65], v[72:73], v[66:67]
	s_delay_alu instid0(VALU_DEP_2) | instskip(NEXT) | instid1(VALU_DEP_2)
	v_add_f64_e32 v[12:13], v[12:13], v[62:63]
	v_add_f64_e32 v[14:15], v[64:65], v[14:15]
	ds_load_b128 v[62:65], v78 offset:128
	ds_load_b128 v[66:69], v22 offset:4096
	s_wait_dscnt 0x0
	v_mul_f64_e32 v[70:71], v[64:65], v[68:69]
	v_mul_f64_e32 v[72:73], v[62:63], v[68:69]
	s_delay_alu instid0(VALU_DEP_2) | instskip(NEXT) | instid1(VALU_DEP_2)
	v_fma_f64 v[70:71], v[62:63], v[66:67], -v[70:71]
	v_fmac_f64_e32 v[72:73], v[64:65], v[66:67]
	s_delay_alu instid0(VALU_DEP_2) | instskip(NEXT) | instid1(VALU_DEP_2)
	v_add_f64_e32 v[8:9], v[8:9], v[70:71]
	v_add_f64_e32 v[10:11], v[72:73], v[10:11]
	ds_load_b128 v[70:73], v22 offset:4352
	s_wait_dscnt 0x0
	v_mul_f64_e32 v[74:75], v[64:65], v[72:73]
	s_delay_alu instid0(VALU_DEP_1) | instskip(SKIP_1) | instid1(VALU_DEP_2)
	v_fma_f64 v[74:75], v[62:63], v[70:71], -v[74:75]
	v_mul_f64_e32 v[62:63], v[62:63], v[72:73]
	v_add_f64_e32 v[74:75], v[4:5], v[74:75]
	s_delay_alu instid0(VALU_DEP_2) | instskip(NEXT) | instid1(VALU_DEP_1)
	v_fmac_f64_e32 v[62:63], v[64:65], v[70:71]
	v_add_f64_e32 v[76:77], v[62:63], v[6:7]
	ds_load_b128 v[4:7], v78 offset:8320
	s_wait_dscnt 0x0
	v_mul_f64_e32 v[62:63], v[6:7], v[68:69]
	v_mul_f64_e32 v[64:65], v[4:5], v[68:69]
	s_delay_alu instid0(VALU_DEP_2) | instskip(NEXT) | instid1(VALU_DEP_2)
	v_fma_f64 v[62:63], v[4:5], v[66:67], -v[62:63]
	v_fmac_f64_e32 v[64:65], v[6:7], v[66:67]
	s_delay_alu instid0(VALU_DEP_2) | instskip(SKIP_1) | instid1(VALU_DEP_3)
	v_add_f64_e32 v[16:17], v[16:17], v[62:63]
	v_mul_f64_e32 v[62:63], v[6:7], v[72:73]
	v_add_f64_e32 v[18:19], v[64:65], v[18:19]
	s_delay_alu instid0(VALU_DEP_2) | instskip(SKIP_1) | instid1(VALU_DEP_2)
	v_fma_f64 v[62:63], v[4:5], v[70:71], -v[62:63]
	v_mul_f64_e32 v[4:5], v[4:5], v[72:73]
	v_add_f64_e32 v[12:13], v[12:13], v[62:63]
	s_delay_alu instid0(VALU_DEP_2) | instskip(NEXT) | instid1(VALU_DEP_1)
	v_fmac_f64_e32 v[4:5], v[6:7], v[70:71]
	v_add_f64_e32 v[14:15], v[4:5], v[14:15]
	ds_load_b128 v[4:7], v78 offset:144
	ds_load_b128 v[62:65], v22 offset:4608
	s_wait_dscnt 0x0
	v_mul_f64_e32 v[66:67], v[6:7], v[64:65]
	v_mul_f64_e32 v[68:69], v[4:5], v[64:65]
	s_delay_alu instid0(VALU_DEP_2) | instskip(NEXT) | instid1(VALU_DEP_2)
	v_fma_f64 v[66:67], v[4:5], v[62:63], -v[66:67]
	v_fmac_f64_e32 v[68:69], v[6:7], v[62:63]
	s_delay_alu instid0(VALU_DEP_2) | instskip(NEXT) | instid1(VALU_DEP_2)
	v_add_f64_e32 v[8:9], v[8:9], v[66:67]
	v_add_f64_e32 v[10:11], v[68:69], v[10:11]
	ds_load_b128 v[66:69], v22 offset:4864
	s_wait_dscnt 0x0
	v_mul_f64_e32 v[70:71], v[6:7], v[68:69]
	v_mul_f64_e32 v[72:73], v[4:5], v[68:69]
	s_delay_alu instid0(VALU_DEP_2) | instskip(NEXT) | instid1(VALU_DEP_2)
	v_fma_f64 v[70:71], v[4:5], v[66:67], -v[70:71]
	v_fmac_f64_e32 v[72:73], v[6:7], v[66:67]
	s_delay_alu instid0(VALU_DEP_2) | instskip(NEXT) | instid1(VALU_DEP_2)
	v_add_f64_e32 v[4:5], v[74:75], v[70:71]
	v_add_f64_e32 v[6:7], v[72:73], v[76:77]
	ds_load_b128 v[70:73], v78 offset:8336
	s_wait_dscnt 0x0
	v_mul_f64_e32 v[74:75], v[72:73], v[64:65]
	v_mul_f64_e32 v[64:65], v[70:71], v[64:65]
	s_delay_alu instid0(VALU_DEP_2) | instskip(NEXT) | instid1(VALU_DEP_2)
	v_fma_f64 v[74:75], v[70:71], v[62:63], -v[74:75]
	v_fmac_f64_e32 v[64:65], v[72:73], v[62:63]
	v_mul_f64_e32 v[62:63], v[72:73], v[68:69]
	s_delay_alu instid0(VALU_DEP_3) | instskip(NEXT) | instid1(VALU_DEP_3)
	v_add_f64_e32 v[16:17], v[16:17], v[74:75]
	v_add_f64_e32 v[18:19], v[64:65], v[18:19]
	v_mul_f64_e32 v[64:65], v[70:71], v[68:69]
	s_delay_alu instid0(VALU_DEP_4) | instskip(NEXT) | instid1(VALU_DEP_2)
	v_fma_f64 v[62:63], v[70:71], v[66:67], -v[62:63]
	v_fmac_f64_e32 v[64:65], v[72:73], v[66:67]
	s_delay_alu instid0(VALU_DEP_2) | instskip(NEXT) | instid1(VALU_DEP_2)
	v_add_f64_e32 v[12:13], v[12:13], v[62:63]
	v_add_f64_e32 v[14:15], v[64:65], v[14:15]
	ds_load_b128 v[62:65], v78 offset:160
	ds_load_b128 v[66:69], v22 offset:5120
	s_wait_dscnt 0x0
	v_mul_f64_e32 v[70:71], v[64:65], v[68:69]
	v_mul_f64_e32 v[72:73], v[62:63], v[68:69]
	s_delay_alu instid0(VALU_DEP_2) | instskip(NEXT) | instid1(VALU_DEP_2)
	v_fma_f64 v[70:71], v[62:63], v[66:67], -v[70:71]
	v_fmac_f64_e32 v[72:73], v[64:65], v[66:67]
	s_delay_alu instid0(VALU_DEP_2) | instskip(NEXT) | instid1(VALU_DEP_2)
	v_add_f64_e32 v[8:9], v[8:9], v[70:71]
	v_add_f64_e32 v[10:11], v[72:73], v[10:11]
	ds_load_b128 v[70:73], v22 offset:5376
	s_wait_dscnt 0x0
	v_mul_f64_e32 v[74:75], v[64:65], v[72:73]
	s_delay_alu instid0(VALU_DEP_1) | instskip(SKIP_1) | instid1(VALU_DEP_2)
	v_fma_f64 v[74:75], v[62:63], v[70:71], -v[74:75]
	v_mul_f64_e32 v[62:63], v[62:63], v[72:73]
	v_add_f64_e32 v[74:75], v[4:5], v[74:75]
	s_delay_alu instid0(VALU_DEP_2) | instskip(NEXT) | instid1(VALU_DEP_1)
	v_fmac_f64_e32 v[62:63], v[64:65], v[70:71]
	v_add_f64_e32 v[76:77], v[62:63], v[6:7]
	ds_load_b128 v[4:7], v78 offset:8352
	s_wait_dscnt 0x0
	v_mul_f64_e32 v[62:63], v[6:7], v[68:69]
	v_mul_f64_e32 v[64:65], v[4:5], v[68:69]
	s_delay_alu instid0(VALU_DEP_2) | instskip(NEXT) | instid1(VALU_DEP_2)
	v_fma_f64 v[62:63], v[4:5], v[66:67], -v[62:63]
	v_fmac_f64_e32 v[64:65], v[6:7], v[66:67]
	s_delay_alu instid0(VALU_DEP_2) | instskip(SKIP_1) | instid1(VALU_DEP_3)
	v_add_f64_e32 v[16:17], v[16:17], v[62:63]
	v_mul_f64_e32 v[62:63], v[6:7], v[72:73]
	v_add_f64_e32 v[18:19], v[64:65], v[18:19]
	s_delay_alu instid0(VALU_DEP_2) | instskip(SKIP_1) | instid1(VALU_DEP_2)
	v_fma_f64 v[62:63], v[4:5], v[70:71], -v[62:63]
	v_mul_f64_e32 v[4:5], v[4:5], v[72:73]
	v_add_f64_e32 v[12:13], v[12:13], v[62:63]
	s_delay_alu instid0(VALU_DEP_2) | instskip(NEXT) | instid1(VALU_DEP_1)
	v_fmac_f64_e32 v[4:5], v[6:7], v[70:71]
	v_add_f64_e32 v[14:15], v[4:5], v[14:15]
	ds_load_b128 v[4:7], v78 offset:176
	ds_load_b128 v[62:65], v22 offset:5632
	s_wait_dscnt 0x0
	v_mul_f64_e32 v[66:67], v[6:7], v[64:65]
	v_mul_f64_e32 v[68:69], v[4:5], v[64:65]
	s_delay_alu instid0(VALU_DEP_2) | instskip(NEXT) | instid1(VALU_DEP_2)
	v_fma_f64 v[66:67], v[4:5], v[62:63], -v[66:67]
	v_fmac_f64_e32 v[68:69], v[6:7], v[62:63]
	s_delay_alu instid0(VALU_DEP_2) | instskip(NEXT) | instid1(VALU_DEP_2)
	v_add_f64_e32 v[8:9], v[8:9], v[66:67]
	v_add_f64_e32 v[10:11], v[68:69], v[10:11]
	ds_load_b128 v[66:69], v22 offset:5888
	s_wait_dscnt 0x0
	v_mul_f64_e32 v[70:71], v[6:7], v[68:69]
	v_mul_f64_e32 v[72:73], v[4:5], v[68:69]
	s_delay_alu instid0(VALU_DEP_2) | instskip(NEXT) | instid1(VALU_DEP_2)
	v_fma_f64 v[70:71], v[4:5], v[66:67], -v[70:71]
	v_fmac_f64_e32 v[72:73], v[6:7], v[66:67]
	s_delay_alu instid0(VALU_DEP_2) | instskip(NEXT) | instid1(VALU_DEP_2)
	v_add_f64_e32 v[4:5], v[74:75], v[70:71]
	v_add_f64_e32 v[6:7], v[72:73], v[76:77]
	ds_load_b128 v[70:73], v78 offset:8368
	s_wait_dscnt 0x0
	v_mul_f64_e32 v[74:75], v[72:73], v[64:65]
	v_mul_f64_e32 v[64:65], v[70:71], v[64:65]
	s_delay_alu instid0(VALU_DEP_2) | instskip(NEXT) | instid1(VALU_DEP_2)
	v_fma_f64 v[74:75], v[70:71], v[62:63], -v[74:75]
	v_fmac_f64_e32 v[64:65], v[72:73], v[62:63]
	v_mul_f64_e32 v[62:63], v[72:73], v[68:69]
	s_delay_alu instid0(VALU_DEP_3) | instskip(NEXT) | instid1(VALU_DEP_3)
	v_add_f64_e32 v[16:17], v[16:17], v[74:75]
	v_add_f64_e32 v[18:19], v[64:65], v[18:19]
	v_mul_f64_e32 v[64:65], v[70:71], v[68:69]
	s_delay_alu instid0(VALU_DEP_4) | instskip(NEXT) | instid1(VALU_DEP_2)
	v_fma_f64 v[62:63], v[70:71], v[66:67], -v[62:63]
	v_fmac_f64_e32 v[64:65], v[72:73], v[66:67]
	s_delay_alu instid0(VALU_DEP_2) | instskip(NEXT) | instid1(VALU_DEP_2)
	v_add_f64_e32 v[12:13], v[12:13], v[62:63]
	v_add_f64_e32 v[14:15], v[64:65], v[14:15]
	ds_load_b128 v[62:65], v78 offset:192
	ds_load_b128 v[66:69], v22 offset:6144
	s_wait_dscnt 0x0
	v_mul_f64_e32 v[70:71], v[64:65], v[68:69]
	v_mul_f64_e32 v[72:73], v[62:63], v[68:69]
	s_delay_alu instid0(VALU_DEP_2) | instskip(NEXT) | instid1(VALU_DEP_2)
	v_fma_f64 v[70:71], v[62:63], v[66:67], -v[70:71]
	v_fmac_f64_e32 v[72:73], v[64:65], v[66:67]
	s_delay_alu instid0(VALU_DEP_2) | instskip(NEXT) | instid1(VALU_DEP_2)
	v_add_f64_e32 v[8:9], v[8:9], v[70:71]
	v_add_f64_e32 v[10:11], v[72:73], v[10:11]
	ds_load_b128 v[70:73], v22 offset:6400
	s_wait_dscnt 0x0
	v_mul_f64_e32 v[74:75], v[64:65], v[72:73]
	s_delay_alu instid0(VALU_DEP_1) | instskip(SKIP_1) | instid1(VALU_DEP_2)
	v_fma_f64 v[74:75], v[62:63], v[70:71], -v[74:75]
	v_mul_f64_e32 v[62:63], v[62:63], v[72:73]
	v_add_f64_e32 v[74:75], v[4:5], v[74:75]
	s_delay_alu instid0(VALU_DEP_2) | instskip(NEXT) | instid1(VALU_DEP_1)
	v_fmac_f64_e32 v[62:63], v[64:65], v[70:71]
	v_add_f64_e32 v[76:77], v[62:63], v[6:7]
	ds_load_b128 v[4:7], v78 offset:8384
	s_wait_dscnt 0x0
	v_mul_f64_e32 v[62:63], v[6:7], v[68:69]
	v_mul_f64_e32 v[64:65], v[4:5], v[68:69]
	s_delay_alu instid0(VALU_DEP_2) | instskip(NEXT) | instid1(VALU_DEP_2)
	v_fma_f64 v[62:63], v[4:5], v[66:67], -v[62:63]
	v_fmac_f64_e32 v[64:65], v[6:7], v[66:67]
	s_delay_alu instid0(VALU_DEP_2) | instskip(SKIP_1) | instid1(VALU_DEP_3)
	v_add_f64_e32 v[16:17], v[16:17], v[62:63]
	v_mul_f64_e32 v[62:63], v[6:7], v[72:73]
	v_add_f64_e32 v[18:19], v[64:65], v[18:19]
	s_delay_alu instid0(VALU_DEP_2) | instskip(SKIP_1) | instid1(VALU_DEP_2)
	v_fma_f64 v[62:63], v[4:5], v[70:71], -v[62:63]
	v_mul_f64_e32 v[4:5], v[4:5], v[72:73]
	v_add_f64_e32 v[12:13], v[12:13], v[62:63]
	s_delay_alu instid0(VALU_DEP_2) | instskip(NEXT) | instid1(VALU_DEP_1)
	v_fmac_f64_e32 v[4:5], v[6:7], v[70:71]
	v_add_f64_e32 v[14:15], v[4:5], v[14:15]
	ds_load_b128 v[4:7], v78 offset:208
	ds_load_b128 v[62:65], v22 offset:6656
	s_wait_dscnt 0x0
	v_mul_f64_e32 v[66:67], v[6:7], v[64:65]
	v_mul_f64_e32 v[68:69], v[4:5], v[64:65]
	s_delay_alu instid0(VALU_DEP_2) | instskip(NEXT) | instid1(VALU_DEP_2)
	v_fma_f64 v[66:67], v[4:5], v[62:63], -v[66:67]
	v_fmac_f64_e32 v[68:69], v[6:7], v[62:63]
	s_delay_alu instid0(VALU_DEP_2) | instskip(NEXT) | instid1(VALU_DEP_2)
	v_add_f64_e32 v[8:9], v[8:9], v[66:67]
	v_add_f64_e32 v[10:11], v[68:69], v[10:11]
	ds_load_b128 v[66:69], v22 offset:6912
	s_wait_dscnt 0x0
	v_mul_f64_e32 v[70:71], v[6:7], v[68:69]
	v_mul_f64_e32 v[72:73], v[4:5], v[68:69]
	s_delay_alu instid0(VALU_DEP_2) | instskip(NEXT) | instid1(VALU_DEP_2)
	v_fma_f64 v[70:71], v[4:5], v[66:67], -v[70:71]
	v_fmac_f64_e32 v[72:73], v[6:7], v[66:67]
	s_delay_alu instid0(VALU_DEP_2) | instskip(NEXT) | instid1(VALU_DEP_2)
	v_add_f64_e32 v[4:5], v[74:75], v[70:71]
	v_add_f64_e32 v[6:7], v[72:73], v[76:77]
	ds_load_b128 v[70:73], v78 offset:8400
	s_wait_dscnt 0x0
	v_mul_f64_e32 v[74:75], v[72:73], v[64:65]
	v_mul_f64_e32 v[64:65], v[70:71], v[64:65]
	s_delay_alu instid0(VALU_DEP_2) | instskip(NEXT) | instid1(VALU_DEP_2)
	v_fma_f64 v[74:75], v[70:71], v[62:63], -v[74:75]
	v_fmac_f64_e32 v[64:65], v[72:73], v[62:63]
	v_mul_f64_e32 v[62:63], v[72:73], v[68:69]
	s_delay_alu instid0(VALU_DEP_3) | instskip(NEXT) | instid1(VALU_DEP_3)
	v_add_f64_e32 v[16:17], v[16:17], v[74:75]
	v_add_f64_e32 v[18:19], v[64:65], v[18:19]
	v_mul_f64_e32 v[64:65], v[70:71], v[68:69]
	s_delay_alu instid0(VALU_DEP_4) | instskip(NEXT) | instid1(VALU_DEP_2)
	v_fma_f64 v[62:63], v[70:71], v[66:67], -v[62:63]
	v_fmac_f64_e32 v[64:65], v[72:73], v[66:67]
	s_delay_alu instid0(VALU_DEP_2) | instskip(NEXT) | instid1(VALU_DEP_2)
	v_add_f64_e32 v[12:13], v[12:13], v[62:63]
	v_add_f64_e32 v[14:15], v[64:65], v[14:15]
	ds_load_b128 v[62:65], v78 offset:224
	ds_load_b128 v[66:69], v22 offset:7168
	s_wait_dscnt 0x0
	v_mul_f64_e32 v[70:71], v[64:65], v[68:69]
	v_mul_f64_e32 v[72:73], v[62:63], v[68:69]
	s_delay_alu instid0(VALU_DEP_2) | instskip(NEXT) | instid1(VALU_DEP_2)
	v_fma_f64 v[70:71], v[62:63], v[66:67], -v[70:71]
	v_fmac_f64_e32 v[72:73], v[64:65], v[66:67]
	s_delay_alu instid0(VALU_DEP_2) | instskip(NEXT) | instid1(VALU_DEP_2)
	v_add_f64_e32 v[8:9], v[8:9], v[70:71]
	v_add_f64_e32 v[10:11], v[72:73], v[10:11]
	ds_load_b128 v[70:73], v22 offset:7424
	s_wait_dscnt 0x0
	v_mul_f64_e32 v[74:75], v[64:65], v[72:73]
	s_delay_alu instid0(VALU_DEP_1) | instskip(SKIP_1) | instid1(VALU_DEP_2)
	v_fma_f64 v[74:75], v[62:63], v[70:71], -v[74:75]
	v_mul_f64_e32 v[62:63], v[62:63], v[72:73]
	v_add_f64_e32 v[74:75], v[4:5], v[74:75]
	s_delay_alu instid0(VALU_DEP_2) | instskip(NEXT) | instid1(VALU_DEP_1)
	v_fmac_f64_e32 v[62:63], v[64:65], v[70:71]
	v_add_f64_e32 v[76:77], v[62:63], v[6:7]
	ds_load_b128 v[4:7], v78 offset:8416
	s_wait_dscnt 0x0
	v_mul_f64_e32 v[62:63], v[6:7], v[68:69]
	v_mul_f64_e32 v[64:65], v[4:5], v[68:69]
	s_delay_alu instid0(VALU_DEP_2) | instskip(NEXT) | instid1(VALU_DEP_2)
	v_fma_f64 v[62:63], v[4:5], v[66:67], -v[62:63]
	v_fmac_f64_e32 v[64:65], v[6:7], v[66:67]
	s_delay_alu instid0(VALU_DEP_2) | instskip(SKIP_1) | instid1(VALU_DEP_3)
	v_add_f64_e32 v[16:17], v[16:17], v[62:63]
	v_mul_f64_e32 v[62:63], v[6:7], v[72:73]
	v_add_f64_e32 v[18:19], v[64:65], v[18:19]
	s_delay_alu instid0(VALU_DEP_2) | instskip(SKIP_1) | instid1(VALU_DEP_2)
	v_fma_f64 v[62:63], v[4:5], v[70:71], -v[62:63]
	v_mul_f64_e32 v[4:5], v[4:5], v[72:73]
	v_add_f64_e32 v[12:13], v[12:13], v[62:63]
	s_delay_alu instid0(VALU_DEP_2) | instskip(NEXT) | instid1(VALU_DEP_1)
	v_fmac_f64_e32 v[4:5], v[6:7], v[70:71]
	v_add_f64_e32 v[14:15], v[4:5], v[14:15]
	ds_load_b128 v[4:7], v78 offset:240
	ds_load_b128 v[62:65], v22 offset:7680
	s_wait_dscnt 0x0
	v_mul_f64_e32 v[66:67], v[6:7], v[64:65]
	v_mul_f64_e32 v[68:69], v[4:5], v[64:65]
	s_delay_alu instid0(VALU_DEP_2) | instskip(NEXT) | instid1(VALU_DEP_2)
	v_fma_f64 v[66:67], v[4:5], v[62:63], -v[66:67]
	v_fmac_f64_e32 v[68:69], v[6:7], v[62:63]
	s_delay_alu instid0(VALU_DEP_2) | instskip(NEXT) | instid1(VALU_DEP_2)
	v_add_f64_e32 v[8:9], v[8:9], v[66:67]
	v_add_f64_e32 v[10:11], v[68:69], v[10:11]
	ds_load_b128 v[66:69], v22 offset:7936
	s_wait_dscnt 0x0
	v_mul_f64_e32 v[70:71], v[6:7], v[68:69]
	v_mul_f64_e32 v[72:73], v[4:5], v[68:69]
	s_delay_alu instid0(VALU_DEP_2) | instskip(NEXT) | instid1(VALU_DEP_2)
	v_fma_f64 v[70:71], v[4:5], v[66:67], -v[70:71]
	v_fmac_f64_e32 v[72:73], v[6:7], v[66:67]
	s_delay_alu instid0(VALU_DEP_2) | instskip(NEXT) | instid1(VALU_DEP_2)
	v_add_f64_e32 v[4:5], v[74:75], v[70:71]
	v_add_f64_e32 v[6:7], v[72:73], v[76:77]
	ds_load_b128 v[70:73], v78 offset:8432
	s_wait_dscnt 0x0
	v_mul_f64_e32 v[74:75], v[72:73], v[64:65]
	v_mul_f64_e32 v[64:65], v[70:71], v[64:65]
	s_delay_alu instid0(VALU_DEP_2) | instskip(NEXT) | instid1(VALU_DEP_2)
	v_fma_f64 v[74:75], v[70:71], v[62:63], -v[74:75]
	v_fmac_f64_e32 v[64:65], v[72:73], v[62:63]
	v_mul_f64_e32 v[62:63], v[72:73], v[68:69]
	s_delay_alu instid0(VALU_DEP_3) | instskip(NEXT) | instid1(VALU_DEP_3)
	v_add_f64_e32 v[16:17], v[16:17], v[74:75]
	v_add_f64_e32 v[18:19], v[64:65], v[18:19]
	v_mul_f64_e32 v[64:65], v[70:71], v[68:69]
	s_delay_alu instid0(VALU_DEP_4) | instskip(NEXT) | instid1(VALU_DEP_2)
	v_fma_f64 v[62:63], v[70:71], v[66:67], -v[62:63]
	v_fmac_f64_e32 v[64:65], v[72:73], v[66:67]
	s_delay_alu instid0(VALU_DEP_2) | instskip(NEXT) | instid1(VALU_DEP_2)
	v_add_f64_e32 v[12:13], v[12:13], v[62:63]
	v_add_f64_e32 v[14:15], v[64:65], v[14:15]
	ds_load_b128 v[62:65], v78 offset:256
	ds_load_b128 v[66:69], v22 offset:8192
	s_wait_dscnt 0x0
	v_mul_f64_e32 v[70:71], v[64:65], v[68:69]
	v_mul_f64_e32 v[72:73], v[62:63], v[68:69]
	s_delay_alu instid0(VALU_DEP_2) | instskip(NEXT) | instid1(VALU_DEP_2)
	v_fma_f64 v[70:71], v[62:63], v[66:67], -v[70:71]
	v_fmac_f64_e32 v[72:73], v[64:65], v[66:67]
	s_delay_alu instid0(VALU_DEP_2) | instskip(NEXT) | instid1(VALU_DEP_2)
	v_add_f64_e32 v[8:9], v[8:9], v[70:71]
	v_add_f64_e32 v[10:11], v[72:73], v[10:11]
	ds_load_b128 v[70:73], v22 offset:8448
	s_wait_dscnt 0x0
	v_mul_f64_e32 v[74:75], v[64:65], v[72:73]
	s_delay_alu instid0(VALU_DEP_1) | instskip(SKIP_1) | instid1(VALU_DEP_2)
	v_fma_f64 v[74:75], v[62:63], v[70:71], -v[74:75]
	v_mul_f64_e32 v[62:63], v[62:63], v[72:73]
	v_add_f64_e32 v[74:75], v[4:5], v[74:75]
	s_delay_alu instid0(VALU_DEP_2) | instskip(NEXT) | instid1(VALU_DEP_1)
	v_fmac_f64_e32 v[62:63], v[64:65], v[70:71]
	v_add_f64_e32 v[76:77], v[62:63], v[6:7]
	ds_load_b128 v[4:7], v78 offset:8448
	s_wait_dscnt 0x0
	v_mul_f64_e32 v[62:63], v[6:7], v[68:69]
	v_mul_f64_e32 v[64:65], v[4:5], v[68:69]
	s_delay_alu instid0(VALU_DEP_2) | instskip(NEXT) | instid1(VALU_DEP_2)
	v_fma_f64 v[62:63], v[4:5], v[66:67], -v[62:63]
	v_fmac_f64_e32 v[64:65], v[6:7], v[66:67]
	s_delay_alu instid0(VALU_DEP_2) | instskip(SKIP_1) | instid1(VALU_DEP_3)
	v_add_f64_e32 v[16:17], v[16:17], v[62:63]
	v_mul_f64_e32 v[62:63], v[6:7], v[72:73]
	v_add_f64_e32 v[18:19], v[64:65], v[18:19]
	s_delay_alu instid0(VALU_DEP_2) | instskip(SKIP_1) | instid1(VALU_DEP_2)
	v_fma_f64 v[62:63], v[4:5], v[70:71], -v[62:63]
	v_mul_f64_e32 v[4:5], v[4:5], v[72:73]
	v_add_f64_e32 v[12:13], v[12:13], v[62:63]
	s_delay_alu instid0(VALU_DEP_2) | instskip(NEXT) | instid1(VALU_DEP_1)
	v_fmac_f64_e32 v[4:5], v[6:7], v[70:71]
	v_add_f64_e32 v[14:15], v[4:5], v[14:15]
	ds_load_b128 v[4:7], v78 offset:272
	ds_load_b128 v[62:65], v22 offset:8704
	s_wait_dscnt 0x0
	v_mul_f64_e32 v[66:67], v[6:7], v[64:65]
	v_mul_f64_e32 v[68:69], v[4:5], v[64:65]
	s_delay_alu instid0(VALU_DEP_2) | instskip(NEXT) | instid1(VALU_DEP_2)
	v_fma_f64 v[66:67], v[4:5], v[62:63], -v[66:67]
	v_fmac_f64_e32 v[68:69], v[6:7], v[62:63]
	s_delay_alu instid0(VALU_DEP_2) | instskip(NEXT) | instid1(VALU_DEP_2)
	v_add_f64_e32 v[8:9], v[8:9], v[66:67]
	v_add_f64_e32 v[10:11], v[68:69], v[10:11]
	ds_load_b128 v[66:69], v22 offset:8960
	s_wait_dscnt 0x0
	v_mul_f64_e32 v[70:71], v[6:7], v[68:69]
	v_mul_f64_e32 v[72:73], v[4:5], v[68:69]
	s_delay_alu instid0(VALU_DEP_2) | instskip(NEXT) | instid1(VALU_DEP_2)
	v_fma_f64 v[70:71], v[4:5], v[66:67], -v[70:71]
	v_fmac_f64_e32 v[72:73], v[6:7], v[66:67]
	s_delay_alu instid0(VALU_DEP_2) | instskip(NEXT) | instid1(VALU_DEP_2)
	v_add_f64_e32 v[4:5], v[74:75], v[70:71]
	v_add_f64_e32 v[6:7], v[72:73], v[76:77]
	ds_load_b128 v[70:73], v78 offset:8464
	s_wait_dscnt 0x0
	v_mul_f64_e32 v[74:75], v[72:73], v[64:65]
	v_mul_f64_e32 v[64:65], v[70:71], v[64:65]
	s_delay_alu instid0(VALU_DEP_2) | instskip(NEXT) | instid1(VALU_DEP_2)
	v_fma_f64 v[74:75], v[70:71], v[62:63], -v[74:75]
	v_fmac_f64_e32 v[64:65], v[72:73], v[62:63]
	v_mul_f64_e32 v[62:63], v[72:73], v[68:69]
	s_delay_alu instid0(VALU_DEP_3) | instskip(NEXT) | instid1(VALU_DEP_3)
	v_add_f64_e32 v[16:17], v[16:17], v[74:75]
	v_add_f64_e32 v[18:19], v[64:65], v[18:19]
	v_mul_f64_e32 v[64:65], v[70:71], v[68:69]
	s_delay_alu instid0(VALU_DEP_4) | instskip(NEXT) | instid1(VALU_DEP_2)
	v_fma_f64 v[62:63], v[70:71], v[66:67], -v[62:63]
	v_fmac_f64_e32 v[64:65], v[72:73], v[66:67]
	s_delay_alu instid0(VALU_DEP_2) | instskip(NEXT) | instid1(VALU_DEP_2)
	v_add_f64_e32 v[12:13], v[12:13], v[62:63]
	v_add_f64_e32 v[14:15], v[64:65], v[14:15]
	ds_load_b128 v[62:65], v78 offset:288
	ds_load_b128 v[66:69], v22 offset:9216
	s_wait_dscnt 0x0
	v_mul_f64_e32 v[70:71], v[64:65], v[68:69]
	v_mul_f64_e32 v[72:73], v[62:63], v[68:69]
	s_delay_alu instid0(VALU_DEP_2) | instskip(NEXT) | instid1(VALU_DEP_2)
	v_fma_f64 v[70:71], v[62:63], v[66:67], -v[70:71]
	v_fmac_f64_e32 v[72:73], v[64:65], v[66:67]
	s_delay_alu instid0(VALU_DEP_2) | instskip(NEXT) | instid1(VALU_DEP_2)
	v_add_f64_e32 v[8:9], v[8:9], v[70:71]
	v_add_f64_e32 v[10:11], v[72:73], v[10:11]
	ds_load_b128 v[70:73], v22 offset:9472
	s_wait_dscnt 0x0
	v_mul_f64_e32 v[74:75], v[64:65], v[72:73]
	s_delay_alu instid0(VALU_DEP_1) | instskip(SKIP_1) | instid1(VALU_DEP_2)
	v_fma_f64 v[74:75], v[62:63], v[70:71], -v[74:75]
	v_mul_f64_e32 v[62:63], v[62:63], v[72:73]
	v_add_f64_e32 v[74:75], v[4:5], v[74:75]
	s_delay_alu instid0(VALU_DEP_2) | instskip(NEXT) | instid1(VALU_DEP_1)
	v_fmac_f64_e32 v[62:63], v[64:65], v[70:71]
	v_add_f64_e32 v[76:77], v[62:63], v[6:7]
	ds_load_b128 v[4:7], v78 offset:8480
	s_wait_dscnt 0x0
	v_mul_f64_e32 v[62:63], v[6:7], v[68:69]
	v_mul_f64_e32 v[64:65], v[4:5], v[68:69]
	s_delay_alu instid0(VALU_DEP_2) | instskip(NEXT) | instid1(VALU_DEP_2)
	v_fma_f64 v[62:63], v[4:5], v[66:67], -v[62:63]
	v_fmac_f64_e32 v[64:65], v[6:7], v[66:67]
	s_delay_alu instid0(VALU_DEP_2) | instskip(SKIP_1) | instid1(VALU_DEP_3)
	v_add_f64_e32 v[16:17], v[16:17], v[62:63]
	v_mul_f64_e32 v[62:63], v[6:7], v[72:73]
	v_add_f64_e32 v[18:19], v[64:65], v[18:19]
	s_delay_alu instid0(VALU_DEP_2) | instskip(SKIP_1) | instid1(VALU_DEP_2)
	v_fma_f64 v[62:63], v[4:5], v[70:71], -v[62:63]
	v_mul_f64_e32 v[4:5], v[4:5], v[72:73]
	v_add_f64_e32 v[12:13], v[12:13], v[62:63]
	s_delay_alu instid0(VALU_DEP_2) | instskip(NEXT) | instid1(VALU_DEP_1)
	v_fmac_f64_e32 v[4:5], v[6:7], v[70:71]
	v_add_f64_e32 v[14:15], v[4:5], v[14:15]
	ds_load_b128 v[4:7], v78 offset:304
	ds_load_b128 v[62:65], v22 offset:9728
	s_wait_dscnt 0x0
	v_mul_f64_e32 v[66:67], v[6:7], v[64:65]
	v_mul_f64_e32 v[68:69], v[4:5], v[64:65]
	s_delay_alu instid0(VALU_DEP_2) | instskip(NEXT) | instid1(VALU_DEP_2)
	v_fma_f64 v[66:67], v[4:5], v[62:63], -v[66:67]
	v_fmac_f64_e32 v[68:69], v[6:7], v[62:63]
	s_delay_alu instid0(VALU_DEP_2) | instskip(NEXT) | instid1(VALU_DEP_2)
	v_add_f64_e32 v[8:9], v[8:9], v[66:67]
	v_add_f64_e32 v[10:11], v[68:69], v[10:11]
	ds_load_b128 v[66:69], v22 offset:9984
	s_wait_dscnt 0x0
	v_mul_f64_e32 v[70:71], v[6:7], v[68:69]
	v_mul_f64_e32 v[72:73], v[4:5], v[68:69]
	s_delay_alu instid0(VALU_DEP_2) | instskip(NEXT) | instid1(VALU_DEP_2)
	v_fma_f64 v[70:71], v[4:5], v[66:67], -v[70:71]
	v_fmac_f64_e32 v[72:73], v[6:7], v[66:67]
	s_delay_alu instid0(VALU_DEP_2) | instskip(NEXT) | instid1(VALU_DEP_2)
	v_add_f64_e32 v[4:5], v[74:75], v[70:71]
	v_add_f64_e32 v[6:7], v[72:73], v[76:77]
	ds_load_b128 v[70:73], v78 offset:8496
	s_wait_dscnt 0x0
	v_mul_f64_e32 v[74:75], v[72:73], v[64:65]
	v_mul_f64_e32 v[64:65], v[70:71], v[64:65]
	s_delay_alu instid0(VALU_DEP_2) | instskip(NEXT) | instid1(VALU_DEP_2)
	v_fma_f64 v[74:75], v[70:71], v[62:63], -v[74:75]
	v_fmac_f64_e32 v[64:65], v[72:73], v[62:63]
	v_mul_f64_e32 v[62:63], v[72:73], v[68:69]
	s_delay_alu instid0(VALU_DEP_3) | instskip(NEXT) | instid1(VALU_DEP_3)
	v_add_f64_e32 v[16:17], v[16:17], v[74:75]
	v_add_f64_e32 v[18:19], v[64:65], v[18:19]
	v_mul_f64_e32 v[64:65], v[70:71], v[68:69]
	s_delay_alu instid0(VALU_DEP_4) | instskip(NEXT) | instid1(VALU_DEP_2)
	v_fma_f64 v[62:63], v[70:71], v[66:67], -v[62:63]
	v_fmac_f64_e32 v[64:65], v[72:73], v[66:67]
	s_delay_alu instid0(VALU_DEP_2) | instskip(NEXT) | instid1(VALU_DEP_2)
	v_add_f64_e32 v[12:13], v[12:13], v[62:63]
	v_add_f64_e32 v[14:15], v[64:65], v[14:15]
	ds_load_b128 v[62:65], v78 offset:320
	ds_load_b128 v[66:69], v22 offset:10240
	s_wait_dscnt 0x0
	v_mul_f64_e32 v[70:71], v[64:65], v[68:69]
	v_mul_f64_e32 v[72:73], v[62:63], v[68:69]
	s_delay_alu instid0(VALU_DEP_2) | instskip(NEXT) | instid1(VALU_DEP_2)
	v_fma_f64 v[70:71], v[62:63], v[66:67], -v[70:71]
	v_fmac_f64_e32 v[72:73], v[64:65], v[66:67]
	s_delay_alu instid0(VALU_DEP_2) | instskip(NEXT) | instid1(VALU_DEP_2)
	v_add_f64_e32 v[8:9], v[8:9], v[70:71]
	v_add_f64_e32 v[10:11], v[72:73], v[10:11]
	ds_load_b128 v[70:73], v22 offset:10496
	s_wait_dscnt 0x0
	v_mul_f64_e32 v[74:75], v[64:65], v[72:73]
	s_delay_alu instid0(VALU_DEP_1) | instskip(SKIP_1) | instid1(VALU_DEP_2)
	v_fma_f64 v[74:75], v[62:63], v[70:71], -v[74:75]
	v_mul_f64_e32 v[62:63], v[62:63], v[72:73]
	v_add_f64_e32 v[74:75], v[4:5], v[74:75]
	s_delay_alu instid0(VALU_DEP_2) | instskip(NEXT) | instid1(VALU_DEP_1)
	v_fmac_f64_e32 v[62:63], v[64:65], v[70:71]
	v_add_f64_e32 v[76:77], v[62:63], v[6:7]
	ds_load_b128 v[4:7], v78 offset:8512
	s_wait_dscnt 0x0
	v_mul_f64_e32 v[62:63], v[6:7], v[68:69]
	v_mul_f64_e32 v[64:65], v[4:5], v[68:69]
	s_delay_alu instid0(VALU_DEP_2) | instskip(NEXT) | instid1(VALU_DEP_2)
	v_fma_f64 v[62:63], v[4:5], v[66:67], -v[62:63]
	v_fmac_f64_e32 v[64:65], v[6:7], v[66:67]
	s_delay_alu instid0(VALU_DEP_2) | instskip(SKIP_1) | instid1(VALU_DEP_3)
	v_add_f64_e32 v[16:17], v[16:17], v[62:63]
	v_mul_f64_e32 v[62:63], v[6:7], v[72:73]
	v_add_f64_e32 v[18:19], v[64:65], v[18:19]
	s_delay_alu instid0(VALU_DEP_2) | instskip(SKIP_1) | instid1(VALU_DEP_2)
	v_fma_f64 v[62:63], v[4:5], v[70:71], -v[62:63]
	v_mul_f64_e32 v[4:5], v[4:5], v[72:73]
	v_add_f64_e32 v[12:13], v[12:13], v[62:63]
	s_delay_alu instid0(VALU_DEP_2) | instskip(NEXT) | instid1(VALU_DEP_1)
	v_fmac_f64_e32 v[4:5], v[6:7], v[70:71]
	v_add_f64_e32 v[14:15], v[4:5], v[14:15]
	ds_load_b128 v[4:7], v78 offset:336
	ds_load_b128 v[62:65], v22 offset:10752
	s_wait_dscnt 0x0
	v_mul_f64_e32 v[66:67], v[6:7], v[64:65]
	v_mul_f64_e32 v[68:69], v[4:5], v[64:65]
	s_delay_alu instid0(VALU_DEP_2) | instskip(NEXT) | instid1(VALU_DEP_2)
	v_fma_f64 v[66:67], v[4:5], v[62:63], -v[66:67]
	v_fmac_f64_e32 v[68:69], v[6:7], v[62:63]
	s_delay_alu instid0(VALU_DEP_2) | instskip(NEXT) | instid1(VALU_DEP_2)
	v_add_f64_e32 v[8:9], v[8:9], v[66:67]
	v_add_f64_e32 v[10:11], v[68:69], v[10:11]
	ds_load_b128 v[66:69], v22 offset:11008
	s_wait_dscnt 0x0
	v_mul_f64_e32 v[70:71], v[6:7], v[68:69]
	v_mul_f64_e32 v[72:73], v[4:5], v[68:69]
	s_delay_alu instid0(VALU_DEP_2) | instskip(NEXT) | instid1(VALU_DEP_2)
	v_fma_f64 v[70:71], v[4:5], v[66:67], -v[70:71]
	v_fmac_f64_e32 v[72:73], v[6:7], v[66:67]
	s_delay_alu instid0(VALU_DEP_2) | instskip(NEXT) | instid1(VALU_DEP_2)
	v_add_f64_e32 v[4:5], v[74:75], v[70:71]
	v_add_f64_e32 v[6:7], v[72:73], v[76:77]
	ds_load_b128 v[70:73], v78 offset:8528
	s_wait_dscnt 0x0
	v_mul_f64_e32 v[74:75], v[72:73], v[64:65]
	v_mul_f64_e32 v[64:65], v[70:71], v[64:65]
	s_delay_alu instid0(VALU_DEP_2) | instskip(NEXT) | instid1(VALU_DEP_2)
	v_fma_f64 v[74:75], v[70:71], v[62:63], -v[74:75]
	v_fmac_f64_e32 v[64:65], v[72:73], v[62:63]
	v_mul_f64_e32 v[62:63], v[72:73], v[68:69]
	s_delay_alu instid0(VALU_DEP_3) | instskip(NEXT) | instid1(VALU_DEP_3)
	v_add_f64_e32 v[16:17], v[16:17], v[74:75]
	v_add_f64_e32 v[18:19], v[64:65], v[18:19]
	v_mul_f64_e32 v[64:65], v[70:71], v[68:69]
	s_delay_alu instid0(VALU_DEP_4) | instskip(NEXT) | instid1(VALU_DEP_2)
	v_fma_f64 v[62:63], v[70:71], v[66:67], -v[62:63]
	v_fmac_f64_e32 v[64:65], v[72:73], v[66:67]
	s_delay_alu instid0(VALU_DEP_2) | instskip(NEXT) | instid1(VALU_DEP_2)
	v_add_f64_e32 v[12:13], v[12:13], v[62:63]
	v_add_f64_e32 v[14:15], v[64:65], v[14:15]
	ds_load_b128 v[62:65], v78 offset:352
	ds_load_b128 v[66:69], v22 offset:11264
	s_wait_dscnt 0x0
	v_mul_f64_e32 v[70:71], v[64:65], v[68:69]
	v_mul_f64_e32 v[72:73], v[62:63], v[68:69]
	s_delay_alu instid0(VALU_DEP_2) | instskip(NEXT) | instid1(VALU_DEP_2)
	v_fma_f64 v[70:71], v[62:63], v[66:67], -v[70:71]
	v_fmac_f64_e32 v[72:73], v[64:65], v[66:67]
	s_delay_alu instid0(VALU_DEP_2) | instskip(NEXT) | instid1(VALU_DEP_2)
	v_add_f64_e32 v[8:9], v[8:9], v[70:71]
	v_add_f64_e32 v[10:11], v[72:73], v[10:11]
	ds_load_b128 v[70:73], v22 offset:11520
	s_wait_dscnt 0x0
	v_mul_f64_e32 v[74:75], v[64:65], v[72:73]
	s_delay_alu instid0(VALU_DEP_1) | instskip(SKIP_1) | instid1(VALU_DEP_2)
	v_fma_f64 v[74:75], v[62:63], v[70:71], -v[74:75]
	v_mul_f64_e32 v[62:63], v[62:63], v[72:73]
	v_add_f64_e32 v[74:75], v[4:5], v[74:75]
	s_delay_alu instid0(VALU_DEP_2) | instskip(NEXT) | instid1(VALU_DEP_1)
	v_fmac_f64_e32 v[62:63], v[64:65], v[70:71]
	v_add_f64_e32 v[76:77], v[62:63], v[6:7]
	ds_load_b128 v[4:7], v78 offset:8544
	s_wait_dscnt 0x0
	v_mul_f64_e32 v[62:63], v[6:7], v[68:69]
	v_mul_f64_e32 v[64:65], v[4:5], v[68:69]
	s_delay_alu instid0(VALU_DEP_2) | instskip(NEXT) | instid1(VALU_DEP_2)
	v_fma_f64 v[62:63], v[4:5], v[66:67], -v[62:63]
	v_fmac_f64_e32 v[64:65], v[6:7], v[66:67]
	s_delay_alu instid0(VALU_DEP_2) | instskip(SKIP_1) | instid1(VALU_DEP_3)
	v_add_f64_e32 v[16:17], v[16:17], v[62:63]
	v_mul_f64_e32 v[62:63], v[6:7], v[72:73]
	v_add_f64_e32 v[18:19], v[64:65], v[18:19]
	s_delay_alu instid0(VALU_DEP_2) | instskip(SKIP_1) | instid1(VALU_DEP_2)
	v_fma_f64 v[62:63], v[4:5], v[70:71], -v[62:63]
	v_mul_f64_e32 v[4:5], v[4:5], v[72:73]
	v_add_f64_e32 v[12:13], v[12:13], v[62:63]
	s_delay_alu instid0(VALU_DEP_2) | instskip(NEXT) | instid1(VALU_DEP_1)
	v_fmac_f64_e32 v[4:5], v[6:7], v[70:71]
	v_add_f64_e32 v[14:15], v[4:5], v[14:15]
	ds_load_b128 v[4:7], v78 offset:368
	ds_load_b128 v[62:65], v22 offset:11776
	s_wait_dscnt 0x0
	v_mul_f64_e32 v[66:67], v[6:7], v[64:65]
	v_mul_f64_e32 v[68:69], v[4:5], v[64:65]
	s_delay_alu instid0(VALU_DEP_2) | instskip(NEXT) | instid1(VALU_DEP_2)
	v_fma_f64 v[66:67], v[4:5], v[62:63], -v[66:67]
	v_fmac_f64_e32 v[68:69], v[6:7], v[62:63]
	s_delay_alu instid0(VALU_DEP_2) | instskip(NEXT) | instid1(VALU_DEP_2)
	v_add_f64_e32 v[8:9], v[8:9], v[66:67]
	v_add_f64_e32 v[10:11], v[68:69], v[10:11]
	ds_load_b128 v[66:69], v22 offset:12032
	s_wait_dscnt 0x0
	v_mul_f64_e32 v[70:71], v[6:7], v[68:69]
	v_mul_f64_e32 v[72:73], v[4:5], v[68:69]
	s_delay_alu instid0(VALU_DEP_2) | instskip(NEXT) | instid1(VALU_DEP_2)
	v_fma_f64 v[70:71], v[4:5], v[66:67], -v[70:71]
	v_fmac_f64_e32 v[72:73], v[6:7], v[66:67]
	s_delay_alu instid0(VALU_DEP_2) | instskip(NEXT) | instid1(VALU_DEP_2)
	v_add_f64_e32 v[4:5], v[74:75], v[70:71]
	v_add_f64_e32 v[6:7], v[72:73], v[76:77]
	ds_load_b128 v[70:73], v78 offset:8560
	s_wait_dscnt 0x0
	v_mul_f64_e32 v[74:75], v[72:73], v[64:65]
	v_mul_f64_e32 v[64:65], v[70:71], v[64:65]
	s_delay_alu instid0(VALU_DEP_2) | instskip(NEXT) | instid1(VALU_DEP_2)
	v_fma_f64 v[74:75], v[70:71], v[62:63], -v[74:75]
	v_fmac_f64_e32 v[64:65], v[72:73], v[62:63]
	v_mul_f64_e32 v[62:63], v[72:73], v[68:69]
	s_delay_alu instid0(VALU_DEP_3) | instskip(NEXT) | instid1(VALU_DEP_3)
	v_add_f64_e32 v[16:17], v[16:17], v[74:75]
	v_add_f64_e32 v[18:19], v[64:65], v[18:19]
	v_mul_f64_e32 v[64:65], v[70:71], v[68:69]
	s_delay_alu instid0(VALU_DEP_4) | instskip(NEXT) | instid1(VALU_DEP_2)
	v_fma_f64 v[62:63], v[70:71], v[66:67], -v[62:63]
	v_fmac_f64_e32 v[64:65], v[72:73], v[66:67]
	s_delay_alu instid0(VALU_DEP_2) | instskip(NEXT) | instid1(VALU_DEP_2)
	v_add_f64_e32 v[12:13], v[12:13], v[62:63]
	v_add_f64_e32 v[14:15], v[64:65], v[14:15]
	ds_load_b128 v[62:65], v78 offset:384
	ds_load_b128 v[66:69], v22 offset:12288
	s_wait_dscnt 0x0
	v_mul_f64_e32 v[70:71], v[64:65], v[68:69]
	v_mul_f64_e32 v[72:73], v[62:63], v[68:69]
	s_delay_alu instid0(VALU_DEP_2) | instskip(NEXT) | instid1(VALU_DEP_2)
	v_fma_f64 v[70:71], v[62:63], v[66:67], -v[70:71]
	v_fmac_f64_e32 v[72:73], v[64:65], v[66:67]
	s_delay_alu instid0(VALU_DEP_2) | instskip(NEXT) | instid1(VALU_DEP_2)
	v_add_f64_e32 v[8:9], v[8:9], v[70:71]
	v_add_f64_e32 v[10:11], v[72:73], v[10:11]
	ds_load_b128 v[70:73], v22 offset:12544
	s_wait_dscnt 0x0
	v_mul_f64_e32 v[74:75], v[64:65], v[72:73]
	s_delay_alu instid0(VALU_DEP_1) | instskip(SKIP_1) | instid1(VALU_DEP_2)
	v_fma_f64 v[74:75], v[62:63], v[70:71], -v[74:75]
	v_mul_f64_e32 v[62:63], v[62:63], v[72:73]
	v_add_f64_e32 v[74:75], v[4:5], v[74:75]
	s_delay_alu instid0(VALU_DEP_2) | instskip(NEXT) | instid1(VALU_DEP_1)
	v_fmac_f64_e32 v[62:63], v[64:65], v[70:71]
	v_add_f64_e32 v[76:77], v[62:63], v[6:7]
	ds_load_b128 v[4:7], v78 offset:8576
	s_wait_dscnt 0x0
	v_mul_f64_e32 v[62:63], v[6:7], v[68:69]
	v_mul_f64_e32 v[64:65], v[4:5], v[68:69]
	s_delay_alu instid0(VALU_DEP_2) | instskip(NEXT) | instid1(VALU_DEP_2)
	v_fma_f64 v[62:63], v[4:5], v[66:67], -v[62:63]
	v_fmac_f64_e32 v[64:65], v[6:7], v[66:67]
	s_delay_alu instid0(VALU_DEP_2) | instskip(SKIP_1) | instid1(VALU_DEP_3)
	v_add_f64_e32 v[16:17], v[16:17], v[62:63]
	v_mul_f64_e32 v[62:63], v[6:7], v[72:73]
	v_add_f64_e32 v[18:19], v[64:65], v[18:19]
	s_delay_alu instid0(VALU_DEP_2) | instskip(SKIP_1) | instid1(VALU_DEP_2)
	v_fma_f64 v[62:63], v[4:5], v[70:71], -v[62:63]
	v_mul_f64_e32 v[4:5], v[4:5], v[72:73]
	v_add_f64_e32 v[12:13], v[12:13], v[62:63]
	s_delay_alu instid0(VALU_DEP_2) | instskip(NEXT) | instid1(VALU_DEP_1)
	v_fmac_f64_e32 v[4:5], v[6:7], v[70:71]
	v_add_f64_e32 v[14:15], v[4:5], v[14:15]
	ds_load_b128 v[4:7], v78 offset:400
	ds_load_b128 v[62:65], v22 offset:12800
	s_wait_dscnt 0x0
	v_mul_f64_e32 v[66:67], v[6:7], v[64:65]
	v_mul_f64_e32 v[68:69], v[4:5], v[64:65]
	s_delay_alu instid0(VALU_DEP_2) | instskip(NEXT) | instid1(VALU_DEP_2)
	v_fma_f64 v[66:67], v[4:5], v[62:63], -v[66:67]
	v_fmac_f64_e32 v[68:69], v[6:7], v[62:63]
	s_delay_alu instid0(VALU_DEP_2) | instskip(NEXT) | instid1(VALU_DEP_2)
	v_add_f64_e32 v[8:9], v[8:9], v[66:67]
	v_add_f64_e32 v[10:11], v[68:69], v[10:11]
	ds_load_b128 v[66:69], v22 offset:13056
	s_wait_dscnt 0x0
	v_mul_f64_e32 v[70:71], v[6:7], v[68:69]
	v_mul_f64_e32 v[72:73], v[4:5], v[68:69]
	s_delay_alu instid0(VALU_DEP_2) | instskip(NEXT) | instid1(VALU_DEP_2)
	v_fma_f64 v[70:71], v[4:5], v[66:67], -v[70:71]
	v_fmac_f64_e32 v[72:73], v[6:7], v[66:67]
	s_delay_alu instid0(VALU_DEP_2) | instskip(NEXT) | instid1(VALU_DEP_2)
	v_add_f64_e32 v[4:5], v[74:75], v[70:71]
	v_add_f64_e32 v[6:7], v[72:73], v[76:77]
	ds_load_b128 v[70:73], v78 offset:8592
	s_wait_dscnt 0x0
	v_mul_f64_e32 v[74:75], v[72:73], v[64:65]
	v_mul_f64_e32 v[64:65], v[70:71], v[64:65]
	s_delay_alu instid0(VALU_DEP_2) | instskip(NEXT) | instid1(VALU_DEP_2)
	v_fma_f64 v[74:75], v[70:71], v[62:63], -v[74:75]
	v_fmac_f64_e32 v[64:65], v[72:73], v[62:63]
	v_mul_f64_e32 v[62:63], v[72:73], v[68:69]
	s_delay_alu instid0(VALU_DEP_3) | instskip(NEXT) | instid1(VALU_DEP_3)
	v_add_f64_e32 v[16:17], v[16:17], v[74:75]
	v_add_f64_e32 v[18:19], v[64:65], v[18:19]
	v_mul_f64_e32 v[64:65], v[70:71], v[68:69]
	s_delay_alu instid0(VALU_DEP_4) | instskip(NEXT) | instid1(VALU_DEP_2)
	v_fma_f64 v[62:63], v[70:71], v[66:67], -v[62:63]
	v_fmac_f64_e32 v[64:65], v[72:73], v[66:67]
	s_delay_alu instid0(VALU_DEP_2) | instskip(NEXT) | instid1(VALU_DEP_2)
	v_add_f64_e32 v[12:13], v[12:13], v[62:63]
	v_add_f64_e32 v[14:15], v[64:65], v[14:15]
	ds_load_b128 v[62:65], v78 offset:416
	ds_load_b128 v[66:69], v22 offset:13312
	s_wait_dscnt 0x0
	v_mul_f64_e32 v[70:71], v[64:65], v[68:69]
	v_mul_f64_e32 v[72:73], v[62:63], v[68:69]
	s_delay_alu instid0(VALU_DEP_2) | instskip(NEXT) | instid1(VALU_DEP_2)
	v_fma_f64 v[70:71], v[62:63], v[66:67], -v[70:71]
	v_fmac_f64_e32 v[72:73], v[64:65], v[66:67]
	s_delay_alu instid0(VALU_DEP_2) | instskip(NEXT) | instid1(VALU_DEP_2)
	v_add_f64_e32 v[8:9], v[8:9], v[70:71]
	v_add_f64_e32 v[10:11], v[72:73], v[10:11]
	ds_load_b128 v[70:73], v22 offset:13568
	s_wait_dscnt 0x0
	v_mul_f64_e32 v[74:75], v[64:65], v[72:73]
	s_delay_alu instid0(VALU_DEP_1) | instskip(SKIP_1) | instid1(VALU_DEP_2)
	v_fma_f64 v[74:75], v[62:63], v[70:71], -v[74:75]
	v_mul_f64_e32 v[62:63], v[62:63], v[72:73]
	v_add_f64_e32 v[74:75], v[4:5], v[74:75]
	s_delay_alu instid0(VALU_DEP_2) | instskip(NEXT) | instid1(VALU_DEP_1)
	v_fmac_f64_e32 v[62:63], v[64:65], v[70:71]
	v_add_f64_e32 v[76:77], v[62:63], v[6:7]
	ds_load_b128 v[4:7], v78 offset:8608
	s_wait_dscnt 0x0
	v_mul_f64_e32 v[62:63], v[6:7], v[68:69]
	v_mul_f64_e32 v[64:65], v[4:5], v[68:69]
	s_delay_alu instid0(VALU_DEP_2) | instskip(NEXT) | instid1(VALU_DEP_2)
	v_fma_f64 v[62:63], v[4:5], v[66:67], -v[62:63]
	v_fmac_f64_e32 v[64:65], v[6:7], v[66:67]
	s_delay_alu instid0(VALU_DEP_2) | instskip(SKIP_1) | instid1(VALU_DEP_3)
	v_add_f64_e32 v[16:17], v[16:17], v[62:63]
	v_mul_f64_e32 v[62:63], v[6:7], v[72:73]
	v_add_f64_e32 v[18:19], v[64:65], v[18:19]
	s_delay_alu instid0(VALU_DEP_2) | instskip(SKIP_1) | instid1(VALU_DEP_2)
	v_fma_f64 v[62:63], v[4:5], v[70:71], -v[62:63]
	v_mul_f64_e32 v[4:5], v[4:5], v[72:73]
	v_add_f64_e32 v[12:13], v[12:13], v[62:63]
	s_delay_alu instid0(VALU_DEP_2) | instskip(NEXT) | instid1(VALU_DEP_1)
	v_fmac_f64_e32 v[4:5], v[6:7], v[70:71]
	v_add_f64_e32 v[14:15], v[4:5], v[14:15]
	ds_load_b128 v[4:7], v78 offset:432
	ds_load_b128 v[62:65], v22 offset:13824
	s_wait_dscnt 0x0
	v_mul_f64_e32 v[66:67], v[6:7], v[64:65]
	v_mul_f64_e32 v[68:69], v[4:5], v[64:65]
	s_delay_alu instid0(VALU_DEP_2) | instskip(NEXT) | instid1(VALU_DEP_2)
	v_fma_f64 v[66:67], v[4:5], v[62:63], -v[66:67]
	v_fmac_f64_e32 v[68:69], v[6:7], v[62:63]
	s_delay_alu instid0(VALU_DEP_2) | instskip(NEXT) | instid1(VALU_DEP_2)
	v_add_f64_e32 v[8:9], v[8:9], v[66:67]
	v_add_f64_e32 v[10:11], v[68:69], v[10:11]
	ds_load_b128 v[66:69], v22 offset:14080
	s_wait_dscnt 0x0
	v_mul_f64_e32 v[70:71], v[6:7], v[68:69]
	v_mul_f64_e32 v[72:73], v[4:5], v[68:69]
	s_delay_alu instid0(VALU_DEP_2) | instskip(NEXT) | instid1(VALU_DEP_2)
	v_fma_f64 v[70:71], v[4:5], v[66:67], -v[70:71]
	v_fmac_f64_e32 v[72:73], v[6:7], v[66:67]
	s_delay_alu instid0(VALU_DEP_2) | instskip(NEXT) | instid1(VALU_DEP_2)
	v_add_f64_e32 v[4:5], v[74:75], v[70:71]
	v_add_f64_e32 v[6:7], v[72:73], v[76:77]
	ds_load_b128 v[70:73], v78 offset:8624
	s_wait_dscnt 0x0
	v_mul_f64_e32 v[74:75], v[72:73], v[64:65]
	v_mul_f64_e32 v[64:65], v[70:71], v[64:65]
	s_delay_alu instid0(VALU_DEP_2) | instskip(NEXT) | instid1(VALU_DEP_2)
	v_fma_f64 v[74:75], v[70:71], v[62:63], -v[74:75]
	v_fmac_f64_e32 v[64:65], v[72:73], v[62:63]
	v_mul_f64_e32 v[62:63], v[72:73], v[68:69]
	s_delay_alu instid0(VALU_DEP_3) | instskip(NEXT) | instid1(VALU_DEP_3)
	v_add_f64_e32 v[16:17], v[16:17], v[74:75]
	v_add_f64_e32 v[18:19], v[64:65], v[18:19]
	v_mul_f64_e32 v[64:65], v[70:71], v[68:69]
	s_delay_alu instid0(VALU_DEP_4) | instskip(NEXT) | instid1(VALU_DEP_2)
	v_fma_f64 v[62:63], v[70:71], v[66:67], -v[62:63]
	v_fmac_f64_e32 v[64:65], v[72:73], v[66:67]
	s_delay_alu instid0(VALU_DEP_2) | instskip(NEXT) | instid1(VALU_DEP_2)
	v_add_f64_e32 v[12:13], v[12:13], v[62:63]
	v_add_f64_e32 v[14:15], v[64:65], v[14:15]
	ds_load_b128 v[62:65], v78 offset:448
	ds_load_b128 v[66:69], v22 offset:14336
	s_wait_dscnt 0x0
	v_mul_f64_e32 v[70:71], v[64:65], v[68:69]
	v_mul_f64_e32 v[72:73], v[62:63], v[68:69]
	s_delay_alu instid0(VALU_DEP_2) | instskip(NEXT) | instid1(VALU_DEP_2)
	v_fma_f64 v[70:71], v[62:63], v[66:67], -v[70:71]
	v_fmac_f64_e32 v[72:73], v[64:65], v[66:67]
	s_delay_alu instid0(VALU_DEP_2) | instskip(NEXT) | instid1(VALU_DEP_2)
	v_add_f64_e32 v[8:9], v[8:9], v[70:71]
	v_add_f64_e32 v[10:11], v[72:73], v[10:11]
	ds_load_b128 v[70:73], v22 offset:14592
	s_wait_dscnt 0x0
	v_mul_f64_e32 v[74:75], v[64:65], v[72:73]
	s_delay_alu instid0(VALU_DEP_1) | instskip(SKIP_1) | instid1(VALU_DEP_2)
	v_fma_f64 v[74:75], v[62:63], v[70:71], -v[74:75]
	v_mul_f64_e32 v[62:63], v[62:63], v[72:73]
	v_add_f64_e32 v[74:75], v[4:5], v[74:75]
	s_delay_alu instid0(VALU_DEP_2) | instskip(NEXT) | instid1(VALU_DEP_1)
	v_fmac_f64_e32 v[62:63], v[64:65], v[70:71]
	v_add_f64_e32 v[76:77], v[62:63], v[6:7]
	ds_load_b128 v[4:7], v78 offset:8640
	s_wait_dscnt 0x0
	v_mul_f64_e32 v[62:63], v[6:7], v[68:69]
	v_mul_f64_e32 v[64:65], v[4:5], v[68:69]
	s_delay_alu instid0(VALU_DEP_2) | instskip(NEXT) | instid1(VALU_DEP_2)
	v_fma_f64 v[62:63], v[4:5], v[66:67], -v[62:63]
	v_fmac_f64_e32 v[64:65], v[6:7], v[66:67]
	s_delay_alu instid0(VALU_DEP_2) | instskip(SKIP_1) | instid1(VALU_DEP_3)
	v_add_f64_e32 v[16:17], v[16:17], v[62:63]
	v_mul_f64_e32 v[62:63], v[6:7], v[72:73]
	v_add_f64_e32 v[18:19], v[64:65], v[18:19]
	s_delay_alu instid0(VALU_DEP_2) | instskip(SKIP_1) | instid1(VALU_DEP_2)
	v_fma_f64 v[62:63], v[4:5], v[70:71], -v[62:63]
	v_mul_f64_e32 v[4:5], v[4:5], v[72:73]
	v_add_f64_e32 v[12:13], v[12:13], v[62:63]
	s_delay_alu instid0(VALU_DEP_2)
	v_fmac_f64_e32 v[4:5], v[6:7], v[70:71]
	ds_load_b128 v[62:65], v78 offset:464
	ds_load_b128 v[66:69], v22 offset:14848
	;; [unrolled: 1-line block ×3, first 2 shown]
	s_wait_dscnt 0x1
	v_mul_f64_e32 v[6:7], v[62:63], v[68:69]
	v_add_f64_e32 v[14:15], v[4:5], v[14:15]
	v_mul_f64_e32 v[4:5], v[64:65], v[68:69]
	s_delay_alu instid0(VALU_DEP_3) | instskip(NEXT) | instid1(VALU_DEP_2)
	v_fmac_f64_e32 v[6:7], v[64:65], v[66:67]
	v_fma_f64 v[4:5], v[62:63], v[66:67], -v[4:5]
	s_delay_alu instid0(VALU_DEP_2) | instskip(SKIP_2) | instid1(VALU_DEP_3)
	v_add_f64_e32 v[6:7], v[6:7], v[10:11]
	s_wait_dscnt 0x0
	v_mul_f64_e32 v[10:11], v[62:63], v[72:73]
	v_add_f64_e32 v[4:5], v[8:9], v[4:5]
	v_mul_f64_e32 v[8:9], v[64:65], v[72:73]
	s_delay_alu instid0(VALU_DEP_3) | instskip(NEXT) | instid1(VALU_DEP_2)
	v_fmac_f64_e32 v[10:11], v[64:65], v[70:71]
	v_fma_f64 v[8:9], v[62:63], v[70:71], -v[8:9]
	ds_load_b128 v[62:65], v78 offset:8656
	v_add_f64_e32 v[10:11], v[10:11], v[76:77]
	v_add_f64_e32 v[8:9], v[74:75], v[8:9]
	s_wait_dscnt 0x0
	v_mul_f64_e32 v[74:75], v[64:65], v[68:69]
	v_mul_f64_e32 v[68:69], v[62:63], v[68:69]
	s_delay_alu instid0(VALU_DEP_2) | instskip(NEXT) | instid1(VALU_DEP_2)
	v_fma_f64 v[74:75], v[62:63], v[66:67], -v[74:75]
	v_fmac_f64_e32 v[68:69], v[64:65], v[66:67]
	v_mul_f64_e32 v[66:67], v[64:65], v[72:73]
	s_delay_alu instid0(VALU_DEP_3) | instskip(NEXT) | instid1(VALU_DEP_3)
	v_add_f64_e32 v[16:17], v[16:17], v[74:75]
	v_add_f64_e32 v[18:19], v[68:69], v[18:19]
	v_mul_f64_e32 v[68:69], v[62:63], v[72:73]
	s_delay_alu instid0(VALU_DEP_4) | instskip(NEXT) | instid1(VALU_DEP_2)
	v_fma_f64 v[66:67], v[62:63], v[70:71], -v[66:67]
	v_fmac_f64_e32 v[68:69], v[64:65], v[70:71]
	s_delay_alu instid0(VALU_DEP_2) | instskip(NEXT) | instid1(VALU_DEP_2)
	v_add_f64_e32 v[62:63], v[12:13], v[66:67]
	v_add_f64_e32 v[64:65], v[68:69], v[14:15]
	ds_load_b128 v[12:15], v78 offset:480
	ds_load_b128 v[66:69], v22 offset:15360
	;; [unrolled: 1-line block ×3, first 2 shown]
	s_wait_dscnt 0x1
	v_mul_f64_e32 v[70:71], v[14:15], v[68:69]
	v_mul_f64_e32 v[72:73], v[12:13], v[68:69]
	s_delay_alu instid0(VALU_DEP_2) | instskip(NEXT) | instid1(VALU_DEP_2)
	v_fma_f64 v[70:71], v[12:13], v[66:67], -v[70:71]
	v_fmac_f64_e32 v[72:73], v[14:15], v[66:67]
	s_delay_alu instid0(VALU_DEP_2) | instskip(NEXT) | instid1(VALU_DEP_2)
	v_add_f64_e32 v[4:5], v[4:5], v[70:71]
	v_add_f64_e32 v[6:7], v[72:73], v[6:7]
	s_wait_dscnt 0x0
	v_mul_f64_e32 v[70:71], v[14:15], v[76:77]
	v_mul_f64_e32 v[72:73], v[12:13], v[76:77]
	s_delay_alu instid0(VALU_DEP_2) | instskip(NEXT) | instid1(VALU_DEP_2)
	v_fma_f64 v[70:71], v[12:13], v[74:75], -v[70:71]
	v_fmac_f64_e32 v[72:73], v[14:15], v[74:75]
	s_delay_alu instid0(VALU_DEP_2) | instskip(NEXT) | instid1(VALU_DEP_2)
	v_add_f64_e32 v[12:13], v[8:9], v[70:71]
	v_add_f64_e32 v[14:15], v[72:73], v[10:11]
	ds_load_b128 v[8:11], v78 offset:8672
	s_wait_dscnt 0x0
	v_mul_f64_e32 v[70:71], v[10:11], v[68:69]
	v_mul_f64_e32 v[68:69], v[8:9], v[68:69]
	s_delay_alu instid0(VALU_DEP_2) | instskip(NEXT) | instid1(VALU_DEP_2)
	v_fma_f64 v[70:71], v[8:9], v[66:67], -v[70:71]
	v_fmac_f64_e32 v[68:69], v[10:11], v[66:67]
	s_delay_alu instid0(VALU_DEP_2) | instskip(SKIP_1) | instid1(VALU_DEP_3)
	v_add_f64_e32 v[70:71], v[16:17], v[70:71]
	v_mul_f64_e32 v[16:17], v[10:11], v[76:77]
	v_add_f64_e32 v[72:73], v[68:69], v[18:19]
	s_delay_alu instid0(VALU_DEP_2) | instskip(SKIP_1) | instid1(VALU_DEP_2)
	v_fma_f64 v[16:17], v[8:9], v[74:75], -v[16:17]
	v_mul_f64_e32 v[8:9], v[8:9], v[76:77]
	v_add_f64_e32 v[66:67], v[62:63], v[16:17]
	s_delay_alu instid0(VALU_DEP_2) | instskip(NEXT) | instid1(VALU_DEP_1)
	v_fmac_f64_e32 v[8:9], v[10:11], v[74:75]
	v_add_f64_e32 v[68:69], v[8:9], v[64:65]
	ds_load_b128 v[16:19], v78 offset:496
	ds_load_b128 v[8:11], v22 offset:15872
	s_wait_dscnt 0x0
	v_mul_f64_e32 v[62:63], v[18:19], v[10:11]
	v_mul_f64_e32 v[64:65], v[16:17], v[10:11]
	s_delay_alu instid0(VALU_DEP_2) | instskip(NEXT) | instid1(VALU_DEP_2)
	v_fma_f64 v[62:63], v[16:17], v[8:9], -v[62:63]
	v_fmac_f64_e32 v[64:65], v[18:19], v[8:9]
	s_delay_alu instid0(VALU_DEP_2) | instskip(NEXT) | instid1(VALU_DEP_2)
	v_add_f64_e32 v[62:63], v[4:5], v[62:63]
	v_add_f64_e32 v[64:65], v[64:65], v[6:7]
	ds_load_b128 v[4:7], v22 offset:16128
	s_wait_dscnt 0x0
	v_mul_f64_e32 v[74:75], v[18:19], v[6:7]
	v_mul_f64_e32 v[76:77], v[16:17], v[6:7]
	s_delay_alu instid0(VALU_DEP_2) | instskip(NEXT) | instid1(VALU_DEP_2)
	v_fma_f64 v[74:75], v[16:17], v[4:5], -v[74:75]
	v_fmac_f64_e32 v[76:77], v[18:19], v[4:5]
	s_delay_alu instid0(VALU_DEP_2) | instskip(NEXT) | instid1(VALU_DEP_2)
	v_add_f64_e32 v[16:17], v[12:13], v[74:75]
	v_add_f64_e32 v[18:19], v[76:77], v[14:15]
	ds_load_b128 v[12:15], v78 offset:8688
	s_wait_dscnt 0x0
	s_barrier_signal -1
	s_barrier_wait -1
	v_mul_f64_e32 v[74:75], v[14:15], v[10:11]
	v_mul_f64_e32 v[10:11], v[12:13], v[10:11]
	s_delay_alu instid0(VALU_DEP_2) | instskip(NEXT) | instid1(VALU_DEP_2)
	v_fma_f64 v[74:75], v[12:13], v[8:9], -v[74:75]
	v_fmac_f64_e32 v[10:11], v[14:15], v[8:9]
	v_mul_f64_e32 v[8:9], v[14:15], v[6:7]
	v_mul_f64_e32 v[6:7], v[12:13], v[6:7]
	s_delay_alu instid0(VALU_DEP_4) | instskip(NEXT) | instid1(VALU_DEP_4)
	v_add_f64_e32 v[74:75], v[70:71], v[74:75]
	v_add_f64_e32 v[70:71], v[10:11], v[72:73]
	s_delay_alu instid0(VALU_DEP_4) | instskip(NEXT) | instid1(VALU_DEP_4)
	v_fma_f64 v[8:9], v[12:13], v[4:5], -v[8:9]
	v_fmac_f64_e32 v[6:7], v[14:15], v[4:5]
	s_delay_alu instid0(VALU_DEP_2) | instskip(NEXT) | instid1(VALU_DEP_2)
	v_add_f64_e32 v[14:15], v[66:67], v[8:9]
	v_add_f64_e32 v[12:13], v[6:7], v[68:69]
	s_cbranch_scc1 .LBB109_58
.LBB109_10:                             ;   Parent Loop BB109_4 Depth=1
                                        ;     Parent Loop BB109_7 Depth=2
                                        ; =>    This Inner Loop Header: Depth=3
	v_add_nc_u64_e32 v[6:7], s[36:37], v[20:21]
	v_cmp_eq_u64_e64 s7, s[36:37], v[30:31]
	v_add_nc_u64_e32 v[8:9], v[58:59], v[38:39]
	s_delay_alu instid0(VALU_DEP_3) | instskip(SKIP_3) | instid1(SALU_CYCLE_1)
	v_cmp_le_i64_e64 s6, s[42:43], v[6:7]
	v_cmp_gt_i64_e64 s5, v[6:7], v[24:25]
	s_and_b32 s56, s52, s7
	s_or_b32 s7, s6, s5
	s_or_b32 s7, s7, s56
	s_delay_alu instid0(SALU_CYCLE_1) | instskip(NEXT) | instid1(SALU_CYCLE_1)
	s_nor_b32 s7, s0, s7
	s_and_saveexec_b32 s8, s7
	s_delay_alu instid0(SALU_CYCLE_1)
	s_xor_b32 s7, exec_lo, s8
	s_cbranch_execz .LBB109_12
; %bb.11:                               ;   in Loop: Header=BB109_10 Depth=3
	global_load_b128 v[66:69], v[8:9], off offset:-256
	s_wait_loadcnt 0x0
	ds_store_2addr_b64 v79, v[66:67], v[68:69] offset1:1
.LBB109_12:                             ;   in Loop: Header=BB109_10 Depth=3
	s_wait_xcnt 0x0
	s_or_saveexec_b32 s7, s7
	s_xor_b32 s55, s56, -1
	s_xor_b32 exec_lo, exec_lo, s7
	s_cbranch_execz .LBB109_18
; %bb.13:                               ;   in Loop: Header=BB109_10 Depth=3
	s_and_saveexec_b32 s8, s55
	s_delay_alu instid0(SALU_CYCLE_1)
	s_xor_b32 s8, exec_lo, s8
; %bb.14:                               ;   in Loop: Header=BB109_10 Depth=3
	v_dual_mov_b32 v66, v2 :: v_dual_mov_b32 v67, v2
	v_dual_mov_b32 v68, v2 :: v_dual_mov_b32 v69, v2
	ds_store_b128 v79, v[66:69]
; %bb.15:                               ;   in Loop: Header=BB109_10 Depth=3
	s_and_not1_saveexec_b32 s8, s8
; %bb.16:                               ;   in Loop: Header=BB109_10 Depth=3
	v_dual_mov_b32 v4, v2 :: v_dual_mov_b32 v5, v2
	ds_store_b128 v79, v[2:5]
; %bb.17:                               ;   in Loop: Header=BB109_10 Depth=3
	s_or_b32 exec_lo, exec_lo, s8
.LBB109_18:                             ;   in Loop: Header=BB109_10 Depth=3
	s_delay_alu instid0(SALU_CYCLE_1) | instskip(SKIP_4) | instid1(SALU_CYCLE_1)
	s_or_b32 exec_lo, exec_lo, s7
	v_cmp_eq_u64_e64 s7, s[36:37], v[32:33]
	v_cmp_lt_i64_e64 s8, v[26:27], v[6:7]
	s_and_b32 s7, s52, s7
	s_or_b32 s6, s6, s8
	s_or_b32 s6, s6, s7
	s_delay_alu instid0(SALU_CYCLE_1) | instskip(NEXT) | instid1(SALU_CYCLE_1)
	s_nor_b32 s6, s1, s6
	s_and_saveexec_b32 s8, s6
	s_delay_alu instid0(SALU_CYCLE_1)
	s_xor_b32 s6, exec_lo, s8
	s_cbranch_execz .LBB109_20
; %bb.19:                               ;   in Loop: Header=BB109_10 Depth=3
	global_load_b128 v[8:11], v[8:9], off
	v_add_nc_u32_e32 v4, 0x100, v79
	s_wait_loadcnt 0x0
	ds_store_2addr_b64 v4, v[8:9], v[10:11] offset1:1
.LBB109_20:                             ;   in Loop: Header=BB109_10 Depth=3
	s_wait_xcnt 0x0
	s_and_not1_saveexec_b32 s6, s6
	s_cbranch_execz .LBB109_26
; %bb.21:                               ;   in Loop: Header=BB109_10 Depth=3
	s_xor_b32 s7, s7, -1
	s_delay_alu instid0(SALU_CYCLE_1) | instskip(NEXT) | instid1(SALU_CYCLE_1)
	s_and_saveexec_b32 s8, s7
	s_xor_b32 s7, exec_lo, s8
; %bb.22:                               ;   in Loop: Header=BB109_10 Depth=3
	v_dual_mov_b32 v8, v2 :: v_dual_mov_b32 v9, v2
	v_dual_mov_b32 v10, v2 :: v_dual_mov_b32 v11, v2
	ds_store_b128 v79, v[8:11] offset:256
; %bb.23:                               ;   in Loop: Header=BB109_10 Depth=3
	s_and_not1_saveexec_b32 s7, s7
; %bb.24:                               ;   in Loop: Header=BB109_10 Depth=3
	v_dual_mov_b32 v4, v2 :: v_dual_mov_b32 v5, v2
	ds_store_b128 v79, v[2:5] offset:256
; %bb.25:                               ;   in Loop: Header=BB109_10 Depth=3
	s_or_b32 exec_lo, exec_lo, s7
.LBB109_26:                             ;   in Loop: Header=BB109_10 Depth=3
	s_delay_alu instid0(SALU_CYCLE_1) | instskip(SKIP_3) | instid1(VALU_DEP_3)
	s_or_b32 exec_lo, exec_lo, s6
	v_add_nc_u64_e32 v[4:5], 16, v[6:7]
	v_cmp_eq_u64_e64 s7, s[36:37], v[34:35]
	v_add_nc_u64_e32 v[6:7], v[60:61], v[38:39]
	v_cmp_le_i64_e64 s6, s[42:43], v[4:5]
	v_cmp_gt_i64_e64 s8, v[4:5], v[24:25]
	s_and_b32 s57, s52, s7
	s_or_b32 s7, s6, s8
	s_delay_alu instid0(SALU_CYCLE_1) | instskip(NEXT) | instid1(SALU_CYCLE_1)
	s_or_b32 s7, s7, s57
	s_nor_b32 s7, s0, s7
	s_delay_alu instid0(SALU_CYCLE_1) | instskip(NEXT) | instid1(SALU_CYCLE_1)
	s_and_saveexec_b32 s8, s7
	s_xor_b32 s7, exec_lo, s8
	s_cbranch_execz .LBB109_28
; %bb.27:                               ;   in Loop: Header=BB109_10 Depth=3
	global_load_b128 v[8:11], v[6:7], off offset:-256
	v_add_nc_u32_e32 v4, 0x2000, v79
	s_wait_loadcnt 0x0
	ds_store_2addr_b64 v4, v[8:9], v[10:11] offset1:1
.LBB109_28:                             ;   in Loop: Header=BB109_10 Depth=3
	s_wait_xcnt 0x0
	s_and_not1_saveexec_b32 s7, s7
	s_cbranch_execz .LBB109_34
; %bb.29:                               ;   in Loop: Header=BB109_10 Depth=3
	s_xor_b32 s8, s57, -1
	s_delay_alu instid0(SALU_CYCLE_1) | instskip(NEXT) | instid1(SALU_CYCLE_1)
	s_and_saveexec_b32 s57, s8
	s_xor_b32 s8, exec_lo, s57
; %bb.30:                               ;   in Loop: Header=BB109_10 Depth=3
	v_dual_mov_b32 v8, v2 :: v_dual_mov_b32 v9, v2
	v_dual_mov_b32 v10, v2 :: v_dual_mov_b32 v11, v2
	ds_store_b128 v79, v[8:11] offset:8192
; %bb.31:                               ;   in Loop: Header=BB109_10 Depth=3
	s_and_not1_saveexec_b32 s8, s8
; %bb.32:                               ;   in Loop: Header=BB109_10 Depth=3
	v_dual_mov_b32 v4, v2 :: v_dual_mov_b32 v5, v2
	ds_store_b128 v79, v[2:5] offset:8192
; %bb.33:                               ;   in Loop: Header=BB109_10 Depth=3
	s_or_b32 exec_lo, exec_lo, s8
.LBB109_34:                             ;   in Loop: Header=BB109_10 Depth=3
	s_delay_alu instid0(SALU_CYCLE_1) | instskip(SKIP_1) | instid1(SALU_CYCLE_1)
	s_or_b32 exec_lo, exec_lo, s7
	s_or_b32 s5, s6, s5
	s_or_b32 s5, s5, s56
	s_delay_alu instid0(SALU_CYCLE_1) | instskip(NEXT) | instid1(SALU_CYCLE_1)
	s_nor_b32 s5, s1, s5
	s_and_saveexec_b32 s6, s5
	s_delay_alu instid0(SALU_CYCLE_1)
	s_xor_b32 s5, exec_lo, s6
	s_cbranch_execz .LBB109_36
; %bb.35:                               ;   in Loop: Header=BB109_10 Depth=3
	global_load_b128 v[4:7], v[6:7], off
	v_add_nc_u32_e32 v8, 0x2100, v79
	s_wait_loadcnt 0x0
	ds_store_2addr_b64 v8, v[4:5], v[6:7] offset1:1
.LBB109_36:                             ;   in Loop: Header=BB109_10 Depth=3
	s_wait_xcnt 0x0
	s_and_not1_saveexec_b32 s5, s5
	s_cbranch_execz .LBB109_42
; %bb.37:                               ;   in Loop: Header=BB109_10 Depth=3
	s_and_saveexec_b32 s6, s55
	s_delay_alu instid0(SALU_CYCLE_1)
	s_xor_b32 s6, exec_lo, s6
; %bb.38:                               ;   in Loop: Header=BB109_10 Depth=3
	v_dual_mov_b32 v4, v2 :: v_dual_mov_b32 v5, v2
	v_dual_mov_b32 v6, v2 :: v_dual_mov_b32 v7, v2
	ds_store_b128 v79, v[4:7] offset:8448
; %bb.39:                               ;   in Loop: Header=BB109_10 Depth=3
	s_and_not1_saveexec_b32 s6, s6
; %bb.40:                               ;   in Loop: Header=BB109_10 Depth=3
	v_dual_mov_b32 v4, v2 :: v_dual_mov_b32 v5, v2
	ds_store_b128 v79, v[2:5] offset:8448
; %bb.41:                               ;   in Loop: Header=BB109_10 Depth=3
	s_or_b32 exec_lo, exec_lo, s6
.LBB109_42:                             ;   in Loop: Header=BB109_10 Depth=3
	s_delay_alu instid0(SALU_CYCLE_1) | instskip(SKIP_1) | instid1(VALU_DEP_1)
	s_or_b32 exec_lo, exec_lo, s5
	v_add_nc_u64_e32 v[4:5], s[36:37], v[0:1]
	v_cmp_gt_i64_e64 s5, s[42:43], v[4:5]
	s_and_b32 s6, vcc_lo, s5
	s_delay_alu instid0(SALU_CYCLE_1) | instskip(NEXT) | instid1(SALU_CYCLE_1)
	s_xor_b32 s6, s6, -1
	s_and_saveexec_b32 s7, s6
	s_delay_alu instid0(SALU_CYCLE_1)
	s_xor_b32 s6, exec_lo, s7
; %bb.43:                               ;   in Loop: Header=BB109_10 Depth=3
	v_dual_mov_b32 v6, v2 :: v_dual_mov_b32 v7, v2
	v_dual_mov_b32 v8, v2 :: v_dual_mov_b32 v9, v2
	ds_store_b128 v80, v[6:9]
; %bb.44:                               ;   in Loop: Header=BB109_10 Depth=3
	s_and_not1_saveexec_b32 s6, s6
	s_cbranch_execz .LBB109_46
; %bb.45:                               ;   in Loop: Header=BB109_10 Depth=3
	global_load_b128 v[6:9], v[54:55], off offset:-256
	s_wait_loadcnt 0x0
	ds_store_2addr_b64 v80, v[6:7], v[8:9] offset1:1
.LBB109_46:                             ;   in Loop: Header=BB109_10 Depth=3
	s_wait_xcnt 0x0
	s_or_b32 exec_lo, exec_lo, s6
	v_cmp_gt_i64_e64 s6, s[46:47], v[4:5]
	s_and_b32 s7, vcc_lo, s6
	s_delay_alu instid0(SALU_CYCLE_1) | instskip(NEXT) | instid1(SALU_CYCLE_1)
	s_xor_b32 s7, s7, -1
	s_and_saveexec_b32 s8, s7
	s_delay_alu instid0(SALU_CYCLE_1)
	s_xor_b32 s7, exec_lo, s8
; %bb.47:                               ;   in Loop: Header=BB109_10 Depth=3
	v_dual_mov_b32 v4, v2 :: v_dual_mov_b32 v5, v2
	v_dual_mov_b32 v6, v2 :: v_dual_mov_b32 v7, v2
	ds_store_b128 v80, v[4:7] offset:256
; %bb.48:                               ;   in Loop: Header=BB109_10 Depth=3
	s_and_not1_saveexec_b32 s7, s7
	s_cbranch_execz .LBB109_50
; %bb.49:                               ;   in Loop: Header=BB109_10 Depth=3
	global_load_b128 v[4:7], v[54:55], off
	v_add_nc_u32_e32 v8, 0x100, v80
	s_wait_loadcnt 0x0
	ds_store_2addr_b64 v8, v[4:5], v[6:7] offset1:1
.LBB109_50:                             ;   in Loop: Header=BB109_10 Depth=3
	s_wait_xcnt 0x0
	s_or_b32 exec_lo, exec_lo, s7
	s_and_b32 s5, s4, s5
	s_delay_alu instid0(SALU_CYCLE_1) | instskip(NEXT) | instid1(SALU_CYCLE_1)
	s_xor_b32 s5, s5, -1
	s_and_saveexec_b32 s7, s5
	s_delay_alu instid0(SALU_CYCLE_1)
	s_xor_b32 s5, exec_lo, s7
; %bb.51:                               ;   in Loop: Header=BB109_10 Depth=3
	v_dual_mov_b32 v4, v2 :: v_dual_mov_b32 v5, v2
	v_dual_mov_b32 v6, v2 :: v_dual_mov_b32 v7, v2
	ds_store_b128 v80, v[4:7] offset:8192
; %bb.52:                               ;   in Loop: Header=BB109_10 Depth=3
	s_and_not1_saveexec_b32 s5, s5
	s_cbranch_execz .LBB109_54
; %bb.53:                               ;   in Loop: Header=BB109_10 Depth=3
	global_load_b128 v[4:7], v[56:57], off offset:-256
	s_wait_loadcnt 0x0
	ds_store_2addr_b64 v81, v[4:5], v[6:7] offset1:1
.LBB109_54:                             ;   in Loop: Header=BB109_10 Depth=3
	s_wait_xcnt 0x0
	s_or_b32 exec_lo, exec_lo, s5
	s_and_b32 s5, s4, s6
	s_delay_alu instid0(SALU_CYCLE_1) | instskip(NEXT) | instid1(SALU_CYCLE_1)
	s_xor_b32 s5, s5, -1
	s_and_saveexec_b32 s6, s5
	s_delay_alu instid0(SALU_CYCLE_1)
	s_xor_b32 s5, exec_lo, s6
; %bb.55:                               ;   in Loop: Header=BB109_10 Depth=3
	v_dual_mov_b32 v4, v2 :: v_dual_mov_b32 v5, v2
	v_dual_mov_b32 v6, v2 :: v_dual_mov_b32 v7, v2
	ds_store_b128 v80, v[4:7] offset:8448
; %bb.56:                               ;   in Loop: Header=BB109_10 Depth=3
	s_and_not1_saveexec_b32 s5, s5
	s_cbranch_execz .LBB109_9
; %bb.57:                               ;   in Loop: Header=BB109_10 Depth=3
	global_load_b128 v[4:7], v[56:57], off
	s_wait_loadcnt 0x0
	ds_store_2addr_b64 v82, v[4:5], v[6:7] offset1:1
	s_branch .LBB109_9
.LBB109_58:                             ;   in Loop: Header=BB109_7 Depth=2
	s_delay_alu instid0(VALU_DEP_1) | instskip(SKIP_2) | instid1(VALU_DEP_2)
	v_mul_u64_e32 v[4:5], s[24:25], v[52:53]
	v_cmp_gt_i32_e32 vcc_lo, s38, v52
	s_and_b32 s5, s2, vcc_lo
	v_lshl_add_u64 v[4:5], v[4:5], 4, s[18:19]
	s_and_saveexec_b32 s4, s5
	s_cbranch_execz .LBB109_60
; %bb.59:                               ;   in Loop: Header=BB109_7 Depth=2
	s_delay_alu instid0(VALU_DEP_1)
	v_lshl_add_u64 v[10:11], v[24:25], 4, v[4:5]
	v_mul_f64_e32 v[54:55], s[30:31], v[64:65]
	v_mul_f64_e32 v[56:57], s[28:29], v[64:65]
	global_load_b128 v[6:9], v[10:11], off
	v_fma_f64 v[54:55], s[28:29], v[62:63], -v[54:55]
	v_fmac_f64_e32 v[56:57], s[30:31], v[62:63]
	s_wait_loadcnt 0x0
	s_delay_alu instid0(VALU_DEP_2) | instskip(NEXT) | instid1(VALU_DEP_2)
	v_add_f64_e32 v[6:7], v[6:7], v[54:55]
	v_add_f64_e32 v[8:9], v[56:57], v[8:9]
	global_store_b128 v[10:11], v[6:9], off
.LBB109_60:                             ;   in Loop: Header=BB109_7 Depth=2
	s_wait_xcnt 0x0
	s_or_b32 exec_lo, exec_lo, s4
	s_and_b32 s5, s3, vcc_lo
	s_delay_alu instid0(SALU_CYCLE_1)
	s_and_saveexec_b32 s4, s5
	s_cbranch_execz .LBB109_62
; %bb.61:                               ;   in Loop: Header=BB109_7 Depth=2
	v_lshl_add_u64 v[8:9], v[28:29], 4, v[4:5]
	v_mul_f64_e32 v[10:11], s[30:31], v[18:19]
	v_mul_f64_e32 v[18:19], s[28:29], v[18:19]
	global_load_b128 v[4:7], v[8:9], off
	v_fma_f64 v[10:11], s[28:29], v[16:17], -v[10:11]
	v_fmac_f64_e32 v[18:19], s[30:31], v[16:17]
	s_wait_loadcnt 0x0
	s_delay_alu instid0(VALU_DEP_2) | instskip(NEXT) | instid1(VALU_DEP_2)
	v_add_f64_e32 v[4:5], v[4:5], v[10:11]
	v_add_f64_e32 v[6:7], v[18:19], v[6:7]
	global_store_b128 v[8:9], v[4:7], off
.LBB109_62:                             ;   in Loop: Header=BB109_7 Depth=2
	s_wait_xcnt 0x0
	s_or_b32 exec_lo, exec_lo, s4
	v_add_nc_u32_e32 v4, 16, v52
	s_delay_alu instid0(VALU_DEP_1) | instskip(SKIP_1) | instid1(VALU_DEP_2)
	v_ashrrev_i32_e32 v5, 31, v4
	v_cmp_gt_i32_e32 vcc_lo, s38, v4
	v_mul_u64_e32 v[6:7], s[24:25], v[4:5]
	s_and_b32 s5, s2, vcc_lo
	s_delay_alu instid0(VALU_DEP_1)
	v_lshl_add_u64 v[4:5], v[6:7], 4, s[18:19]
	s_and_saveexec_b32 s4, s5
	s_cbranch_execz .LBB109_64
; %bb.63:                               ;   in Loop: Header=BB109_7 Depth=2
	s_delay_alu instid0(VALU_DEP_1)
	v_lshl_add_u64 v[10:11], v[24:25], 4, v[4:5]
	v_mul_f64_e32 v[16:17], s[30:31], v[70:71]
	v_mul_f64_e32 v[18:19], s[28:29], v[70:71]
	global_load_b128 v[6:9], v[10:11], off
	v_fma_f64 v[16:17], s[28:29], v[74:75], -v[16:17]
	v_fmac_f64_e32 v[18:19], s[30:31], v[74:75]
	s_wait_loadcnt 0x0
	s_delay_alu instid0(VALU_DEP_2) | instskip(NEXT) | instid1(VALU_DEP_2)
	v_add_f64_e32 v[6:7], v[6:7], v[16:17]
	v_add_f64_e32 v[8:9], v[18:19], v[8:9]
	global_store_b128 v[10:11], v[6:9], off
.LBB109_64:                             ;   in Loop: Header=BB109_7 Depth=2
	s_wait_xcnt 0x0
	s_or_b32 exec_lo, exec_lo, s4
	s_and_b32 s5, s3, vcc_lo
	s_delay_alu instid0(SALU_CYCLE_1)
	s_and_saveexec_b32 s4, s5
	s_cbranch_execz .LBB109_6
; %bb.65:                               ;   in Loop: Header=BB109_7 Depth=2
	v_lshl_add_u64 v[8:9], v[28:29], 4, v[4:5]
	v_mul_f64_e32 v[10:11], s[30:31], v[12:13]
	v_mul_f64_e32 v[12:13], s[28:29], v[12:13]
	global_load_b128 v[4:7], v[8:9], off
	v_fma_f64 v[10:11], s[28:29], v[14:15], -v[10:11]
	v_fmac_f64_e32 v[12:13], s[30:31], v[14:15]
	s_wait_loadcnt 0x0
	s_delay_alu instid0(VALU_DEP_2) | instskip(NEXT) | instid1(VALU_DEP_2)
	v_add_f64_e32 v[4:5], v[4:5], v[10:11]
	v_add_f64_e32 v[6:7], v[12:13], v[6:7]
	global_store_b128 v[8:9], v[4:7], off
	s_branch .LBB109_6
.LBB109_66:
	s_sendmsg sendmsg(MSG_DEALLOC_VGPRS)
	s_endpgm
	.section	.rodata,"a",@progbits
	.p2align	6, 0x0
	.amdhsa_kernel _ZL30rocblas_trmm_outofplace_kernelI19rocblas_complex_numIdELi32ELi2ELb1ELb0ELb0ELb0ES1_KS1_S1_Ev17rocblas_diagonal_iiT6_lPT7_lllS6_lllPT8_llli
		.amdhsa_group_segment_fixed_size 32768
		.amdhsa_private_segment_fixed_size 0
		.amdhsa_kernarg_size 400
		.amdhsa_user_sgpr_count 2
		.amdhsa_user_sgpr_dispatch_ptr 0
		.amdhsa_user_sgpr_queue_ptr 0
		.amdhsa_user_sgpr_kernarg_segment_ptr 1
		.amdhsa_user_sgpr_dispatch_id 0
		.amdhsa_user_sgpr_kernarg_preload_length 0
		.amdhsa_user_sgpr_kernarg_preload_offset 0
		.amdhsa_user_sgpr_private_segment_size 0
		.amdhsa_wavefront_size32 1
		.amdhsa_uses_dynamic_stack 0
		.amdhsa_enable_private_segment 0
		.amdhsa_system_sgpr_workgroup_id_x 1
		.amdhsa_system_sgpr_workgroup_id_y 1
		.amdhsa_system_sgpr_workgroup_id_z 1
		.amdhsa_system_sgpr_workgroup_info 0
		.amdhsa_system_vgpr_workitem_id 1
		.amdhsa_next_free_vgpr 100
		.amdhsa_next_free_sgpr 58
		.amdhsa_named_barrier_count 0
		.amdhsa_reserve_vcc 1
		.amdhsa_float_round_mode_32 0
		.amdhsa_float_round_mode_16_64 0
		.amdhsa_float_denorm_mode_32 3
		.amdhsa_float_denorm_mode_16_64 3
		.amdhsa_fp16_overflow 0
		.amdhsa_memory_ordered 1
		.amdhsa_forward_progress 1
		.amdhsa_inst_pref_size 67
		.amdhsa_round_robin_scheduling 0
		.amdhsa_exception_fp_ieee_invalid_op 0
		.amdhsa_exception_fp_denorm_src 0
		.amdhsa_exception_fp_ieee_div_zero 0
		.amdhsa_exception_fp_ieee_overflow 0
		.amdhsa_exception_fp_ieee_underflow 0
		.amdhsa_exception_fp_ieee_inexact 0
		.amdhsa_exception_int_div_zero 0
	.end_amdhsa_kernel
	.section	.text._ZL30rocblas_trmm_outofplace_kernelI19rocblas_complex_numIdELi32ELi2ELb1ELb0ELb0ELb0ES1_KS1_S1_Ev17rocblas_diagonal_iiT6_lPT7_lllS6_lllPT8_llli,"axG",@progbits,_ZL30rocblas_trmm_outofplace_kernelI19rocblas_complex_numIdELi32ELi2ELb1ELb0ELb0ELb0ES1_KS1_S1_Ev17rocblas_diagonal_iiT6_lPT7_lllS6_lllPT8_llli,comdat
.Lfunc_end109:
	.size	_ZL30rocblas_trmm_outofplace_kernelI19rocblas_complex_numIdELi32ELi2ELb1ELb0ELb0ELb0ES1_KS1_S1_Ev17rocblas_diagonal_iiT6_lPT7_lllS6_lllPT8_llli, .Lfunc_end109-_ZL30rocblas_trmm_outofplace_kernelI19rocblas_complex_numIdELi32ELi2ELb1ELb0ELb0ELb0ES1_KS1_S1_Ev17rocblas_diagonal_iiT6_lPT7_lllS6_lllPT8_llli
                                        ; -- End function
	.set _ZL30rocblas_trmm_outofplace_kernelI19rocblas_complex_numIdELi32ELi2ELb1ELb0ELb0ELb0ES1_KS1_S1_Ev17rocblas_diagonal_iiT6_lPT7_lllS6_lllPT8_llli.num_vgpr, 100
	.set _ZL30rocblas_trmm_outofplace_kernelI19rocblas_complex_numIdELi32ELi2ELb1ELb0ELb0ELb0ES1_KS1_S1_Ev17rocblas_diagonal_iiT6_lPT7_lllS6_lllPT8_llli.num_agpr, 0
	.set _ZL30rocblas_trmm_outofplace_kernelI19rocblas_complex_numIdELi32ELi2ELb1ELb0ELb0ELb0ES1_KS1_S1_Ev17rocblas_diagonal_iiT6_lPT7_lllS6_lllPT8_llli.numbered_sgpr, 58
	.set _ZL30rocblas_trmm_outofplace_kernelI19rocblas_complex_numIdELi32ELi2ELb1ELb0ELb0ELb0ES1_KS1_S1_Ev17rocblas_diagonal_iiT6_lPT7_lllS6_lllPT8_llli.num_named_barrier, 0
	.set _ZL30rocblas_trmm_outofplace_kernelI19rocblas_complex_numIdELi32ELi2ELb1ELb0ELb0ELb0ES1_KS1_S1_Ev17rocblas_diagonal_iiT6_lPT7_lllS6_lllPT8_llli.private_seg_size, 0
	.set _ZL30rocblas_trmm_outofplace_kernelI19rocblas_complex_numIdELi32ELi2ELb1ELb0ELb0ELb0ES1_KS1_S1_Ev17rocblas_diagonal_iiT6_lPT7_lllS6_lllPT8_llli.uses_vcc, 1
	.set _ZL30rocblas_trmm_outofplace_kernelI19rocblas_complex_numIdELi32ELi2ELb1ELb0ELb0ELb0ES1_KS1_S1_Ev17rocblas_diagonal_iiT6_lPT7_lllS6_lllPT8_llli.uses_flat_scratch, 0
	.set _ZL30rocblas_trmm_outofplace_kernelI19rocblas_complex_numIdELi32ELi2ELb1ELb0ELb0ELb0ES1_KS1_S1_Ev17rocblas_diagonal_iiT6_lPT7_lllS6_lllPT8_llli.has_dyn_sized_stack, 0
	.set _ZL30rocblas_trmm_outofplace_kernelI19rocblas_complex_numIdELi32ELi2ELb1ELb0ELb0ELb0ES1_KS1_S1_Ev17rocblas_diagonal_iiT6_lPT7_lllS6_lllPT8_llli.has_recursion, 0
	.set _ZL30rocblas_trmm_outofplace_kernelI19rocblas_complex_numIdELi32ELi2ELb1ELb0ELb0ELb0ES1_KS1_S1_Ev17rocblas_diagonal_iiT6_lPT7_lllS6_lllPT8_llli.has_indirect_call, 0
	.section	.AMDGPU.csdata,"",@progbits
; Kernel info:
; codeLenInByte = 8476
; TotalNumSgprs: 60
; NumVgprs: 100
; ScratchSize: 0
; MemoryBound: 0
; FloatMode: 240
; IeeeMode: 1
; LDSByteSize: 32768 bytes/workgroup (compile time only)
; SGPRBlocks: 0
; VGPRBlocks: 6
; NumSGPRsForWavesPerEU: 60
; NumVGPRsForWavesPerEU: 100
; NamedBarCnt: 0
; Occupancy: 9
; WaveLimiterHint : 0
; COMPUTE_PGM_RSRC2:SCRATCH_EN: 0
; COMPUTE_PGM_RSRC2:USER_SGPR: 2
; COMPUTE_PGM_RSRC2:TRAP_HANDLER: 0
; COMPUTE_PGM_RSRC2:TGID_X_EN: 1
; COMPUTE_PGM_RSRC2:TGID_Y_EN: 1
; COMPUTE_PGM_RSRC2:TGID_Z_EN: 1
; COMPUTE_PGM_RSRC2:TIDIG_COMP_CNT: 1
	.section	.text._ZL30rocblas_trmm_outofplace_kernelI19rocblas_complex_numIdELi32ELi2ELb1ELb1ELb0ELb0EPKS1_S2_S1_Ev17rocblas_diagonal_iiT6_lPT7_lllS7_lllPT8_llli,"axG",@progbits,_ZL30rocblas_trmm_outofplace_kernelI19rocblas_complex_numIdELi32ELi2ELb1ELb1ELb0ELb0EPKS1_S2_S1_Ev17rocblas_diagonal_iiT6_lPT7_lllS7_lllPT8_llli,comdat
	.globl	_ZL30rocblas_trmm_outofplace_kernelI19rocblas_complex_numIdELi32ELi2ELb1ELb1ELb0ELb0EPKS1_S2_S1_Ev17rocblas_diagonal_iiT6_lPT7_lllS7_lllPT8_llli ; -- Begin function _ZL30rocblas_trmm_outofplace_kernelI19rocblas_complex_numIdELi32ELi2ELb1ELb1ELb0ELb0EPKS1_S2_S1_Ev17rocblas_diagonal_iiT6_lPT7_lllS7_lllPT8_llli
	.p2align	8
	.type	_ZL30rocblas_trmm_outofplace_kernelI19rocblas_complex_numIdELi32ELi2ELb1ELb1ELb0ELb0EPKS1_S2_S1_Ev17rocblas_diagonal_iiT6_lPT7_lllS7_lllPT8_llli,@function
_ZL30rocblas_trmm_outofplace_kernelI19rocblas_complex_numIdELi32ELi2ELb1ELb1ELb0ELb0EPKS1_S2_S1_Ev17rocblas_diagonal_iiT6_lPT7_lllS7_lllPT8_llli: ; @_ZL30rocblas_trmm_outofplace_kernelI19rocblas_complex_numIdELi32ELi2ELb1ELb1ELb0ELb0EPKS1_S2_S1_Ev17rocblas_diagonal_iiT6_lPT7_lllS7_lllPT8_llli
; %bb.0:
	s_load_b32 s11, s[0:1], 0x80
	s_bfe_u32 s2, ttmp6, 0x40014
	s_lshr_b32 s3, ttmp7, 16
	s_add_co_i32 s2, s2, 1
	s_bfe_u32 s5, ttmp6, 0x40008
	s_mul_i32 s4, s3, s2
	s_getreg_b32 s2, hwreg(HW_REG_IB_STS2, 6, 4)
	s_add_co_i32 s5, s5, s4
	s_cmp_eq_u32 s2, 0
	s_mov_b32 s35, 0
	s_cselect_b32 s34, s3, s5
	s_wait_kmcnt 0x0
	s_cmp_ge_u32 s34, s11
	s_cbranch_scc1 .LBB110_68
; %bb.1:
	s_clause 0x3
	s_load_b96 s[8:10], s[0:1], 0x0
	s_load_b256 s[36:43], s[0:1], 0x50
	s_load_b512 s[12:27], s[0:1], 0x10
	s_load_b128 s[28:31], s[0:1], 0x70
	s_bfe_u32 s4, ttmp6, 0x4000c
	s_and_b32 s3, ttmp6, 15
	s_add_co_i32 s4, s4, 1
	s_bfe_u32 s5, ttmp6, 0x40010
	s_mul_i32 s4, ttmp9, s4
	s_and_b32 s6, ttmp7, 0xffff
	s_add_co_i32 s5, s5, 1
	s_add_co_i32 s3, s3, s4
	s_bfe_u32 s7, ttmp6, 0x40004
	s_mul_i32 s5, s6, s5
	v_bfe_u32 v74, v0, 10, 10
	s_add_co_i32 s7, s7, s5
	v_and_b32_e32 v1, 0x3ff, v0
	s_delay_alu instid0(VALU_DEP_2) | instskip(SKIP_2) | instid1(SALU_CYCLE_1)
	v_lshlrev_b32_e32 v8, 9, v74
	s_wait_kmcnt 0x0
	s_add_co_i32 s33, s10, -1
	s_ashr_i32 s44, s33, 31
	s_delay_alu instid0(SALU_CYCLE_1)
	s_lshr_b32 s4, s44, 27
	v_add_nc_u32_e32 v76, 0x4000, v8
	s_add_co_i32 s33, s33, s4
	s_lshl_b64 s[4:5], s[42:43], 4
	s_ashr_i32 s33, s33, 5
	s_cmp_eq_u32 s2, 0
	s_add_nc_u64 s[42:43], s[0:1], 0x88
	s_cselect_b32 s52, s6, s7
	s_cselect_b32 s2, ttmp9, s3
	s_cmp_le_i32 s52, s33
	s_add_nc_u64 s[40:41], s[40:41], s[4:5]
	s_cselect_b32 s53, -1, 0
	s_lshl_b32 s2, s2, 5
	v_lshl_add_u32 v82, s52, 5, v74
	v_add_nc_u32_e32 v24, s2, v74
	s_sub_co_i32 s54, s9, s2
	v_lshlrev_b32_e32 v75, 4, v1
	s_cmp_gt_i32 s54, 0
	s_delay_alu instid0(VALU_DEP_2)
	v_dual_add_nc_u32 v26, s2, v1 :: v_dual_ashrrev_i32 v25, 31, v24
	s_cselect_b32 s55, -1, 0
	s_cmp_eq_u32 s8, 0x84
	v_add_nc_u32_e32 v78, v75, v8
	s_cselect_b32 s56, -1, 0
	v_lshl_add_u64 v[2:3], v[24:25], 4, 0x100
	v_mul_u64_e32 v[4:5], s[20:21], v[24:25]
	s_lshl_b64 s[0:1], s[18:19], 4
	v_dual_ashrrev_i32 v27, 31, v26 :: v_dual_add_nc_u32 v28, 16, v26
	s_add_nc_u64 s[6:7], s[16:17], s[0:1]
	v_dual_mov_b32 v0, 0 :: v_dual_add_nc_u32 v77, v76, v75
	v_mad_nc_u64_u32 v[6:7], s20, v2, s[6:7]
	s_delay_alu instid0(VALU_DEP_3)
	v_add_nc_u64_e32 v[30:31], 16, v[26:27]
	v_sub_nc_u64_e32 v[32:33], v[26:27], v[24:25]
	s_mov_b32 s16, s9
	s_ashr_i32 s17, s9, 31
	s_lshl_b64 s[2:3], s[26:27], 4
	v_lshlrev_b64_e32 v[34:35], 4, v[26:27]
	s_add_nc_u64 s[4:5], s[24:25], s[2:3]
	v_cmp_le_i64_e64 s3, s[16:17], v[30:31]
	v_add_nc_u64_e32 v[36:37], 16, v[32:33]
	v_add_nc_u64_e32 v[38:39], -16, v[32:33]
	v_mad_u32 v1, s21, v2, v7
	v_add_nc_u32_e32 v79, 0x100, v77
	v_add_nc_u32_e32 v80, 0x2000, v77
	;; [unrolled: 1-line block ×3, first 2 shown]
	v_cmp_le_i32_e64 s0, s9, v26
	v_cmp_gt_i32_e64 s1, s9, v26
	v_cmp_gt_i32_e64 s2, s9, v28
	v_ashrrev_i32_e32 v29, 31, v28
	s_mov_b32 s18, s10
	s_ashr_i32 s19, s10, 31
	s_lshl_b64 s[44:45], s[20:21], 9
	v_mad_u32 v7, s20, v3, v1
	v_mov_b32_e32 v1, 0x3ff00000
	s_add_nc_u64 s[26:27], s[16:17], -16
	v_lshl_add_u64 v[2:3], v[4:5], 4, s[6:7]
	s_add_nc_u64 s[20:21], s[4:5], 0x100
	s_lshl_b64 s[24:25], s[38:39], 4
	s_lshl_b64 s[38:39], s[36:37], 4
	;; [unrolled: 1-line block ×3, first 2 shown]
	v_add_nc_u64_e32 v[40:41], 0x100, v[2:3]
	s_delay_alu instid0(VALU_DEP_4)
	v_add_nc_u64_e32 v[42:43], 0x100, v[6:7]
	s_branch .LBB110_4
.LBB110_2:                              ;   in Loop: Header=BB110_4 Depth=1
	s_add_co_i32 s34, s34, 0x10000
	s_delay_alu instid0(SALU_CYCLE_1)
	s_cmp_ge_u32 s34, s11
	s_cselect_b32 s4, -1, 0
.LBB110_3:                              ;   in Loop: Header=BB110_4 Depth=1
	s_delay_alu instid0(SALU_CYCLE_1)
	s_and_b32 vcc_lo, exec_lo, s4
	s_cbranch_vccnz .LBB110_68
.LBB110_4:                              ; =>This Loop Header: Depth=1
                                        ;     Child Loop BB110_8 Depth 2
                                        ;       Child Loop BB110_11 Depth 3
	s_mul_u64 s[4:5], s[14:15], s[34:35]
	s_delay_alu instid0(SALU_CYCLE_1) | instskip(NEXT) | instid1(SALU_CYCLE_1)
	s_lshl_b64 s[4:5], s[4:5], 4
	s_add_nc_u64 s[4:5], s[12:13], s[4:5]
	global_load_b128 v[4:7], v0, s[4:5]
	s_wait_loadcnt 0x0
	v_cmp_eq_f64_e32 vcc_lo, 0, v[4:5]
	s_wait_xcnt 0x0
	v_cmp_eq_f64_e64 s4, 0, v[6:7]
	s_and_b32 s4, vcc_lo, s4
	s_delay_alu instid0(SALU_CYCLE_1)
	s_and_b32 vcc_lo, exec_lo, s4
	s_mov_b32 s4, -1
	s_cbranch_vccnz .LBB110_3
; %bb.5:                                ;   in Loop: Header=BB110_4 Depth=1
	s_and_not1_b32 vcc_lo, exec_lo, s53
	s_cbranch_vccnz .LBB110_2
; %bb.6:                                ;   in Loop: Header=BB110_4 Depth=1
	s_load_b32 s9, s[42:43], 0x4
	v_mad_nc_u64_u32 v[44:45], s22, s34, v[42:43]
	v_mad_nc_u64_u32 v[46:47], s22, s34, v[40:41]
	s_mul_i32 s8, s23, s34
	s_mul_u64 s[6:7], s[30:31], s[34:35]
	v_mov_b32_e32 v48, v82
	s_mul_u64 s[4:5], s[24:25], s[34:35]
	s_lshl_b64 s[6:7], s[6:7], 4
	s_add_nc_u64 s[46:47], s[20:21], s[4:5]
	s_add_nc_u64 s[48:49], s[40:41], s[6:7]
	s_mov_b32 s58, s52
	s_delay_alu instid0(VALU_DEP_2)
	v_dual_add_nc_u32 v45, s8, v45 :: v_dual_add_nc_u32 v47, s8, v47
	s_wait_kmcnt 0x0
	s_lshl_b32 s57, s9, 5
	s_branch .LBB110_8
.LBB110_7:                              ;   in Loop: Header=BB110_8 Depth=2
	s_wait_xcnt 0x0
	s_or_b32 exec_lo, exec_lo, s4
	v_add_nc_u32_e32 v48, s57, v48
	s_add_co_i32 s58, s9, s58
	s_delay_alu instid0(SALU_CYCLE_1)
	s_cmp_gt_i32 s58, s33
	s_cbranch_scc1 .LBB110_2
.LBB110_8:                              ;   Parent Loop BB110_4 Depth=1
                                        ; =>  This Loop Header: Depth=2
                                        ;       Child Loop BB110_11 Depth 3
	v_lshl_add_u32 v50, s58, 5, v74
	s_and_not1_b32 vcc_lo, exec_lo, s55
	s_delay_alu instid0(VALU_DEP_1)
	v_ashrrev_i32_e32 v51, 31, v50
	s_cbranch_vccnz .LBB110_59
; %bb.9:                                ;   in Loop: Header=BB110_8 Depth=2
	v_ashrrev_i32_e32 v49, 31, v48
	v_mad_nc_u64_u32 v[52:53], s38, v48, s[46:47]
	s_delay_alu instid0(VALU_DEP_3)
	v_sub_nc_u64_e32 v[8:9], s[18:19], v[50:51]
	v_mov_b64_e32 v[16:17], 0
	v_mov_b64_e32 v[18:19], 0
	v_lshl_add_u64 v[2:3], v[48:49], 4, 0x100
	v_mov_b64_e32 v[66:67], 0
	v_mov_b64_e32 v[70:71], 0
	;; [unrolled: 1-line block ×3, first 2 shown]
	v_cmp_lt_i64_e64 s4, 16, v[8:9]
	v_mad_nc_u64_u32 v[54:55], s36, v2, s[46:47]
	v_mov_b64_e32 v[20:21], 0
	v_mad_u32 v10, s39, v48, v53
	v_mov_b64_e32 v[62:63], 0
	v_mov_b64_e32 v[60:61], 0
	;; [unrolled: 1-line block ×4, first 2 shown]
	s_mov_b64 s[50:51], 0
	v_cmp_lt_i64_e32 vcc_lo, 0, v[8:9]
	v_mad_u32 v2, s37, v2, v55
	v_mad_u32 v53, s38, v49, v10
	s_delay_alu instid0(VALU_DEP_2)
	v_mad_u32 v55, s36, v3, v2
	s_branch .LBB110_11
.LBB110_10:                             ;   in Loop: Header=BB110_11 Depth=3
	s_wait_xcnt 0x0
	s_or_b32 exec_lo, exec_lo, s5
	s_wait_dscnt 0x0
	s_barrier_signal -1
	s_barrier_wait -1
	ds_load_b128 v[84:87], v76
	ds_load_b128 v[88:91], v76 offset:16
	ds_load_b128 v[12:15], v76 offset:32
	;; [unrolled: 1-line block ×3, first 2 shown]
	ds_load_b128 v[92:95], v75
	v_add_nc_u64_e32 v[52:53], 0x200, v[52:53]
	v_add_nc_u64_e32 v[54:55], 0x200, v[54:55]
	;; [unrolled: 1-line block ×4, first 2 shown]
	s_add_nc_u64 s[50:51], s[50:51], 32
	s_delay_alu instid0(SALU_CYCLE_1) | instskip(SKIP_3) | instid1(VALU_DEP_2)
	s_cmp_ge_i32 s50, s54
	s_wait_dscnt 0x0
	v_mul_f64_e32 v[2:3], v[86:87], v[94:95]
	v_mul_f64_e32 v[64:65], v[84:85], v[94:95]
	v_fma_f64 v[2:3], v[84:85], v[92:93], -v[2:3]
	s_delay_alu instid0(VALU_DEP_2) | instskip(NEXT) | instid1(VALU_DEP_2)
	v_fmac_f64_e32 v[64:65], v[86:87], v[92:93]
	v_add_f64_e32 v[2:3], v[60:61], v[2:3]
	s_delay_alu instid0(VALU_DEP_2) | instskip(SKIP_4) | instid1(VALU_DEP_2)
	v_add_f64_e32 v[64:65], v[64:65], v[62:63]
	ds_load_b128 v[60:63], v75 offset:256
	s_wait_dscnt 0x0
	v_mul_f64_e32 v[68:69], v[86:87], v[62:63]
	v_mul_f64_e32 v[72:73], v[84:85], v[62:63]
	v_fma_f64 v[68:69], v[84:85], v[60:61], -v[68:69]
	s_delay_alu instid0(VALU_DEP_2) | instskip(NEXT) | instid1(VALU_DEP_2)
	v_fmac_f64_e32 v[72:73], v[86:87], v[60:61]
	v_add_f64_e32 v[84:85], v[20:21], v[68:69]
	s_delay_alu instid0(VALU_DEP_2) | instskip(SKIP_4) | instid1(VALU_DEP_2)
	v_add_f64_e32 v[86:87], v[72:73], v[22:23]
	ds_load_b128 v[20:23], v76 offset:8192
	s_wait_dscnt 0x0
	v_mul_f64_e32 v[72:73], v[20:21], v[94:95]
	v_mul_f64_e32 v[68:69], v[22:23], v[94:95]
	v_fmac_f64_e32 v[72:73], v[22:23], v[92:93]
	s_delay_alu instid0(VALU_DEP_2) | instskip(NEXT) | instid1(VALU_DEP_2)
	v_fma_f64 v[68:69], v[20:21], v[92:93], -v[68:69]
	v_add_f64_e32 v[72:73], v[72:73], v[66:67]
	v_mul_f64_e32 v[66:67], v[22:23], v[62:63]
	s_delay_alu instid0(VALU_DEP_3) | instskip(NEXT) | instid1(VALU_DEP_2)
	v_add_f64_e32 v[70:71], v[70:71], v[68:69]
	v_fma_f64 v[66:67], v[20:21], v[60:61], -v[66:67]
	v_mul_f64_e32 v[20:21], v[20:21], v[62:63]
	s_delay_alu instid0(VALU_DEP_2) | instskip(NEXT) | instid1(VALU_DEP_2)
	v_add_f64_e32 v[66:67], v[18:19], v[66:67]
	v_fmac_f64_e32 v[20:21], v[22:23], v[60:61]
	s_delay_alu instid0(VALU_DEP_1) | instskip(SKIP_4) | instid1(VALU_DEP_2)
	v_add_f64_e32 v[68:69], v[20:21], v[16:17]
	ds_load_b128 v[20:23], v75 offset:512
	s_wait_dscnt 0x0
	v_mul_f64_e32 v[16:17], v[90:91], v[22:23]
	v_mul_f64_e32 v[18:19], v[88:89], v[22:23]
	v_fma_f64 v[16:17], v[88:89], v[20:21], -v[16:17]
	s_delay_alu instid0(VALU_DEP_2) | instskip(NEXT) | instid1(VALU_DEP_2)
	v_fmac_f64_e32 v[18:19], v[90:91], v[20:21]
	v_add_f64_e32 v[62:63], v[2:3], v[16:17]
	s_delay_alu instid0(VALU_DEP_2) | instskip(SKIP_4) | instid1(VALU_DEP_2)
	v_add_f64_e32 v[64:65], v[18:19], v[64:65]
	ds_load_b128 v[16:19], v75 offset:768
	s_wait_dscnt 0x0
	v_mul_f64_e32 v[2:3], v[90:91], v[18:19]
	v_mul_f64_e32 v[60:61], v[88:89], v[18:19]
	v_fma_f64 v[2:3], v[88:89], v[16:17], -v[2:3]
	s_delay_alu instid0(VALU_DEP_2) | instskip(NEXT) | instid1(VALU_DEP_2)
	v_fmac_f64_e32 v[60:61], v[90:91], v[16:17]
	v_add_f64_e32 v[2:3], v[84:85], v[2:3]
	s_delay_alu instid0(VALU_DEP_2) | instskip(SKIP_4) | instid1(VALU_DEP_2)
	v_add_f64_e32 v[60:61], v[60:61], v[86:87]
	ds_load_b128 v[84:87], v76 offset:8208
	s_wait_dscnt 0x0
	v_mul_f64_e32 v[88:89], v[86:87], v[22:23]
	v_mul_f64_e32 v[22:23], v[84:85], v[22:23]
	v_fma_f64 v[88:89], v[84:85], v[20:21], -v[88:89]
	s_delay_alu instid0(VALU_DEP_2) | instskip(NEXT) | instid1(VALU_DEP_2)
	v_fmac_f64_e32 v[22:23], v[86:87], v[20:21]
	v_add_f64_e32 v[20:21], v[70:71], v[88:89]
	v_mul_f64_e32 v[70:71], v[86:87], v[18:19]
	v_mul_f64_e32 v[18:19], v[84:85], v[18:19]
	s_delay_alu instid0(VALU_DEP_4) | instskip(NEXT) | instid1(VALU_DEP_3)
	v_add_f64_e32 v[22:23], v[22:23], v[72:73]
	v_fma_f64 v[70:71], v[84:85], v[16:17], -v[70:71]
	s_delay_alu instid0(VALU_DEP_3) | instskip(NEXT) | instid1(VALU_DEP_2)
	v_fmac_f64_e32 v[18:19], v[86:87], v[16:17]
	v_add_f64_e32 v[16:17], v[66:67], v[70:71]
	s_delay_alu instid0(VALU_DEP_2) | instskip(SKIP_4) | instid1(VALU_DEP_2)
	v_add_f64_e32 v[18:19], v[18:19], v[68:69]
	ds_load_b128 v[66:69], v75 offset:1024
	s_wait_dscnt 0x0
	v_mul_f64_e32 v[70:71], v[14:15], v[68:69]
	v_mul_f64_e32 v[72:73], v[12:13], v[68:69]
	v_fma_f64 v[70:71], v[12:13], v[66:67], -v[70:71]
	s_delay_alu instid0(VALU_DEP_2) | instskip(NEXT) | instid1(VALU_DEP_2)
	v_fmac_f64_e32 v[72:73], v[14:15], v[66:67]
	v_add_f64_e32 v[84:85], v[62:63], v[70:71]
	s_delay_alu instid0(VALU_DEP_2) | instskip(SKIP_3) | instid1(VALU_DEP_1)
	v_add_f64_e32 v[86:87], v[72:73], v[64:65]
	ds_load_b128 v[70:73], v75 offset:1280
	s_wait_dscnt 0x0
	v_mul_f64_e32 v[62:63], v[14:15], v[72:73]
	v_fma_f64 v[62:63], v[12:13], v[70:71], -v[62:63]
	v_mul_f64_e32 v[12:13], v[12:13], v[72:73]
	s_delay_alu instid0(VALU_DEP_2) | instskip(NEXT) | instid1(VALU_DEP_2)
	v_add_f64_e32 v[2:3], v[2:3], v[62:63]
	v_fmac_f64_e32 v[12:13], v[14:15], v[70:71]
	s_delay_alu instid0(VALU_DEP_1) | instskip(SKIP_4) | instid1(VALU_DEP_2)
	v_add_f64_e32 v[88:89], v[12:13], v[60:61]
	ds_load_b128 v[12:15], v76 offset:8224
	s_wait_dscnt 0x0
	v_mul_f64_e32 v[60:61], v[14:15], v[68:69]
	v_mul_f64_e32 v[62:63], v[12:13], v[68:69]
	v_fma_f64 v[60:61], v[12:13], v[66:67], -v[60:61]
	s_delay_alu instid0(VALU_DEP_2) | instskip(NEXT) | instid1(VALU_DEP_2)
	v_fmac_f64_e32 v[62:63], v[14:15], v[66:67]
	v_add_f64_e32 v[64:65], v[20:21], v[60:61]
	v_mul_f64_e32 v[20:21], v[14:15], v[72:73]
	s_delay_alu instid0(VALU_DEP_3) | instskip(NEXT) | instid1(VALU_DEP_2)
	v_add_f64_e32 v[66:67], v[62:63], v[22:23]
	v_fma_f64 v[20:21], v[12:13], v[70:71], -v[20:21]
	v_mul_f64_e32 v[12:13], v[12:13], v[72:73]
	s_delay_alu instid0(VALU_DEP_2) | instskip(NEXT) | instid1(VALU_DEP_2)
	v_add_f64_e32 v[60:61], v[16:17], v[20:21]
	v_fmac_f64_e32 v[12:13], v[14:15], v[70:71]
	s_delay_alu instid0(VALU_DEP_1) | instskip(SKIP_4) | instid1(VALU_DEP_2)
	v_add_f64_e32 v[62:63], v[12:13], v[18:19]
	ds_load_b128 v[16:19], v75 offset:1536
	s_wait_dscnt 0x0
	v_mul_f64_e32 v[12:13], v[10:11], v[18:19]
	v_mul_f64_e32 v[14:15], v[8:9], v[18:19]
	v_fma_f64 v[12:13], v[8:9], v[16:17], -v[12:13]
	s_delay_alu instid0(VALU_DEP_2) | instskip(NEXT) | instid1(VALU_DEP_2)
	v_fmac_f64_e32 v[14:15], v[10:11], v[16:17]
	v_add_f64_e32 v[20:21], v[84:85], v[12:13]
	s_delay_alu instid0(VALU_DEP_2) | instskip(SKIP_3) | instid1(VALU_DEP_1)
	v_add_f64_e32 v[22:23], v[14:15], v[86:87]
	ds_load_b128 v[12:15], v75 offset:1792
	s_wait_dscnt 0x0
	v_mul_f64_e32 v[68:69], v[10:11], v[14:15]
	v_fma_f64 v[68:69], v[8:9], v[12:13], -v[68:69]
	v_mul_f64_e32 v[8:9], v[8:9], v[14:15]
	s_delay_alu instid0(VALU_DEP_2)
	v_add_f64_e32 v[2:3], v[2:3], v[68:69]
	ds_load_b128 v[68:71], v76 offset:8240
	v_fmac_f64_e32 v[8:9], v[10:11], v[12:13]
	s_wait_dscnt 0x0
	v_mul_f64_e32 v[10:11], v[70:71], v[18:19]
	v_mul_f64_e32 v[18:19], v[68:69], v[18:19]
	s_delay_alu instid0(VALU_DEP_3) | instskip(NEXT) | instid1(VALU_DEP_3)
	v_add_f64_e32 v[8:9], v[8:9], v[88:89]
	v_fma_f64 v[10:11], v[68:69], v[16:17], -v[10:11]
	s_delay_alu instid0(VALU_DEP_3) | instskip(NEXT) | instid1(VALU_DEP_2)
	v_fmac_f64_e32 v[18:19], v[70:71], v[16:17]
	v_add_f64_e32 v[10:11], v[64:65], v[10:11]
	s_delay_alu instid0(VALU_DEP_2) | instskip(SKIP_2) | instid1(VALU_DEP_2)
	v_add_f64_e32 v[16:17], v[18:19], v[66:67]
	v_mul_f64_e32 v[18:19], v[70:71], v[14:15]
	v_mul_f64_e32 v[14:15], v[68:69], v[14:15]
	v_fma_f64 v[18:19], v[68:69], v[12:13], -v[18:19]
	s_delay_alu instid0(VALU_DEP_2) | instskip(NEXT) | instid1(VALU_DEP_2)
	v_fmac_f64_e32 v[14:15], v[70:71], v[12:13]
	v_add_f64_e32 v[12:13], v[60:61], v[18:19]
	s_delay_alu instid0(VALU_DEP_2)
	v_add_f64_e32 v[60:61], v[14:15], v[62:63]
	ds_load_b128 v[62:65], v76 offset:64
	ds_load_b128 v[66:69], v75 offset:2048
	s_wait_dscnt 0x0
	v_mul_f64_e32 v[14:15], v[64:65], v[68:69]
	v_mul_f64_e32 v[70:71], v[62:63], v[68:69]
	s_delay_alu instid0(VALU_DEP_2) | instskip(NEXT) | instid1(VALU_DEP_2)
	v_fma_f64 v[14:15], v[62:63], v[66:67], -v[14:15]
	v_fmac_f64_e32 v[70:71], v[64:65], v[66:67]
	s_delay_alu instid0(VALU_DEP_2) | instskip(NEXT) | instid1(VALU_DEP_2)
	v_add_f64_e32 v[18:19], v[20:21], v[14:15]
	v_add_f64_e32 v[20:21], v[70:71], v[22:23]
	ds_load_b128 v[70:73], v75 offset:2304
	s_wait_dscnt 0x0
	v_mul_f64_e32 v[14:15], v[64:65], v[72:73]
	v_mul_f64_e32 v[22:23], v[62:63], v[72:73]
	s_delay_alu instid0(VALU_DEP_2) | instskip(NEXT) | instid1(VALU_DEP_2)
	v_fma_f64 v[14:15], v[62:63], v[70:71], -v[14:15]
	v_fmac_f64_e32 v[22:23], v[64:65], v[70:71]
	ds_load_b128 v[62:65], v76 offset:8256
	v_add_f64_e32 v[2:3], v[2:3], v[14:15]
	v_add_f64_e32 v[8:9], v[22:23], v[8:9]
	s_wait_dscnt 0x0
	v_mul_f64_e32 v[14:15], v[64:65], v[68:69]
	v_mul_f64_e32 v[22:23], v[62:63], v[68:69]
	s_delay_alu instid0(VALU_DEP_2) | instskip(NEXT) | instid1(VALU_DEP_2)
	v_fma_f64 v[14:15], v[62:63], v[66:67], -v[14:15]
	v_fmac_f64_e32 v[22:23], v[64:65], v[66:67]
	s_delay_alu instid0(VALU_DEP_2) | instskip(NEXT) | instid1(VALU_DEP_2)
	v_add_f64_e32 v[14:15], v[10:11], v[14:15]
	v_add_f64_e32 v[16:17], v[22:23], v[16:17]
	v_mul_f64_e32 v[10:11], v[64:65], v[72:73]
	v_mul_f64_e32 v[22:23], v[62:63], v[72:73]
	s_delay_alu instid0(VALU_DEP_2) | instskip(NEXT) | instid1(VALU_DEP_2)
	v_fma_f64 v[10:11], v[62:63], v[70:71], -v[10:11]
	v_fmac_f64_e32 v[22:23], v[64:65], v[70:71]
	s_delay_alu instid0(VALU_DEP_2) | instskip(NEXT) | instid1(VALU_DEP_2)
	v_add_f64_e32 v[10:11], v[12:13], v[10:11]
	v_add_f64_e32 v[12:13], v[22:23], v[60:61]
	ds_load_b128 v[60:63], v76 offset:80
	ds_load_b128 v[64:67], v75 offset:2560
	s_wait_dscnt 0x0
	v_mul_f64_e32 v[68:69], v[60:61], v[66:67]
	v_mul_f64_e32 v[22:23], v[62:63], v[66:67]
	s_delay_alu instid0(VALU_DEP_2) | instskip(NEXT) | instid1(VALU_DEP_2)
	v_fmac_f64_e32 v[68:69], v[62:63], v[64:65]
	v_fma_f64 v[22:23], v[60:61], v[64:65], -v[22:23]
	s_delay_alu instid0(VALU_DEP_2) | instskip(SKIP_4) | instid1(VALU_DEP_1)
	v_add_f64_e32 v[20:21], v[68:69], v[20:21]
	ds_load_b128 v[68:71], v75 offset:2816
	v_add_f64_e32 v[18:19], v[18:19], v[22:23]
	s_wait_dscnt 0x0
	v_mul_f64_e32 v[22:23], v[62:63], v[70:71]
	v_fma_f64 v[22:23], v[60:61], v[68:69], -v[22:23]
	v_mul_f64_e32 v[60:61], v[60:61], v[70:71]
	s_delay_alu instid0(VALU_DEP_2) | instskip(NEXT) | instid1(VALU_DEP_2)
	v_add_f64_e32 v[2:3], v[2:3], v[22:23]
	v_fmac_f64_e32 v[60:61], v[62:63], v[68:69]
	s_delay_alu instid0(VALU_DEP_1) | instskip(SKIP_4) | instid1(VALU_DEP_2)
	v_add_f64_e32 v[8:9], v[60:61], v[8:9]
	ds_load_b128 v[60:63], v76 offset:8272
	s_wait_dscnt 0x0
	v_mul_f64_e32 v[22:23], v[62:63], v[66:67]
	v_mul_f64_e32 v[66:67], v[60:61], v[66:67]
	v_fma_f64 v[22:23], v[60:61], v[64:65], -v[22:23]
	s_delay_alu instid0(VALU_DEP_2) | instskip(NEXT) | instid1(VALU_DEP_2)
	v_fmac_f64_e32 v[66:67], v[62:63], v[64:65]
	v_add_f64_e32 v[14:15], v[14:15], v[22:23]
	v_mul_f64_e32 v[22:23], v[62:63], v[70:71]
	s_delay_alu instid0(VALU_DEP_3) | instskip(NEXT) | instid1(VALU_DEP_2)
	v_add_f64_e32 v[16:17], v[66:67], v[16:17]
	v_fma_f64 v[22:23], v[60:61], v[68:69], -v[22:23]
	v_mul_f64_e32 v[60:61], v[60:61], v[70:71]
	s_delay_alu instid0(VALU_DEP_2) | instskip(NEXT) | instid1(VALU_DEP_2)
	v_add_f64_e32 v[10:11], v[10:11], v[22:23]
	v_fmac_f64_e32 v[60:61], v[62:63], v[68:69]
	s_delay_alu instid0(VALU_DEP_1)
	v_add_f64_e32 v[12:13], v[60:61], v[12:13]
	ds_load_b128 v[60:63], v76 offset:96
	ds_load_b128 v[64:67], v75 offset:3072
	s_wait_dscnt 0x0
	v_mul_f64_e32 v[68:69], v[60:61], v[66:67]
	v_mul_f64_e32 v[22:23], v[62:63], v[66:67]
	s_delay_alu instid0(VALU_DEP_2) | instskip(NEXT) | instid1(VALU_DEP_2)
	v_fmac_f64_e32 v[68:69], v[62:63], v[64:65]
	v_fma_f64 v[22:23], v[60:61], v[64:65], -v[22:23]
	s_delay_alu instid0(VALU_DEP_2) | instskip(SKIP_4) | instid1(VALU_DEP_1)
	v_add_f64_e32 v[20:21], v[68:69], v[20:21]
	ds_load_b128 v[68:71], v75 offset:3328
	v_add_f64_e32 v[18:19], v[18:19], v[22:23]
	s_wait_dscnt 0x0
	v_mul_f64_e32 v[22:23], v[62:63], v[70:71]
	v_fma_f64 v[22:23], v[60:61], v[68:69], -v[22:23]
	v_mul_f64_e32 v[60:61], v[60:61], v[70:71]
	s_delay_alu instid0(VALU_DEP_2) | instskip(NEXT) | instid1(VALU_DEP_2)
	v_add_f64_e32 v[2:3], v[2:3], v[22:23]
	v_fmac_f64_e32 v[60:61], v[62:63], v[68:69]
	s_delay_alu instid0(VALU_DEP_1) | instskip(SKIP_4) | instid1(VALU_DEP_2)
	v_add_f64_e32 v[8:9], v[60:61], v[8:9]
	ds_load_b128 v[60:63], v76 offset:8288
	s_wait_dscnt 0x0
	v_mul_f64_e32 v[22:23], v[62:63], v[66:67]
	v_mul_f64_e32 v[66:67], v[60:61], v[66:67]
	v_fma_f64 v[22:23], v[60:61], v[64:65], -v[22:23]
	s_delay_alu instid0(VALU_DEP_2) | instskip(NEXT) | instid1(VALU_DEP_2)
	v_fmac_f64_e32 v[66:67], v[62:63], v[64:65]
	v_add_f64_e32 v[14:15], v[14:15], v[22:23]
	v_mul_f64_e32 v[22:23], v[62:63], v[70:71]
	s_delay_alu instid0(VALU_DEP_3) | instskip(NEXT) | instid1(VALU_DEP_2)
	v_add_f64_e32 v[16:17], v[66:67], v[16:17]
	v_fma_f64 v[22:23], v[60:61], v[68:69], -v[22:23]
	v_mul_f64_e32 v[60:61], v[60:61], v[70:71]
	s_delay_alu instid0(VALU_DEP_2) | instskip(NEXT) | instid1(VALU_DEP_2)
	v_add_f64_e32 v[10:11], v[10:11], v[22:23]
	v_fmac_f64_e32 v[60:61], v[62:63], v[68:69]
	s_delay_alu instid0(VALU_DEP_1)
	;; [unrolled: 39-line block ×10, first 2 shown]
	v_add_f64_e32 v[12:13], v[60:61], v[12:13]
	ds_load_b128 v[60:63], v76 offset:240
	ds_load_b128 v[64:67], v75 offset:7680
	;; [unrolled: 1-line block ×3, first 2 shown]
	s_wait_dscnt 0x1
	v_mul_f64_e32 v[68:69], v[60:61], v[66:67]
	v_mul_f64_e32 v[22:23], v[62:63], v[66:67]
	s_delay_alu instid0(VALU_DEP_2) | instskip(NEXT) | instid1(VALU_DEP_2)
	v_fmac_f64_e32 v[68:69], v[62:63], v[64:65]
	v_fma_f64 v[22:23], v[60:61], v[64:65], -v[22:23]
	s_delay_alu instid0(VALU_DEP_2) | instskip(SKIP_4) | instid1(VALU_DEP_1)
	v_add_f64_e32 v[20:21], v[68:69], v[20:21]
	ds_load_b128 v[68:71], v75 offset:7936
	v_add_f64_e32 v[18:19], v[18:19], v[22:23]
	s_wait_dscnt 0x0
	v_mul_f64_e32 v[22:23], v[62:63], v[70:71]
	v_fma_f64 v[22:23], v[60:61], v[68:69], -v[22:23]
	v_mul_f64_e32 v[60:61], v[60:61], v[70:71]
	s_delay_alu instid0(VALU_DEP_2) | instskip(NEXT) | instid1(VALU_DEP_2)
	v_add_f64_e32 v[2:3], v[2:3], v[22:23]
	v_fmac_f64_e32 v[60:61], v[62:63], v[68:69]
	v_mul_f64_e32 v[22:23], v[86:87], v[66:67]
	s_delay_alu instid0(VALU_DEP_2) | instskip(SKIP_1) | instid1(VALU_DEP_3)
	v_add_f64_e32 v[8:9], v[60:61], v[8:9]
	v_mul_f64_e32 v[60:61], v[84:85], v[66:67]
	v_fma_f64 v[22:23], v[84:85], v[64:65], -v[22:23]
	s_delay_alu instid0(VALU_DEP_2) | instskip(NEXT) | instid1(VALU_DEP_2)
	v_fmac_f64_e32 v[60:61], v[86:87], v[64:65]
	v_add_f64_e32 v[22:23], v[14:15], v[22:23]
	v_mul_f64_e32 v[14:15], v[86:87], v[70:71]
	s_delay_alu instid0(VALU_DEP_3) | instskip(SKIP_1) | instid1(VALU_DEP_3)
	v_add_f64_e32 v[60:61], v[60:61], v[16:17]
	v_mul_f64_e32 v[16:17], v[84:85], v[70:71]
	v_fma_f64 v[14:15], v[84:85], v[68:69], -v[14:15]
	s_delay_alu instid0(VALU_DEP_2)
	v_fmac_f64_e32 v[16:17], v[86:87], v[68:69]
	ds_load_b128 v[62:65], v76 offset:256
	ds_load_b128 v[66:69], v75 offset:8192
	v_add_f64_e32 v[10:11], v[10:11], v[14:15]
	ds_load_b128 v[70:73], v75 offset:8448
	s_wait_dscnt 0x1
	v_mul_f64_e32 v[14:15], v[64:65], v[68:69]
	v_add_f64_e32 v[12:13], v[16:17], v[12:13]
	v_mul_f64_e32 v[16:17], v[62:63], v[68:69]
	s_delay_alu instid0(VALU_DEP_3) | instskip(NEXT) | instid1(VALU_DEP_2)
	v_fma_f64 v[14:15], v[62:63], v[66:67], -v[14:15]
	v_fmac_f64_e32 v[16:17], v[64:65], v[66:67]
	s_delay_alu instid0(VALU_DEP_2) | instskip(SKIP_2) | instid1(VALU_DEP_3)
	v_add_f64_e32 v[14:15], v[18:19], v[14:15]
	s_wait_dscnt 0x0
	v_mul_f64_e32 v[18:19], v[64:65], v[72:73]
	v_add_f64_e32 v[16:17], v[16:17], v[20:21]
	v_mul_f64_e32 v[20:21], v[62:63], v[72:73]
	s_delay_alu instid0(VALU_DEP_3) | instskip(NEXT) | instid1(VALU_DEP_2)
	v_fma_f64 v[18:19], v[62:63], v[70:71], -v[18:19]
	v_fmac_f64_e32 v[20:21], v[64:65], v[70:71]
	ds_load_b128 v[62:65], v76 offset:8448
	v_add_f64_e32 v[2:3], v[2:3], v[18:19]
	s_wait_dscnt 0x0
	v_mul_f64_e32 v[18:19], v[64:65], v[68:69]
	v_add_f64_e32 v[8:9], v[20:21], v[8:9]
	v_mul_f64_e32 v[20:21], v[62:63], v[68:69]
	s_delay_alu instid0(VALU_DEP_3) | instskip(NEXT) | instid1(VALU_DEP_2)
	v_fma_f64 v[18:19], v[62:63], v[66:67], -v[18:19]
	v_fmac_f64_e32 v[20:21], v[64:65], v[66:67]
	s_delay_alu instid0(VALU_DEP_2) | instskip(SKIP_1) | instid1(VALU_DEP_3)
	v_add_f64_e32 v[18:19], v[22:23], v[18:19]
	v_mul_f64_e32 v[22:23], v[64:65], v[72:73]
	v_add_f64_e32 v[20:21], v[20:21], v[60:61]
	v_mul_f64_e32 v[60:61], v[62:63], v[72:73]
	s_delay_alu instid0(VALU_DEP_3) | instskip(NEXT) | instid1(VALU_DEP_2)
	v_fma_f64 v[22:23], v[62:63], v[70:71], -v[22:23]
	v_fmac_f64_e32 v[60:61], v[64:65], v[70:71]
	s_delay_alu instid0(VALU_DEP_2) | instskip(NEXT) | instid1(VALU_DEP_2)
	v_add_f64_e32 v[10:11], v[10:11], v[22:23]
	v_add_f64_e32 v[12:13], v[60:61], v[12:13]
	ds_load_b128 v[60:63], v76 offset:272
	ds_load_b128 v[64:67], v75 offset:8704
	;; [unrolled: 1-line block ×3, first 2 shown]
	s_wait_dscnt 0x1
	v_mul_f64_e32 v[68:69], v[60:61], v[66:67]
	v_mul_f64_e32 v[22:23], v[62:63], v[66:67]
	s_delay_alu instid0(VALU_DEP_2) | instskip(NEXT) | instid1(VALU_DEP_2)
	v_fmac_f64_e32 v[68:69], v[62:63], v[64:65]
	v_fma_f64 v[22:23], v[60:61], v[64:65], -v[22:23]
	s_delay_alu instid0(VALU_DEP_2) | instskip(SKIP_4) | instid1(VALU_DEP_1)
	v_add_f64_e32 v[16:17], v[68:69], v[16:17]
	ds_load_b128 v[68:71], v75 offset:8960
	v_add_f64_e32 v[14:15], v[14:15], v[22:23]
	s_wait_dscnt 0x0
	v_mul_f64_e32 v[22:23], v[62:63], v[70:71]
	v_fma_f64 v[22:23], v[60:61], v[68:69], -v[22:23]
	v_mul_f64_e32 v[60:61], v[60:61], v[70:71]
	s_delay_alu instid0(VALU_DEP_2) | instskip(NEXT) | instid1(VALU_DEP_2)
	v_add_f64_e32 v[2:3], v[2:3], v[22:23]
	v_fmac_f64_e32 v[60:61], v[62:63], v[68:69]
	v_mul_f64_e32 v[22:23], v[86:87], v[66:67]
	s_delay_alu instid0(VALU_DEP_2) | instskip(SKIP_1) | instid1(VALU_DEP_3)
	v_add_f64_e32 v[8:9], v[60:61], v[8:9]
	v_mul_f64_e32 v[60:61], v[84:85], v[66:67]
	v_fma_f64 v[22:23], v[84:85], v[64:65], -v[22:23]
	s_delay_alu instid0(VALU_DEP_2) | instskip(NEXT) | instid1(VALU_DEP_2)
	v_fmac_f64_e32 v[60:61], v[86:87], v[64:65]
	v_add_f64_e32 v[22:23], v[18:19], v[22:23]
	v_mul_f64_e32 v[18:19], v[86:87], v[70:71]
	s_delay_alu instid0(VALU_DEP_3) | instskip(SKIP_1) | instid1(VALU_DEP_3)
	v_add_f64_e32 v[60:61], v[60:61], v[20:21]
	v_mul_f64_e32 v[20:21], v[84:85], v[70:71]
	v_fma_f64 v[18:19], v[84:85], v[68:69], -v[18:19]
	s_delay_alu instid0(VALU_DEP_2)
	v_fmac_f64_e32 v[20:21], v[86:87], v[68:69]
	ds_load_b128 v[62:65], v76 offset:288
	ds_load_b128 v[66:69], v75 offset:9216
	v_add_f64_e32 v[10:11], v[10:11], v[18:19]
	ds_load_b128 v[70:73], v75 offset:9472
	s_wait_dscnt 0x1
	v_mul_f64_e32 v[18:19], v[64:65], v[68:69]
	v_add_f64_e32 v[12:13], v[20:21], v[12:13]
	v_mul_f64_e32 v[20:21], v[62:63], v[68:69]
	s_delay_alu instid0(VALU_DEP_3) | instskip(NEXT) | instid1(VALU_DEP_2)
	v_fma_f64 v[18:19], v[62:63], v[66:67], -v[18:19]
	v_fmac_f64_e32 v[20:21], v[64:65], v[66:67]
	s_delay_alu instid0(VALU_DEP_2) | instskip(SKIP_2) | instid1(VALU_DEP_3)
	v_add_f64_e32 v[18:19], v[14:15], v[18:19]
	s_wait_dscnt 0x0
	v_mul_f64_e32 v[14:15], v[64:65], v[72:73]
	v_add_f64_e32 v[20:21], v[20:21], v[16:17]
	v_mul_f64_e32 v[16:17], v[62:63], v[72:73]
	s_delay_alu instid0(VALU_DEP_3) | instskip(NEXT) | instid1(VALU_DEP_2)
	v_fma_f64 v[14:15], v[62:63], v[70:71], -v[14:15]
	v_fmac_f64_e32 v[16:17], v[64:65], v[70:71]
	ds_load_b128 v[62:65], v76 offset:8480
	v_add_f64_e32 v[2:3], v[2:3], v[14:15]
	s_wait_dscnt 0x0
	v_mul_f64_e32 v[14:15], v[64:65], v[68:69]
	v_add_f64_e32 v[8:9], v[16:17], v[8:9]
	v_mul_f64_e32 v[16:17], v[62:63], v[68:69]
	s_delay_alu instid0(VALU_DEP_3) | instskip(NEXT) | instid1(VALU_DEP_2)
	v_fma_f64 v[14:15], v[62:63], v[66:67], -v[14:15]
	v_fmac_f64_e32 v[16:17], v[64:65], v[66:67]
	s_delay_alu instid0(VALU_DEP_2) | instskip(SKIP_1) | instid1(VALU_DEP_3)
	v_add_f64_e32 v[14:15], v[22:23], v[14:15]
	v_mul_f64_e32 v[22:23], v[64:65], v[72:73]
	v_add_f64_e32 v[16:17], v[16:17], v[60:61]
	v_mul_f64_e32 v[60:61], v[62:63], v[72:73]
	s_delay_alu instid0(VALU_DEP_3) | instskip(NEXT) | instid1(VALU_DEP_2)
	v_fma_f64 v[22:23], v[62:63], v[70:71], -v[22:23]
	v_fmac_f64_e32 v[60:61], v[64:65], v[70:71]
	s_delay_alu instid0(VALU_DEP_2) | instskip(NEXT) | instid1(VALU_DEP_2)
	v_add_f64_e32 v[10:11], v[10:11], v[22:23]
	v_add_f64_e32 v[12:13], v[60:61], v[12:13]
	ds_load_b128 v[60:63], v76 offset:304
	ds_load_b128 v[64:67], v75 offset:9728
	s_wait_dscnt 0x0
	v_mul_f64_e32 v[68:69], v[60:61], v[66:67]
	v_mul_f64_e32 v[22:23], v[62:63], v[66:67]
	s_delay_alu instid0(VALU_DEP_2) | instskip(NEXT) | instid1(VALU_DEP_2)
	v_fmac_f64_e32 v[68:69], v[62:63], v[64:65]
	v_fma_f64 v[22:23], v[60:61], v[64:65], -v[22:23]
	s_delay_alu instid0(VALU_DEP_2) | instskip(SKIP_4) | instid1(VALU_DEP_1)
	v_add_f64_e32 v[20:21], v[68:69], v[20:21]
	ds_load_b128 v[68:71], v75 offset:9984
	v_add_f64_e32 v[18:19], v[18:19], v[22:23]
	s_wait_dscnt 0x0
	v_mul_f64_e32 v[22:23], v[62:63], v[70:71]
	v_fma_f64 v[22:23], v[60:61], v[68:69], -v[22:23]
	v_mul_f64_e32 v[60:61], v[60:61], v[70:71]
	s_delay_alu instid0(VALU_DEP_2) | instskip(NEXT) | instid1(VALU_DEP_2)
	v_add_f64_e32 v[2:3], v[2:3], v[22:23]
	v_fmac_f64_e32 v[60:61], v[62:63], v[68:69]
	s_delay_alu instid0(VALU_DEP_1) | instskip(SKIP_4) | instid1(VALU_DEP_2)
	v_add_f64_e32 v[8:9], v[60:61], v[8:9]
	ds_load_b128 v[60:63], v76 offset:8496
	s_wait_dscnt 0x0
	v_mul_f64_e32 v[22:23], v[62:63], v[66:67]
	v_mul_f64_e32 v[66:67], v[60:61], v[66:67]
	v_fma_f64 v[22:23], v[60:61], v[64:65], -v[22:23]
	s_delay_alu instid0(VALU_DEP_2) | instskip(NEXT) | instid1(VALU_DEP_2)
	v_fmac_f64_e32 v[66:67], v[62:63], v[64:65]
	v_add_f64_e32 v[14:15], v[14:15], v[22:23]
	v_mul_f64_e32 v[22:23], v[62:63], v[70:71]
	s_delay_alu instid0(VALU_DEP_3) | instskip(NEXT) | instid1(VALU_DEP_2)
	v_add_f64_e32 v[16:17], v[66:67], v[16:17]
	v_fma_f64 v[22:23], v[60:61], v[68:69], -v[22:23]
	v_mul_f64_e32 v[60:61], v[60:61], v[70:71]
	s_delay_alu instid0(VALU_DEP_2) | instskip(NEXT) | instid1(VALU_DEP_2)
	v_add_f64_e32 v[22:23], v[10:11], v[22:23]
	v_fmac_f64_e32 v[60:61], v[62:63], v[68:69]
	ds_load_b128 v[62:65], v76 offset:320
	ds_load_b128 v[66:69], v75 offset:10240
	;; [unrolled: 1-line block ×3, first 2 shown]
	s_wait_dscnt 0x1
	v_mul_f64_e32 v[10:11], v[64:65], v[68:69]
	v_add_f64_e32 v[60:61], v[60:61], v[12:13]
	v_mul_f64_e32 v[12:13], v[62:63], v[68:69]
	s_delay_alu instid0(VALU_DEP_3) | instskip(NEXT) | instid1(VALU_DEP_2)
	v_fma_f64 v[10:11], v[62:63], v[66:67], -v[10:11]
	v_fmac_f64_e32 v[12:13], v[64:65], v[66:67]
	s_delay_alu instid0(VALU_DEP_2) | instskip(SKIP_2) | instid1(VALU_DEP_3)
	v_add_f64_e32 v[10:11], v[18:19], v[10:11]
	s_wait_dscnt 0x0
	v_mul_f64_e32 v[18:19], v[64:65], v[72:73]
	v_add_f64_e32 v[12:13], v[12:13], v[20:21]
	v_mul_f64_e32 v[20:21], v[62:63], v[72:73]
	s_delay_alu instid0(VALU_DEP_3) | instskip(NEXT) | instid1(VALU_DEP_2)
	v_fma_f64 v[18:19], v[62:63], v[70:71], -v[18:19]
	v_fmac_f64_e32 v[20:21], v[64:65], v[70:71]
	ds_load_b128 v[62:65], v76 offset:8512
	v_add_f64_e32 v[2:3], v[2:3], v[18:19]
	s_wait_dscnt 0x0
	v_mul_f64_e32 v[18:19], v[64:65], v[68:69]
	v_add_f64_e32 v[8:9], v[20:21], v[8:9]
	v_mul_f64_e32 v[20:21], v[62:63], v[68:69]
	s_delay_alu instid0(VALU_DEP_3) | instskip(NEXT) | instid1(VALU_DEP_2)
	v_fma_f64 v[18:19], v[62:63], v[66:67], -v[18:19]
	v_fmac_f64_e32 v[20:21], v[64:65], v[66:67]
	s_delay_alu instid0(VALU_DEP_2) | instskip(SKIP_1) | instid1(VALU_DEP_3)
	v_add_f64_e32 v[18:19], v[14:15], v[18:19]
	v_mul_f64_e32 v[14:15], v[64:65], v[72:73]
	v_add_f64_e32 v[20:21], v[20:21], v[16:17]
	v_mul_f64_e32 v[16:17], v[62:63], v[72:73]
	s_delay_alu instid0(VALU_DEP_3) | instskip(NEXT) | instid1(VALU_DEP_2)
	v_fma_f64 v[14:15], v[62:63], v[70:71], -v[14:15]
	v_fmac_f64_e32 v[16:17], v[64:65], v[70:71]
	s_delay_alu instid0(VALU_DEP_2) | instskip(NEXT) | instid1(VALU_DEP_2)
	v_add_f64_e32 v[14:15], v[22:23], v[14:15]
	v_add_f64_e32 v[16:17], v[16:17], v[60:61]
	ds_load_b128 v[60:63], v76 offset:336
	ds_load_b128 v[64:67], v75 offset:10752
	s_wait_dscnt 0x0
	v_mul_f64_e32 v[68:69], v[60:61], v[66:67]
	v_mul_f64_e32 v[22:23], v[62:63], v[66:67]
	s_delay_alu instid0(VALU_DEP_2) | instskip(NEXT) | instid1(VALU_DEP_2)
	v_fmac_f64_e32 v[68:69], v[62:63], v[64:65]
	v_fma_f64 v[22:23], v[60:61], v[64:65], -v[22:23]
	s_delay_alu instid0(VALU_DEP_2) | instskip(SKIP_4) | instid1(VALU_DEP_1)
	v_add_f64_e32 v[12:13], v[68:69], v[12:13]
	ds_load_b128 v[68:71], v75 offset:11008
	v_add_f64_e32 v[10:11], v[10:11], v[22:23]
	s_wait_dscnt 0x0
	v_mul_f64_e32 v[22:23], v[62:63], v[70:71]
	v_fma_f64 v[22:23], v[60:61], v[68:69], -v[22:23]
	v_mul_f64_e32 v[60:61], v[60:61], v[70:71]
	s_delay_alu instid0(VALU_DEP_2) | instskip(NEXT) | instid1(VALU_DEP_2)
	v_add_f64_e32 v[2:3], v[2:3], v[22:23]
	v_fmac_f64_e32 v[60:61], v[62:63], v[68:69]
	s_delay_alu instid0(VALU_DEP_1) | instskip(SKIP_4) | instid1(VALU_DEP_2)
	v_add_f64_e32 v[8:9], v[60:61], v[8:9]
	ds_load_b128 v[60:63], v76 offset:8528
	s_wait_dscnt 0x0
	v_mul_f64_e32 v[22:23], v[62:63], v[66:67]
	v_mul_f64_e32 v[66:67], v[60:61], v[66:67]
	v_fma_f64 v[22:23], v[60:61], v[64:65], -v[22:23]
	s_delay_alu instid0(VALU_DEP_2) | instskip(NEXT) | instid1(VALU_DEP_2)
	v_fmac_f64_e32 v[66:67], v[62:63], v[64:65]
	v_add_f64_e32 v[18:19], v[18:19], v[22:23]
	v_mul_f64_e32 v[22:23], v[62:63], v[70:71]
	s_delay_alu instid0(VALU_DEP_3) | instskip(NEXT) | instid1(VALU_DEP_2)
	v_add_f64_e32 v[20:21], v[66:67], v[20:21]
	v_fma_f64 v[22:23], v[60:61], v[68:69], -v[22:23]
	v_mul_f64_e32 v[60:61], v[60:61], v[70:71]
	s_delay_alu instid0(VALU_DEP_2) | instskip(NEXT) | instid1(VALU_DEP_2)
	v_add_f64_e32 v[22:23], v[14:15], v[22:23]
	v_fmac_f64_e32 v[60:61], v[62:63], v[68:69]
	s_delay_alu instid0(VALU_DEP_1)
	v_add_f64_e32 v[60:61], v[60:61], v[16:17]
	ds_load_b128 v[14:17], v76 offset:352
	ds_load_b128 v[66:69], v75 offset:11264
	s_wait_dscnt 0x0
	v_mul_f64_e32 v[62:63], v[16:17], v[68:69]
	v_mul_f64_e32 v[64:65], v[14:15], v[68:69]
	s_delay_alu instid0(VALU_DEP_2) | instskip(NEXT) | instid1(VALU_DEP_2)
	v_fma_f64 v[62:63], v[14:15], v[66:67], -v[62:63]
	v_fmac_f64_e32 v[64:65], v[16:17], v[66:67]
	s_delay_alu instid0(VALU_DEP_2) | instskip(NEXT) | instid1(VALU_DEP_2)
	v_add_f64_e32 v[62:63], v[10:11], v[62:63]
	v_add_f64_e32 v[64:65], v[64:65], v[12:13]
	ds_load_b128 v[10:13], v75 offset:11520
	s_wait_dscnt 0x0
	v_mul_f64_e32 v[70:71], v[16:17], v[12:13]
	s_delay_alu instid0(VALU_DEP_1) | instskip(SKIP_1) | instid1(VALU_DEP_2)
	v_fma_f64 v[70:71], v[14:15], v[10:11], -v[70:71]
	v_mul_f64_e32 v[14:15], v[14:15], v[12:13]
	v_add_f64_e32 v[2:3], v[2:3], v[70:71]
	s_delay_alu instid0(VALU_DEP_2)
	v_fmac_f64_e32 v[14:15], v[16:17], v[10:11]
	ds_load_b128 v[70:73], v76 offset:8544
	s_wait_dscnt 0x0
	v_mul_f64_e32 v[16:17], v[70:71], v[68:69]
	v_add_f64_e32 v[8:9], v[14:15], v[8:9]
	v_mul_f64_e32 v[14:15], v[72:73], v[68:69]
	s_delay_alu instid0(VALU_DEP_3) | instskip(NEXT) | instid1(VALU_DEP_2)
	v_fmac_f64_e32 v[16:17], v[72:73], v[66:67]
	v_fma_f64 v[14:15], v[70:71], v[66:67], -v[14:15]
	s_delay_alu instid0(VALU_DEP_2) | instskip(NEXT) | instid1(VALU_DEP_2)
	v_add_f64_e32 v[16:17], v[16:17], v[20:21]
	v_add_f64_e32 v[14:15], v[18:19], v[14:15]
	v_mul_f64_e32 v[18:19], v[72:73], v[12:13]
	v_mul_f64_e32 v[12:13], v[70:71], v[12:13]
	s_delay_alu instid0(VALU_DEP_2) | instskip(NEXT) | instid1(VALU_DEP_2)
	v_fma_f64 v[18:19], v[70:71], v[10:11], -v[18:19]
	v_fmac_f64_e32 v[12:13], v[72:73], v[10:11]
	ds_load_b128 v[66:69], v76 offset:368
	ds_load_b128 v[70:73], v75 offset:11776
	s_wait_dscnt 0x0
	v_mul_f64_e32 v[20:21], v[66:67], v[72:73]
	v_add_f64_e32 v[10:11], v[22:23], v[18:19]
	v_mul_f64_e32 v[18:19], v[68:69], v[72:73]
	v_add_f64_e32 v[12:13], v[12:13], v[60:61]
	s_delay_alu instid0(VALU_DEP_4) | instskip(NEXT) | instid1(VALU_DEP_3)
	v_fmac_f64_e32 v[20:21], v[68:69], v[70:71]
	v_fma_f64 v[18:19], v[66:67], v[70:71], -v[18:19]
	s_delay_alu instid0(VALU_DEP_2) | instskip(NEXT) | instid1(VALU_DEP_2)
	v_add_f64_e32 v[20:21], v[20:21], v[64:65]
	v_add_f64_e32 v[18:19], v[62:63], v[18:19]
	ds_load_b128 v[62:65], v75 offset:12032
	s_wait_dscnt 0x0
	v_mul_f64_e32 v[60:61], v[66:67], v[64:65]
	v_mul_f64_e32 v[22:23], v[68:69], v[64:65]
	s_delay_alu instid0(VALU_DEP_2) | instskip(NEXT) | instid1(VALU_DEP_2)
	v_fmac_f64_e32 v[60:61], v[68:69], v[62:63]
	v_fma_f64 v[22:23], v[66:67], v[62:63], -v[22:23]
	ds_load_b128 v[66:69], v76 offset:8560
	v_add_f64_e32 v[8:9], v[60:61], v[8:9]
	s_wait_dscnt 0x0
	v_mul_f64_e32 v[60:61], v[66:67], v[72:73]
	v_add_f64_e32 v[2:3], v[2:3], v[22:23]
	v_mul_f64_e32 v[22:23], v[68:69], v[72:73]
	s_delay_alu instid0(VALU_DEP_3) | instskip(NEXT) | instid1(VALU_DEP_2)
	v_fmac_f64_e32 v[60:61], v[68:69], v[70:71]
	v_fma_f64 v[22:23], v[66:67], v[70:71], -v[22:23]
	s_delay_alu instid0(VALU_DEP_2) | instskip(SKIP_1) | instid1(VALU_DEP_3)
	v_add_f64_e32 v[60:61], v[60:61], v[16:17]
	v_mul_f64_e32 v[16:17], v[66:67], v[64:65]
	v_add_f64_e32 v[22:23], v[14:15], v[22:23]
	v_mul_f64_e32 v[14:15], v[68:69], v[64:65]
	s_delay_alu instid0(VALU_DEP_3) | instskip(NEXT) | instid1(VALU_DEP_2)
	v_fmac_f64_e32 v[16:17], v[68:69], v[62:63]
	v_fma_f64 v[14:15], v[66:67], v[62:63], -v[14:15]
	ds_load_b128 v[62:65], v76 offset:384
	ds_load_b128 v[66:69], v75 offset:12288
	;; [unrolled: 1-line block ×3, first 2 shown]
	v_add_f64_e32 v[12:13], v[16:17], v[12:13]
	s_wait_dscnt 0x1
	v_mul_f64_e32 v[16:17], v[62:63], v[68:69]
	v_add_f64_e32 v[10:11], v[10:11], v[14:15]
	v_mul_f64_e32 v[14:15], v[64:65], v[68:69]
	s_delay_alu instid0(VALU_DEP_3) | instskip(NEXT) | instid1(VALU_DEP_2)
	v_fmac_f64_e32 v[16:17], v[64:65], v[66:67]
	v_fma_f64 v[14:15], v[62:63], v[66:67], -v[14:15]
	s_delay_alu instid0(VALU_DEP_2) | instskip(SKIP_2) | instid1(VALU_DEP_3)
	v_add_f64_e32 v[16:17], v[16:17], v[20:21]
	s_wait_dscnt 0x0
	v_mul_f64_e32 v[20:21], v[62:63], v[72:73]
	v_add_f64_e32 v[14:15], v[18:19], v[14:15]
	v_mul_f64_e32 v[18:19], v[64:65], v[72:73]
	s_delay_alu instid0(VALU_DEP_3) | instskip(NEXT) | instid1(VALU_DEP_2)
	v_fmac_f64_e32 v[20:21], v[64:65], v[70:71]
	v_fma_f64 v[18:19], v[62:63], v[70:71], -v[18:19]
	ds_load_b128 v[62:65], v76 offset:8576
	v_add_f64_e32 v[8:9], v[20:21], v[8:9]
	s_wait_dscnt 0x0
	v_mul_f64_e32 v[20:21], v[62:63], v[68:69]
	v_add_f64_e32 v[2:3], v[2:3], v[18:19]
	v_mul_f64_e32 v[18:19], v[64:65], v[68:69]
	s_delay_alu instid0(VALU_DEP_3) | instskip(NEXT) | instid1(VALU_DEP_2)
	v_fmac_f64_e32 v[20:21], v[64:65], v[66:67]
	v_fma_f64 v[18:19], v[62:63], v[66:67], -v[18:19]
	s_delay_alu instid0(VALU_DEP_2) | instskip(SKIP_1) | instid1(VALU_DEP_3)
	v_add_f64_e32 v[20:21], v[20:21], v[60:61]
	v_mul_f64_e32 v[60:61], v[62:63], v[72:73]
	v_add_f64_e32 v[18:19], v[22:23], v[18:19]
	v_mul_f64_e32 v[22:23], v[64:65], v[72:73]
	s_delay_alu instid0(VALU_DEP_3) | instskip(NEXT) | instid1(VALU_DEP_2)
	v_fmac_f64_e32 v[60:61], v[64:65], v[70:71]
	v_fma_f64 v[22:23], v[62:63], v[70:71], -v[22:23]
	s_delay_alu instid0(VALU_DEP_2)
	v_add_f64_e32 v[12:13], v[60:61], v[12:13]
	ds_load_b128 v[60:63], v76 offset:400
	ds_load_b128 v[64:67], v75 offset:12800
	v_add_f64_e32 v[10:11], v[10:11], v[22:23]
	s_wait_dscnt 0x0
	v_mul_f64_e32 v[68:69], v[60:61], v[66:67]
	v_mul_f64_e32 v[22:23], v[62:63], v[66:67]
	s_delay_alu instid0(VALU_DEP_2) | instskip(NEXT) | instid1(VALU_DEP_2)
	v_fmac_f64_e32 v[68:69], v[62:63], v[64:65]
	v_fma_f64 v[22:23], v[60:61], v[64:65], -v[22:23]
	s_delay_alu instid0(VALU_DEP_2) | instskip(SKIP_4) | instid1(VALU_DEP_1)
	v_add_f64_e32 v[16:17], v[68:69], v[16:17]
	ds_load_b128 v[68:71], v75 offset:13056
	v_add_f64_e32 v[14:15], v[14:15], v[22:23]
	s_wait_dscnt 0x0
	v_mul_f64_e32 v[22:23], v[62:63], v[70:71]
	v_fma_f64 v[22:23], v[60:61], v[68:69], -v[22:23]
	v_mul_f64_e32 v[60:61], v[60:61], v[70:71]
	s_delay_alu instid0(VALU_DEP_2) | instskip(NEXT) | instid1(VALU_DEP_2)
	v_add_f64_e32 v[2:3], v[2:3], v[22:23]
	v_fmac_f64_e32 v[60:61], v[62:63], v[68:69]
	s_delay_alu instid0(VALU_DEP_1) | instskip(SKIP_4) | instid1(VALU_DEP_2)
	v_add_f64_e32 v[8:9], v[60:61], v[8:9]
	ds_load_b128 v[60:63], v76 offset:8592
	s_wait_dscnt 0x0
	v_mul_f64_e32 v[22:23], v[62:63], v[66:67]
	v_mul_f64_e32 v[66:67], v[60:61], v[66:67]
	v_fma_f64 v[22:23], v[60:61], v[64:65], -v[22:23]
	s_delay_alu instid0(VALU_DEP_2) | instskip(NEXT) | instid1(VALU_DEP_2)
	v_fmac_f64_e32 v[66:67], v[62:63], v[64:65]
	v_add_f64_e32 v[18:19], v[18:19], v[22:23]
	v_mul_f64_e32 v[22:23], v[62:63], v[70:71]
	s_delay_alu instid0(VALU_DEP_3) | instskip(NEXT) | instid1(VALU_DEP_2)
	v_add_f64_e32 v[20:21], v[66:67], v[20:21]
	v_fma_f64 v[22:23], v[60:61], v[68:69], -v[22:23]
	v_mul_f64_e32 v[60:61], v[60:61], v[70:71]
	s_delay_alu instid0(VALU_DEP_2) | instskip(NEXT) | instid1(VALU_DEP_2)
	v_add_f64_e32 v[22:23], v[10:11], v[22:23]
	v_fmac_f64_e32 v[60:61], v[62:63], v[68:69]
	ds_load_b128 v[62:65], v76 offset:416
	ds_load_b128 v[66:69], v75 offset:13312
	s_wait_dscnt 0x0
	v_mul_f64_e32 v[10:11], v[64:65], v[68:69]
	v_add_f64_e32 v[60:61], v[60:61], v[12:13]
	v_mul_f64_e32 v[12:13], v[62:63], v[68:69]
	s_delay_alu instid0(VALU_DEP_3) | instskip(NEXT) | instid1(VALU_DEP_2)
	v_fma_f64 v[10:11], v[62:63], v[66:67], -v[10:11]
	v_fmac_f64_e32 v[12:13], v[64:65], v[66:67]
	s_delay_alu instid0(VALU_DEP_2) | instskip(NEXT) | instid1(VALU_DEP_2)
	v_add_f64_e32 v[10:11], v[14:15], v[10:11]
	v_add_f64_e32 v[12:13], v[12:13], v[16:17]
	ds_load_b128 v[14:17], v75 offset:13568
	s_wait_dscnt 0x0
	v_mul_f64_e32 v[70:71], v[64:65], v[16:17]
	s_delay_alu instid0(VALU_DEP_1) | instskip(SKIP_1) | instid1(VALU_DEP_2)
	v_fma_f64 v[70:71], v[62:63], v[14:15], -v[70:71]
	v_mul_f64_e32 v[62:63], v[62:63], v[16:17]
	v_add_f64_e32 v[2:3], v[2:3], v[70:71]
	s_delay_alu instid0(VALU_DEP_2) | instskip(NEXT) | instid1(VALU_DEP_1)
	v_fmac_f64_e32 v[62:63], v[64:65], v[14:15]
	v_add_f64_e32 v[8:9], v[62:63], v[8:9]
	ds_load_b128 v[62:65], v76 offset:8608
	s_wait_dscnt 0x0
	v_mul_f64_e32 v[70:71], v[64:65], v[68:69]
	v_mul_f64_e32 v[68:69], v[62:63], v[68:69]
	s_delay_alu instid0(VALU_DEP_2) | instskip(NEXT) | instid1(VALU_DEP_2)
	v_fma_f64 v[70:71], v[62:63], v[66:67], -v[70:71]
	v_fmac_f64_e32 v[68:69], v[64:65], v[66:67]
	v_mul_f64_e32 v[66:67], v[64:65], v[16:17]
	v_mul_f64_e32 v[16:17], v[62:63], v[16:17]
	s_delay_alu instid0(VALU_DEP_4) | instskip(NEXT) | instid1(VALU_DEP_4)
	v_add_f64_e32 v[18:19], v[18:19], v[70:71]
	v_add_f64_e32 v[20:21], v[68:69], v[20:21]
	s_delay_alu instid0(VALU_DEP_4) | instskip(NEXT) | instid1(VALU_DEP_4)
	v_fma_f64 v[66:67], v[62:63], v[14:15], -v[66:67]
	v_fmac_f64_e32 v[16:17], v[64:65], v[14:15]
	s_delay_alu instid0(VALU_DEP_2) | instskip(NEXT) | instid1(VALU_DEP_2)
	v_add_f64_e32 v[14:15], v[22:23], v[66:67]
	v_add_f64_e32 v[16:17], v[16:17], v[60:61]
	ds_load_b128 v[60:63], v76 offset:432
	ds_load_b128 v[64:67], v75 offset:13824
	s_wait_dscnt 0x0
	v_mul_f64_e32 v[68:69], v[60:61], v[66:67]
	v_mul_f64_e32 v[22:23], v[62:63], v[66:67]
	s_delay_alu instid0(VALU_DEP_2) | instskip(NEXT) | instid1(VALU_DEP_2)
	v_fmac_f64_e32 v[68:69], v[62:63], v[64:65]
	v_fma_f64 v[22:23], v[60:61], v[64:65], -v[22:23]
	s_delay_alu instid0(VALU_DEP_2) | instskip(SKIP_4) | instid1(VALU_DEP_1)
	v_add_f64_e32 v[12:13], v[68:69], v[12:13]
	ds_load_b128 v[68:71], v75 offset:14080
	v_add_f64_e32 v[10:11], v[10:11], v[22:23]
	s_wait_dscnt 0x0
	v_mul_f64_e32 v[22:23], v[62:63], v[70:71]
	v_fma_f64 v[22:23], v[60:61], v[68:69], -v[22:23]
	v_mul_f64_e32 v[60:61], v[60:61], v[70:71]
	s_delay_alu instid0(VALU_DEP_2) | instskip(NEXT) | instid1(VALU_DEP_2)
	v_add_f64_e32 v[2:3], v[2:3], v[22:23]
	v_fmac_f64_e32 v[60:61], v[62:63], v[68:69]
	s_delay_alu instid0(VALU_DEP_1) | instskip(SKIP_4) | instid1(VALU_DEP_2)
	v_add_f64_e32 v[8:9], v[60:61], v[8:9]
	ds_load_b128 v[60:63], v76 offset:8624
	s_wait_dscnt 0x0
	v_mul_f64_e32 v[22:23], v[62:63], v[66:67]
	v_mul_f64_e32 v[66:67], v[60:61], v[66:67]
	v_fma_f64 v[22:23], v[60:61], v[64:65], -v[22:23]
	s_delay_alu instid0(VALU_DEP_2) | instskip(NEXT) | instid1(VALU_DEP_2)
	v_fmac_f64_e32 v[66:67], v[62:63], v[64:65]
	v_add_f64_e32 v[18:19], v[18:19], v[22:23]
	v_mul_f64_e32 v[22:23], v[62:63], v[70:71]
	s_delay_alu instid0(VALU_DEP_3) | instskip(NEXT) | instid1(VALU_DEP_2)
	v_add_f64_e32 v[20:21], v[66:67], v[20:21]
	v_fma_f64 v[22:23], v[60:61], v[68:69], -v[22:23]
	v_mul_f64_e32 v[60:61], v[60:61], v[70:71]
	s_delay_alu instid0(VALU_DEP_2) | instskip(NEXT) | instid1(VALU_DEP_2)
	v_add_f64_e32 v[22:23], v[14:15], v[22:23]
	v_fmac_f64_e32 v[60:61], v[62:63], v[68:69]
	s_delay_alu instid0(VALU_DEP_1)
	v_add_f64_e32 v[60:61], v[60:61], v[16:17]
	ds_load_b128 v[14:17], v76 offset:448
	ds_load_b128 v[64:67], v75 offset:14336
	s_wait_dscnt 0x0
	v_mul_f64_e32 v[68:69], v[14:15], v[66:67]
	v_mul_f64_e32 v[62:63], v[16:17], v[66:67]
	s_delay_alu instid0(VALU_DEP_2) | instskip(NEXT) | instid1(VALU_DEP_2)
	v_fmac_f64_e32 v[68:69], v[16:17], v[64:65]
	v_fma_f64 v[62:63], v[14:15], v[64:65], -v[62:63]
	s_delay_alu instid0(VALU_DEP_2) | instskip(SKIP_4) | instid1(VALU_DEP_1)
	v_add_f64_e32 v[12:13], v[68:69], v[12:13]
	ds_load_b128 v[68:71], v75 offset:14592
	v_add_f64_e32 v[62:63], v[10:11], v[62:63]
	s_wait_dscnt 0x0
	v_mul_f64_e32 v[10:11], v[16:17], v[70:71]
	v_fma_f64 v[10:11], v[14:15], v[68:69], -v[10:11]
	v_mul_f64_e32 v[14:15], v[14:15], v[70:71]
	s_delay_alu instid0(VALU_DEP_2) | instskip(NEXT) | instid1(VALU_DEP_2)
	v_add_f64_e32 v[2:3], v[2:3], v[10:11]
	v_fmac_f64_e32 v[14:15], v[16:17], v[68:69]
	s_delay_alu instid0(VALU_DEP_1) | instskip(SKIP_4) | instid1(VALU_DEP_2)
	v_add_f64_e32 v[72:73], v[14:15], v[8:9]
	ds_load_b128 v[8:11], v76 offset:8640
	s_wait_dscnt 0x0
	v_mul_f64_e32 v[14:15], v[10:11], v[66:67]
	v_mul_f64_e32 v[16:17], v[8:9], v[66:67]
	v_fma_f64 v[14:15], v[8:9], v[64:65], -v[14:15]
	s_delay_alu instid0(VALU_DEP_2) | instskip(NEXT) | instid1(VALU_DEP_2)
	v_fmac_f64_e32 v[16:17], v[10:11], v[64:65]
	v_add_f64_e32 v[14:15], v[18:19], v[14:15]
	v_mul_f64_e32 v[18:19], v[10:11], v[70:71]
	s_delay_alu instid0(VALU_DEP_3) | instskip(SKIP_1) | instid1(VALU_DEP_3)
	v_add_f64_e32 v[16:17], v[16:17], v[20:21]
	v_mul_f64_e32 v[20:21], v[8:9], v[70:71]
	v_fma_f64 v[18:19], v[8:9], v[68:69], -v[18:19]
	s_delay_alu instid0(VALU_DEP_2)
	v_fmac_f64_e32 v[20:21], v[10:11], v[68:69]
	ds_load_b128 v[64:67], v76 offset:464
	ds_load_b128 v[68:71], v75 offset:14848
	v_add_f64_e32 v[8:9], v[22:23], v[18:19]
	s_wait_dscnt 0x0
	v_mul_f64_e32 v[18:19], v[66:67], v[70:71]
	v_add_f64_e32 v[10:11], v[20:21], v[60:61]
	v_mul_f64_e32 v[20:21], v[64:65], v[70:71]
	s_delay_alu instid0(VALU_DEP_3) | instskip(NEXT) | instid1(VALU_DEP_2)
	v_fma_f64 v[18:19], v[64:65], v[68:69], -v[18:19]
	v_fmac_f64_e32 v[20:21], v[66:67], v[68:69]
	s_delay_alu instid0(VALU_DEP_2)
	v_add_f64_e32 v[18:19], v[62:63], v[18:19]
	ds_load_b128 v[60:63], v75 offset:15104
	v_add_f64_e32 v[20:21], v[20:21], v[12:13]
	s_wait_dscnt 0x0
	v_mul_f64_e32 v[12:13], v[66:67], v[62:63]
	v_mul_f64_e32 v[22:23], v[64:65], v[62:63]
	s_delay_alu instid0(VALU_DEP_2) | instskip(NEXT) | instid1(VALU_DEP_2)
	v_fma_f64 v[12:13], v[64:65], v[60:61], -v[12:13]
	v_fmac_f64_e32 v[22:23], v[66:67], v[60:61]
	ds_load_b128 v[64:67], v76 offset:8656
	v_add_f64_e32 v[2:3], v[2:3], v[12:13]
	v_add_f64_e32 v[12:13], v[22:23], v[72:73]
	s_wait_dscnt 0x0
	v_mul_f64_e32 v[22:23], v[66:67], v[70:71]
	v_mul_f64_e32 v[70:71], v[64:65], v[70:71]
	s_delay_alu instid0(VALU_DEP_2) | instskip(NEXT) | instid1(VALU_DEP_2)
	v_fma_f64 v[22:23], v[64:65], v[68:69], -v[22:23]
	v_fmac_f64_e32 v[70:71], v[66:67], v[68:69]
	s_delay_alu instid0(VALU_DEP_2) | instskip(NEXT) | instid1(VALU_DEP_2)
	v_add_f64_e32 v[14:15], v[14:15], v[22:23]
	v_add_f64_e32 v[22:23], v[70:71], v[16:17]
	v_mul_f64_e32 v[16:17], v[66:67], v[62:63]
	v_mul_f64_e32 v[62:63], v[64:65], v[62:63]
	s_delay_alu instid0(VALU_DEP_2) | instskip(NEXT) | instid1(VALU_DEP_2)
	v_fma_f64 v[16:17], v[64:65], v[60:61], -v[16:17]
	v_fmac_f64_e32 v[62:63], v[66:67], v[60:61]
	ds_load_b128 v[64:67], v76 offset:480
	ds_load_b128 v[68:71], v75 offset:15360
	ds_load_b128 v[84:87], v75 offset:15616
	ds_load_b128 v[88:91], v76 offset:8672
	v_add_f64_e32 v[60:61], v[8:9], v[16:17]
	s_wait_dscnt 0x2
	v_mul_f64_e32 v[8:9], v[66:67], v[70:71]
	s_wait_dscnt 0x1
	v_mul_f64_e32 v[16:17], v[66:67], v[86:87]
	v_add_f64_e32 v[62:63], v[62:63], v[10:11]
	v_mul_f64_e32 v[10:11], v[64:65], v[70:71]
	s_delay_alu instid0(VALU_DEP_4) | instskip(NEXT) | instid1(VALU_DEP_4)
	v_fma_f64 v[8:9], v[64:65], v[68:69], -v[8:9]
	v_fma_f64 v[16:17], v[64:65], v[84:85], -v[16:17]
	s_delay_alu instid0(VALU_DEP_3) | instskip(NEXT) | instid1(VALU_DEP_3)
	v_fmac_f64_e32 v[10:11], v[66:67], v[68:69]
	v_add_f64_e32 v[8:9], v[18:19], v[8:9]
	v_mul_f64_e32 v[18:19], v[64:65], v[86:87]
	s_delay_alu instid0(VALU_DEP_4) | instskip(SKIP_3) | instid1(VALU_DEP_4)
	v_add_f64_e32 v[16:17], v[2:3], v[16:17]
	s_wait_dscnt 0x0
	v_mul_f64_e32 v[2:3], v[90:91], v[70:71]
	v_add_f64_e32 v[10:11], v[10:11], v[20:21]
	v_fmac_f64_e32 v[18:19], v[66:67], v[84:85]
	s_delay_alu instid0(VALU_DEP_3) | instskip(NEXT) | instid1(VALU_DEP_2)
	v_fma_f64 v[2:3], v[88:89], v[68:69], -v[2:3]
	v_add_f64_e32 v[18:19], v[18:19], v[12:13]
	v_mul_f64_e32 v[12:13], v[88:89], v[70:71]
	s_delay_alu instid0(VALU_DEP_3) | instskip(SKIP_1) | instid1(VALU_DEP_3)
	v_add_f64_e32 v[66:67], v[14:15], v[2:3]
	v_mul_f64_e32 v[2:3], v[90:91], v[86:87]
	v_fmac_f64_e32 v[12:13], v[90:91], v[68:69]
	s_delay_alu instid0(VALU_DEP_2) | instskip(NEXT) | instid1(VALU_DEP_2)
	v_fma_f64 v[2:3], v[88:89], v[84:85], -v[2:3]
	v_add_f64_e32 v[68:69], v[12:13], v[22:23]
	v_mul_f64_e32 v[12:13], v[88:89], v[86:87]
	s_delay_alu instid0(VALU_DEP_3) | instskip(NEXT) | instid1(VALU_DEP_2)
	v_add_f64_e32 v[2:3], v[60:61], v[2:3]
	v_fmac_f64_e32 v[12:13], v[90:91], v[84:85]
	s_delay_alu instid0(VALU_DEP_1)
	v_add_f64_e32 v[64:65], v[12:13], v[62:63]
	ds_load_b128 v[20:23], v76 offset:496
	ds_load_b128 v[12:15], v75 offset:15872
	s_wait_dscnt 0x0
	v_mul_f64_e32 v[60:61], v[22:23], v[14:15]
	v_mul_f64_e32 v[62:63], v[20:21], v[14:15]
	s_delay_alu instid0(VALU_DEP_2) | instskip(NEXT) | instid1(VALU_DEP_2)
	v_fma_f64 v[60:61], v[20:21], v[12:13], -v[60:61]
	v_fmac_f64_e32 v[62:63], v[22:23], v[12:13]
	s_delay_alu instid0(VALU_DEP_2) | instskip(NEXT) | instid1(VALU_DEP_2)
	v_add_f64_e32 v[60:61], v[8:9], v[60:61]
	v_add_f64_e32 v[62:63], v[62:63], v[10:11]
	ds_load_b128 v[8:11], v75 offset:16128
	s_wait_dscnt 0x0
	v_mul_f64_e32 v[70:71], v[22:23], v[10:11]
	v_mul_f64_e32 v[72:73], v[20:21], v[10:11]
	s_delay_alu instid0(VALU_DEP_2) | instskip(NEXT) | instid1(VALU_DEP_2)
	v_fma_f64 v[70:71], v[20:21], v[8:9], -v[70:71]
	v_fmac_f64_e32 v[72:73], v[22:23], v[8:9]
	s_delay_alu instid0(VALU_DEP_2) | instskip(NEXT) | instid1(VALU_DEP_2)
	v_add_f64_e32 v[20:21], v[16:17], v[70:71]
	v_add_f64_e32 v[22:23], v[72:73], v[18:19]
	ds_load_b128 v[16:19], v76 offset:8688
	s_wait_dscnt 0x0
	s_barrier_signal -1
	s_barrier_wait -1
	v_mul_f64_e32 v[70:71], v[18:19], v[14:15]
	v_mul_f64_e32 v[14:15], v[16:17], v[14:15]
	s_delay_alu instid0(VALU_DEP_2) | instskip(NEXT) | instid1(VALU_DEP_2)
	v_fma_f64 v[70:71], v[16:17], v[12:13], -v[70:71]
	v_fmac_f64_e32 v[14:15], v[18:19], v[12:13]
	v_mul_f64_e32 v[12:13], v[18:19], v[10:11]
	v_mul_f64_e32 v[10:11], v[16:17], v[10:11]
	s_delay_alu instid0(VALU_DEP_4) | instskip(NEXT) | instid1(VALU_DEP_4)
	v_add_f64_e32 v[70:71], v[66:67], v[70:71]
	v_add_f64_e32 v[66:67], v[14:15], v[68:69]
	s_delay_alu instid0(VALU_DEP_4) | instskip(NEXT) | instid1(VALU_DEP_4)
	v_fma_f64 v[12:13], v[16:17], v[8:9], -v[12:13]
	v_fmac_f64_e32 v[10:11], v[18:19], v[8:9]
	s_delay_alu instid0(VALU_DEP_2) | instskip(NEXT) | instid1(VALU_DEP_2)
	v_add_f64_e32 v[18:19], v[2:3], v[12:13]
	v_add_f64_e32 v[16:17], v[10:11], v[64:65]
	s_cbranch_scc1 .LBB110_60
.LBB110_11:                             ;   Parent Loop BB110_4 Depth=1
                                        ;     Parent Loop BB110_8 Depth=2
                                        ; =>    This Inner Loop Header: Depth=3
	v_add_nc_u64_e32 v[8:9], s[50:51], v[24:25]
	v_cmp_eq_u64_e64 s7, s[50:51], v[32:33]
	v_add_nc_u64_e32 v[10:11], v[56:57], v[34:35]
	s_delay_alu instid0(VALU_DEP_3) | instskip(SKIP_3) | instid1(SALU_CYCLE_1)
	v_cmp_le_i64_e64 s6, s[16:17], v[8:9]
	v_cmp_lt_i64_e64 s5, v[8:9], v[26:27]
	s_and_b32 s60, s56, s7
	s_or_b32 s7, s6, s5
	s_or_b32 s7, s7, s60
	s_delay_alu instid0(SALU_CYCLE_1) | instskip(NEXT) | instid1(SALU_CYCLE_1)
	s_nor_b32 s7, s0, s7
	s_and_saveexec_b32 s8, s7
	s_delay_alu instid0(SALU_CYCLE_1)
	s_xor_b32 s7, exec_lo, s8
	s_cbranch_execz .LBB110_13
; %bb.12:                               ;   in Loop: Header=BB110_11 Depth=3
	global_load_b128 v[12:15], v[10:11], off offset:-256
	s_wait_loadcnt 0x0
	ds_store_2addr_b64 v78, v[12:13], v[14:15] offset1:1
.LBB110_13:                             ;   in Loop: Header=BB110_11 Depth=3
	s_wait_xcnt 0x0
	s_or_saveexec_b32 s7, s7
	s_xor_b32 s59, s60, -1
	s_xor_b32 exec_lo, exec_lo, s7
	s_cbranch_execz .LBB110_19
; %bb.14:                               ;   in Loop: Header=BB110_11 Depth=3
	s_and_saveexec_b32 s8, s59
	s_delay_alu instid0(SALU_CYCLE_1)
	s_xor_b32 s8, exec_lo, s8
; %bb.15:                               ;   in Loop: Header=BB110_11 Depth=3
	v_dual_mov_b32 v12, v0 :: v_dual_mov_b32 v13, v0
	v_dual_mov_b32 v14, v0 :: v_dual_mov_b32 v15, v0
	ds_store_b128 v78, v[12:15]
; %bb.16:                               ;   in Loop: Header=BB110_11 Depth=3
	s_and_not1_saveexec_b32 s8, s8
; %bb.17:                               ;   in Loop: Header=BB110_11 Depth=3
	v_dual_mov_b32 v2, v0 :: v_dual_mov_b32 v3, v0
	ds_store_b128 v78, v[0:3]
; %bb.18:                               ;   in Loop: Header=BB110_11 Depth=3
	s_or_b32 exec_lo, exec_lo, s8
.LBB110_19:                             ;   in Loop: Header=BB110_11 Depth=3
	s_delay_alu instid0(SALU_CYCLE_1) | instskip(SKIP_4) | instid1(SALU_CYCLE_1)
	s_or_b32 exec_lo, exec_lo, s7
	v_cmp_eq_u64_e64 s7, s[50:51], v[36:37]
	v_cmp_gt_i64_e64 s8, v[30:31], v[8:9]
	s_and_b32 s7, s56, s7
	s_or_b32 s6, s6, s8
	s_or_b32 s6, s6, s7
	s_delay_alu instid0(SALU_CYCLE_1) | instskip(NEXT) | instid1(SALU_CYCLE_1)
	s_nor_b32 s6, s3, s6
	s_and_saveexec_b32 s8, s6
	s_delay_alu instid0(SALU_CYCLE_1)
	s_xor_b32 s6, exec_lo, s8
	s_cbranch_execz .LBB110_21
; %bb.20:                               ;   in Loop: Header=BB110_11 Depth=3
	global_load_b128 v[10:13], v[10:11], off
	v_add_nc_u32_e32 v2, 0x100, v78
	s_wait_loadcnt 0x0
	ds_store_2addr_b64 v2, v[10:11], v[12:13] offset1:1
.LBB110_21:                             ;   in Loop: Header=BB110_11 Depth=3
	s_wait_xcnt 0x0
	s_and_not1_saveexec_b32 s6, s6
	s_cbranch_execz .LBB110_27
; %bb.22:                               ;   in Loop: Header=BB110_11 Depth=3
	s_xor_b32 s7, s7, -1
	s_delay_alu instid0(SALU_CYCLE_1) | instskip(NEXT) | instid1(SALU_CYCLE_1)
	s_and_saveexec_b32 s8, s7
	s_xor_b32 s7, exec_lo, s8
; %bb.23:                               ;   in Loop: Header=BB110_11 Depth=3
	v_dual_mov_b32 v10, v0 :: v_dual_mov_b32 v11, v0
	v_dual_mov_b32 v12, v0 :: v_dual_mov_b32 v13, v0
	ds_store_b128 v78, v[10:13] offset:256
; %bb.24:                               ;   in Loop: Header=BB110_11 Depth=3
	s_and_not1_saveexec_b32 s7, s7
; %bb.25:                               ;   in Loop: Header=BB110_11 Depth=3
	v_dual_mov_b32 v2, v0 :: v_dual_mov_b32 v3, v0
	ds_store_b128 v78, v[0:3] offset:256
; %bb.26:                               ;   in Loop: Header=BB110_11 Depth=3
	s_or_b32 exec_lo, exec_lo, s7
.LBB110_27:                             ;   in Loop: Header=BB110_11 Depth=3
	s_delay_alu instid0(SALU_CYCLE_1) | instskip(SKIP_3) | instid1(VALU_DEP_3)
	s_or_b32 exec_lo, exec_lo, s6
	v_add_nc_u64_e32 v[2:3], 16, v[8:9]
	v_cmp_eq_u64_e64 s7, s[50:51], v[38:39]
	v_add_nc_u64_e32 v[8:9], v[58:59], v[34:35]
	v_cmp_le_i64_e64 s6, s[16:17], v[2:3]
	v_cmp_lt_i64_e64 s8, v[2:3], v[26:27]
	s_and_b32 s61, s56, s7
	s_or_b32 s7, s6, s8
	s_delay_alu instid0(SALU_CYCLE_1) | instskip(NEXT) | instid1(SALU_CYCLE_1)
	s_or_b32 s7, s7, s61
	s_nor_b32 s7, s0, s7
	s_delay_alu instid0(SALU_CYCLE_1) | instskip(NEXT) | instid1(SALU_CYCLE_1)
	s_and_saveexec_b32 s8, s7
	s_xor_b32 s7, exec_lo, s8
	s_cbranch_execz .LBB110_29
; %bb.28:                               ;   in Loop: Header=BB110_11 Depth=3
	global_load_b128 v[10:13], v[8:9], off offset:-256
	v_add_nc_u32_e32 v2, 0x2000, v78
	s_wait_loadcnt 0x0
	ds_store_2addr_b64 v2, v[10:11], v[12:13] offset1:1
.LBB110_29:                             ;   in Loop: Header=BB110_11 Depth=3
	s_wait_xcnt 0x0
	s_and_not1_saveexec_b32 s7, s7
	s_cbranch_execz .LBB110_35
; %bb.30:                               ;   in Loop: Header=BB110_11 Depth=3
	s_xor_b32 s8, s61, -1
	s_delay_alu instid0(SALU_CYCLE_1) | instskip(NEXT) | instid1(SALU_CYCLE_1)
	s_and_saveexec_b32 s61, s8
	s_xor_b32 s8, exec_lo, s61
; %bb.31:                               ;   in Loop: Header=BB110_11 Depth=3
	v_dual_mov_b32 v10, v0 :: v_dual_mov_b32 v11, v0
	v_dual_mov_b32 v12, v0 :: v_dual_mov_b32 v13, v0
	ds_store_b128 v78, v[10:13] offset:8192
; %bb.32:                               ;   in Loop: Header=BB110_11 Depth=3
	s_and_not1_saveexec_b32 s8, s8
; %bb.33:                               ;   in Loop: Header=BB110_11 Depth=3
	v_dual_mov_b32 v2, v0 :: v_dual_mov_b32 v3, v0
	ds_store_b128 v78, v[0:3] offset:8192
; %bb.34:                               ;   in Loop: Header=BB110_11 Depth=3
	s_or_b32 exec_lo, exec_lo, s8
.LBB110_35:                             ;   in Loop: Header=BB110_11 Depth=3
	s_delay_alu instid0(SALU_CYCLE_1) | instskip(SKIP_1) | instid1(SALU_CYCLE_1)
	s_or_b32 exec_lo, exec_lo, s7
	s_or_b32 s5, s6, s5
	s_or_b32 s5, s5, s60
	s_delay_alu instid0(SALU_CYCLE_1) | instskip(NEXT) | instid1(SALU_CYCLE_1)
	s_nor_b32 s5, s3, s5
	s_and_saveexec_b32 s6, s5
	s_delay_alu instid0(SALU_CYCLE_1)
	s_xor_b32 s5, exec_lo, s6
	s_cbranch_execz .LBB110_37
; %bb.36:                               ;   in Loop: Header=BB110_11 Depth=3
	global_load_b128 v[8:11], v[8:9], off
	v_add_nc_u32_e32 v2, 0x2100, v78
	s_wait_loadcnt 0x0
	ds_store_2addr_b64 v2, v[8:9], v[10:11] offset1:1
.LBB110_37:                             ;   in Loop: Header=BB110_11 Depth=3
	s_wait_xcnt 0x0
	s_and_not1_saveexec_b32 s5, s5
	s_cbranch_execz .LBB110_43
; %bb.38:                               ;   in Loop: Header=BB110_11 Depth=3
	s_and_saveexec_b32 s6, s59
	s_delay_alu instid0(SALU_CYCLE_1)
	s_xor_b32 s6, exec_lo, s6
; %bb.39:                               ;   in Loop: Header=BB110_11 Depth=3
	v_dual_mov_b32 v8, v0 :: v_dual_mov_b32 v9, v0
	v_dual_mov_b32 v10, v0 :: v_dual_mov_b32 v11, v0
	ds_store_b128 v78, v[8:11] offset:8448
; %bb.40:                               ;   in Loop: Header=BB110_11 Depth=3
	s_and_not1_saveexec_b32 s6, s6
; %bb.41:                               ;   in Loop: Header=BB110_11 Depth=3
	v_dual_mov_b32 v2, v0 :: v_dual_mov_b32 v3, v0
	ds_store_b128 v78, v[0:3] offset:8448
; %bb.42:                               ;   in Loop: Header=BB110_11 Depth=3
	s_or_b32 exec_lo, exec_lo, s6
.LBB110_43:                             ;   in Loop: Header=BB110_11 Depth=3
	s_delay_alu instid0(SALU_CYCLE_1) | instskip(SKIP_1) | instid1(VALU_DEP_1)
	s_or_b32 exec_lo, exec_lo, s5
	v_add_nc_u64_e32 v[2:3], s[50:51], v[26:27]
	v_cmp_gt_i64_e64 s5, s[16:17], v[2:3]
	s_and_b32 s6, vcc_lo, s5
	s_delay_alu instid0(SALU_CYCLE_1) | instskip(NEXT) | instid1(SALU_CYCLE_1)
	s_xor_b32 s6, s6, -1
	s_and_saveexec_b32 s7, s6
	s_delay_alu instid0(SALU_CYCLE_1)
	s_xor_b32 s6, exec_lo, s7
; %bb.44:                               ;   in Loop: Header=BB110_11 Depth=3
	v_dual_mov_b32 v8, v0 :: v_dual_mov_b32 v9, v0
	v_dual_mov_b32 v10, v0 :: v_dual_mov_b32 v11, v0
	ds_store_b128 v77, v[8:11]
; %bb.45:                               ;   in Loop: Header=BB110_11 Depth=3
	s_or_saveexec_b32 s6, s6
	v_add_nc_u64_e32 v[8:9], v[52:53], v[34:35]
	s_xor_b32 exec_lo, exec_lo, s6
	s_cbranch_execz .LBB110_47
; %bb.46:                               ;   in Loop: Header=BB110_11 Depth=3
	global_load_b128 v[10:13], v[8:9], off offset:-256
	s_wait_loadcnt 0x0
	ds_store_2addr_b64 v77, v[10:11], v[12:13] offset1:1
.LBB110_47:                             ;   in Loop: Header=BB110_11 Depth=3
	s_wait_xcnt 0x0
	s_or_b32 exec_lo, exec_lo, s6
	v_cmp_gt_i64_e64 s6, s[26:27], v[2:3]
	s_and_b32 s7, vcc_lo, s6
	s_delay_alu instid0(SALU_CYCLE_1) | instskip(NEXT) | instid1(SALU_CYCLE_1)
	s_xor_b32 s7, s7, -1
	s_and_saveexec_b32 s8, s7
	s_delay_alu instid0(SALU_CYCLE_1)
	s_xor_b32 s7, exec_lo, s8
; %bb.48:                               ;   in Loop: Header=BB110_11 Depth=3
	v_dual_mov_b32 v8, v0 :: v_dual_mov_b32 v9, v0
	v_dual_mov_b32 v10, v0 :: v_dual_mov_b32 v11, v0
	ds_store_b128 v77, v[8:11] offset:256
                                        ; implicit-def: $vgpr8_vgpr9
; %bb.49:                               ;   in Loop: Header=BB110_11 Depth=3
	s_and_not1_saveexec_b32 s7, s7
	s_cbranch_execz .LBB110_51
; %bb.50:                               ;   in Loop: Header=BB110_11 Depth=3
	global_load_b128 v[8:11], v[8:9], off
	s_wait_loadcnt 0x0
	ds_store_2addr_b64 v79, v[8:9], v[10:11] offset1:1
.LBB110_51:                             ;   in Loop: Header=BB110_11 Depth=3
	s_wait_xcnt 0x0
	s_or_b32 exec_lo, exec_lo, s7
	s_and_b32 s5, s4, s5
	s_delay_alu instid0(SALU_CYCLE_1) | instskip(NEXT) | instid1(SALU_CYCLE_1)
	s_xor_b32 s5, s5, -1
	s_and_saveexec_b32 s7, s5
	s_delay_alu instid0(SALU_CYCLE_1)
	s_xor_b32 s5, exec_lo, s7
; %bb.52:                               ;   in Loop: Header=BB110_11 Depth=3
	v_dual_mov_b32 v8, v0 :: v_dual_mov_b32 v9, v0
	v_dual_mov_b32 v10, v0 :: v_dual_mov_b32 v11, v0
	ds_store_b128 v77, v[8:11] offset:8192
; %bb.53:                               ;   in Loop: Header=BB110_11 Depth=3
	s_or_saveexec_b32 s5, s5
	v_add_nc_u64_e32 v[2:3], v[54:55], v[34:35]
	s_xor_b32 exec_lo, exec_lo, s5
	s_cbranch_execz .LBB110_55
; %bb.54:                               ;   in Loop: Header=BB110_11 Depth=3
	global_load_b128 v[8:11], v[2:3], off offset:-256
	s_wait_loadcnt 0x0
	ds_store_2addr_b64 v80, v[8:9], v[10:11] offset1:1
.LBB110_55:                             ;   in Loop: Header=BB110_11 Depth=3
	s_wait_xcnt 0x0
	s_or_b32 exec_lo, exec_lo, s5
	s_and_b32 s5, s4, s6
	s_delay_alu instid0(SALU_CYCLE_1) | instskip(NEXT) | instid1(SALU_CYCLE_1)
	s_xor_b32 s5, s5, -1
	s_and_saveexec_b32 s6, s5
	s_delay_alu instid0(SALU_CYCLE_1)
	s_xor_b32 s5, exec_lo, s6
; %bb.56:                               ;   in Loop: Header=BB110_11 Depth=3
	v_dual_mov_b32 v8, v0 :: v_dual_mov_b32 v9, v0
	v_dual_mov_b32 v10, v0 :: v_dual_mov_b32 v11, v0
                                        ; implicit-def: $vgpr2_vgpr3
	ds_store_b128 v77, v[8:11] offset:8448
; %bb.57:                               ;   in Loop: Header=BB110_11 Depth=3
	s_and_not1_saveexec_b32 s5, s5
	s_cbranch_execz .LBB110_10
; %bb.58:                               ;   in Loop: Header=BB110_11 Depth=3
	global_load_b128 v[8:11], v[2:3], off
	s_wait_loadcnt 0x0
	ds_store_2addr_b64 v81, v[8:9], v[10:11] offset1:1
	s_branch .LBB110_10
.LBB110_59:                             ;   in Loop: Header=BB110_8 Depth=2
	v_mov_b64_e32 v[60:61], 0
	v_mov_b64_e32 v[62:63], 0
	;; [unrolled: 1-line block ×8, first 2 shown]
.LBB110_60:                             ;   in Loop: Header=BB110_8 Depth=2
	v_mul_u64_e32 v[2:3], s[28:29], v[50:51]
	v_cmp_gt_i32_e32 vcc_lo, s10, v50
	s_and_b32 s5, s1, vcc_lo
	s_delay_alu instid0(VALU_DEP_2)
	v_lshl_add_u64 v[2:3], v[2:3], 4, s[48:49]
	s_and_saveexec_b32 s4, s5
	s_cbranch_execz .LBB110_62
; %bb.61:                               ;   in Loop: Header=BB110_8 Depth=2
	s_delay_alu instid0(VALU_DEP_1)
	v_lshl_add_u64 v[12:13], v[26:27], 4, v[2:3]
	v_mul_f64_e32 v[14:15], v[6:7], v[62:63]
	v_mul_f64_e32 v[52:53], v[4:5], v[62:63]
	global_load_b128 v[8:11], v[12:13], off
	v_fma_f64 v[14:15], v[4:5], v[60:61], -v[14:15]
	v_fmac_f64_e32 v[52:53], v[6:7], v[60:61]
	s_wait_loadcnt 0x0
	s_delay_alu instid0(VALU_DEP_2) | instskip(NEXT) | instid1(VALU_DEP_2)
	v_add_f64_e32 v[8:9], v[8:9], v[14:15]
	v_add_f64_e32 v[10:11], v[52:53], v[10:11]
	global_store_b128 v[12:13], v[8:11], off
.LBB110_62:                             ;   in Loop: Header=BB110_8 Depth=2
	s_wait_xcnt 0x0
	s_or_b32 exec_lo, exec_lo, s4
	s_and_b32 s5, s2, vcc_lo
	s_delay_alu instid0(SALU_CYCLE_1)
	s_and_saveexec_b32 s4, s5
	s_cbranch_execz .LBB110_64
; %bb.63:                               ;   in Loop: Header=BB110_8 Depth=2
	v_lshl_add_u64 v[2:3], v[28:29], 4, v[2:3]
	v_mul_f64_e32 v[12:13], v[6:7], v[22:23]
	v_mul_f64_e32 v[14:15], v[4:5], v[22:23]
	global_load_b128 v[8:11], v[2:3], off
	v_fma_f64 v[12:13], v[4:5], v[20:21], -v[12:13]
	v_fmac_f64_e32 v[14:15], v[6:7], v[20:21]
	s_wait_loadcnt 0x0
	s_delay_alu instid0(VALU_DEP_2) | instskip(NEXT) | instid1(VALU_DEP_2)
	v_add_f64_e32 v[8:9], v[8:9], v[12:13]
	v_add_f64_e32 v[10:11], v[14:15], v[10:11]
	global_store_b128 v[2:3], v[8:11], off
.LBB110_64:                             ;   in Loop: Header=BB110_8 Depth=2
	s_wait_xcnt 0x0
	s_or_b32 exec_lo, exec_lo, s4
	v_add_nc_u32_e32 v2, 16, v50
	s_delay_alu instid0(VALU_DEP_1) | instskip(SKIP_1) | instid1(VALU_DEP_2)
	v_ashrrev_i32_e32 v3, 31, v2
	v_cmp_gt_i32_e32 vcc_lo, s10, v2
	v_mul_u64_e32 v[8:9], s[28:29], v[2:3]
	s_and_b32 s5, s1, vcc_lo
	s_delay_alu instid0(VALU_DEP_1)
	v_lshl_add_u64 v[2:3], v[8:9], 4, s[48:49]
	s_and_saveexec_b32 s4, s5
	s_cbranch_execz .LBB110_66
; %bb.65:                               ;   in Loop: Header=BB110_8 Depth=2
	s_delay_alu instid0(VALU_DEP_1)
	v_lshl_add_u64 v[12:13], v[26:27], 4, v[2:3]
	v_mul_f64_e32 v[14:15], v[6:7], v[66:67]
	v_mul_f64_e32 v[20:21], v[4:5], v[66:67]
	global_load_b128 v[8:11], v[12:13], off
	v_fma_f64 v[14:15], v[4:5], v[70:71], -v[14:15]
	v_fmac_f64_e32 v[20:21], v[6:7], v[70:71]
	s_wait_loadcnt 0x0
	s_delay_alu instid0(VALU_DEP_2) | instskip(NEXT) | instid1(VALU_DEP_2)
	v_add_f64_e32 v[8:9], v[8:9], v[14:15]
	v_add_f64_e32 v[10:11], v[20:21], v[10:11]
	global_store_b128 v[12:13], v[8:11], off
.LBB110_66:                             ;   in Loop: Header=BB110_8 Depth=2
	s_wait_xcnt 0x0
	s_or_b32 exec_lo, exec_lo, s4
	s_and_b32 s5, s2, vcc_lo
	s_delay_alu instid0(SALU_CYCLE_1)
	s_and_saveexec_b32 s4, s5
	s_cbranch_execz .LBB110_7
; %bb.67:                               ;   in Loop: Header=BB110_8 Depth=2
	v_lshl_add_u64 v[2:3], v[28:29], 4, v[2:3]
	v_mul_f64_e32 v[12:13], v[6:7], v[16:17]
	v_mul_f64_e32 v[14:15], v[4:5], v[16:17]
	global_load_b128 v[8:11], v[2:3], off
	v_fma_f64 v[12:13], v[4:5], v[18:19], -v[12:13]
	v_fmac_f64_e32 v[14:15], v[6:7], v[18:19]
	s_wait_loadcnt 0x0
	s_delay_alu instid0(VALU_DEP_2) | instskip(NEXT) | instid1(VALU_DEP_2)
	v_add_f64_e32 v[8:9], v[8:9], v[12:13]
	v_add_f64_e32 v[10:11], v[14:15], v[10:11]
	global_store_b128 v[2:3], v[8:11], off
	s_branch .LBB110_7
.LBB110_68:
	s_sendmsg sendmsg(MSG_DEALLOC_VGPRS)
	s_endpgm
	.section	.rodata,"a",@progbits
	.p2align	6, 0x0
	.amdhsa_kernel _ZL30rocblas_trmm_outofplace_kernelI19rocblas_complex_numIdELi32ELi2ELb1ELb1ELb0ELb0EPKS1_S2_S1_Ev17rocblas_diagonal_iiT6_lPT7_lllS7_lllPT8_llli
		.amdhsa_group_segment_fixed_size 32768
		.amdhsa_private_segment_fixed_size 0
		.amdhsa_kernarg_size 392
		.amdhsa_user_sgpr_count 2
		.amdhsa_user_sgpr_dispatch_ptr 0
		.amdhsa_user_sgpr_queue_ptr 0
		.amdhsa_user_sgpr_kernarg_segment_ptr 1
		.amdhsa_user_sgpr_dispatch_id 0
		.amdhsa_user_sgpr_kernarg_preload_length 0
		.amdhsa_user_sgpr_kernarg_preload_offset 0
		.amdhsa_user_sgpr_private_segment_size 0
		.amdhsa_wavefront_size32 1
		.amdhsa_uses_dynamic_stack 0
		.amdhsa_enable_private_segment 0
		.amdhsa_system_sgpr_workgroup_id_x 1
		.amdhsa_system_sgpr_workgroup_id_y 1
		.amdhsa_system_sgpr_workgroup_id_z 1
		.amdhsa_system_sgpr_workgroup_info 0
		.amdhsa_system_vgpr_workitem_id 1
		.amdhsa_next_free_vgpr 96
		.amdhsa_next_free_sgpr 62
		.amdhsa_named_barrier_count 0
		.amdhsa_reserve_vcc 1
		.amdhsa_float_round_mode_32 0
		.amdhsa_float_round_mode_16_64 0
		.amdhsa_float_denorm_mode_32 3
		.amdhsa_float_denorm_mode_16_64 3
		.amdhsa_fp16_overflow 0
		.amdhsa_memory_ordered 1
		.amdhsa_forward_progress 1
		.amdhsa_inst_pref_size 67
		.amdhsa_round_robin_scheduling 0
		.amdhsa_exception_fp_ieee_invalid_op 0
		.amdhsa_exception_fp_denorm_src 0
		.amdhsa_exception_fp_ieee_div_zero 0
		.amdhsa_exception_fp_ieee_overflow 0
		.amdhsa_exception_fp_ieee_underflow 0
		.amdhsa_exception_fp_ieee_inexact 0
		.amdhsa_exception_int_div_zero 0
	.end_amdhsa_kernel
	.section	.text._ZL30rocblas_trmm_outofplace_kernelI19rocblas_complex_numIdELi32ELi2ELb1ELb1ELb0ELb0EPKS1_S2_S1_Ev17rocblas_diagonal_iiT6_lPT7_lllS7_lllPT8_llli,"axG",@progbits,_ZL30rocblas_trmm_outofplace_kernelI19rocblas_complex_numIdELi32ELi2ELb1ELb1ELb0ELb0EPKS1_S2_S1_Ev17rocblas_diagonal_iiT6_lPT7_lllS7_lllPT8_llli,comdat
.Lfunc_end110:
	.size	_ZL30rocblas_trmm_outofplace_kernelI19rocblas_complex_numIdELi32ELi2ELb1ELb1ELb0ELb0EPKS1_S2_S1_Ev17rocblas_diagonal_iiT6_lPT7_lllS7_lllPT8_llli, .Lfunc_end110-_ZL30rocblas_trmm_outofplace_kernelI19rocblas_complex_numIdELi32ELi2ELb1ELb1ELb0ELb0EPKS1_S2_S1_Ev17rocblas_diagonal_iiT6_lPT7_lllS7_lllPT8_llli
                                        ; -- End function
	.set _ZL30rocblas_trmm_outofplace_kernelI19rocblas_complex_numIdELi32ELi2ELb1ELb1ELb0ELb0EPKS1_S2_S1_Ev17rocblas_diagonal_iiT6_lPT7_lllS7_lllPT8_llli.num_vgpr, 96
	.set _ZL30rocblas_trmm_outofplace_kernelI19rocblas_complex_numIdELi32ELi2ELb1ELb1ELb0ELb0EPKS1_S2_S1_Ev17rocblas_diagonal_iiT6_lPT7_lllS7_lllPT8_llli.num_agpr, 0
	.set _ZL30rocblas_trmm_outofplace_kernelI19rocblas_complex_numIdELi32ELi2ELb1ELb1ELb0ELb0EPKS1_S2_S1_Ev17rocblas_diagonal_iiT6_lPT7_lllS7_lllPT8_llli.numbered_sgpr, 62
	.set _ZL30rocblas_trmm_outofplace_kernelI19rocblas_complex_numIdELi32ELi2ELb1ELb1ELb0ELb0EPKS1_S2_S1_Ev17rocblas_diagonal_iiT6_lPT7_lllS7_lllPT8_llli.num_named_barrier, 0
	.set _ZL30rocblas_trmm_outofplace_kernelI19rocblas_complex_numIdELi32ELi2ELb1ELb1ELb0ELb0EPKS1_S2_S1_Ev17rocblas_diagonal_iiT6_lPT7_lllS7_lllPT8_llli.private_seg_size, 0
	.set _ZL30rocblas_trmm_outofplace_kernelI19rocblas_complex_numIdELi32ELi2ELb1ELb1ELb0ELb0EPKS1_S2_S1_Ev17rocblas_diagonal_iiT6_lPT7_lllS7_lllPT8_llli.uses_vcc, 1
	.set _ZL30rocblas_trmm_outofplace_kernelI19rocblas_complex_numIdELi32ELi2ELb1ELb1ELb0ELb0EPKS1_S2_S1_Ev17rocblas_diagonal_iiT6_lPT7_lllS7_lllPT8_llli.uses_flat_scratch, 0
	.set _ZL30rocblas_trmm_outofplace_kernelI19rocblas_complex_numIdELi32ELi2ELb1ELb1ELb0ELb0EPKS1_S2_S1_Ev17rocblas_diagonal_iiT6_lPT7_lllS7_lllPT8_llli.has_dyn_sized_stack, 0
	.set _ZL30rocblas_trmm_outofplace_kernelI19rocblas_complex_numIdELi32ELi2ELb1ELb1ELb0ELb0EPKS1_S2_S1_Ev17rocblas_diagonal_iiT6_lPT7_lllS7_lllPT8_llli.has_recursion, 0
	.set _ZL30rocblas_trmm_outofplace_kernelI19rocblas_complex_numIdELi32ELi2ELb1ELb1ELb0ELb0EPKS1_S2_S1_Ev17rocblas_diagonal_iiT6_lPT7_lllS7_lllPT8_llli.has_indirect_call, 0
	.section	.AMDGPU.csdata,"",@progbits
; Kernel info:
; codeLenInByte = 8484
; TotalNumSgprs: 64
; NumVgprs: 96
; ScratchSize: 0
; MemoryBound: 0
; FloatMode: 240
; IeeeMode: 1
; LDSByteSize: 32768 bytes/workgroup (compile time only)
; SGPRBlocks: 0
; VGPRBlocks: 5
; NumSGPRsForWavesPerEU: 64
; NumVGPRsForWavesPerEU: 96
; NamedBarCnt: 0
; Occupancy: 10
; WaveLimiterHint : 0
; COMPUTE_PGM_RSRC2:SCRATCH_EN: 0
; COMPUTE_PGM_RSRC2:USER_SGPR: 2
; COMPUTE_PGM_RSRC2:TRAP_HANDLER: 0
; COMPUTE_PGM_RSRC2:TGID_X_EN: 1
; COMPUTE_PGM_RSRC2:TGID_Y_EN: 1
; COMPUTE_PGM_RSRC2:TGID_Z_EN: 1
; COMPUTE_PGM_RSRC2:TIDIG_COMP_CNT: 1
	.section	.text._ZL30rocblas_trmm_outofplace_kernelI19rocblas_complex_numIdELi32ELi2ELb1ELb1ELb0ELb0ES1_KS1_S1_Ev17rocblas_diagonal_iiT6_lPT7_lllS6_lllPT8_llli,"axG",@progbits,_ZL30rocblas_trmm_outofplace_kernelI19rocblas_complex_numIdELi32ELi2ELb1ELb1ELb0ELb0ES1_KS1_S1_Ev17rocblas_diagonal_iiT6_lPT7_lllS6_lllPT8_llli,comdat
	.globl	_ZL30rocblas_trmm_outofplace_kernelI19rocblas_complex_numIdELi32ELi2ELb1ELb1ELb0ELb0ES1_KS1_S1_Ev17rocblas_diagonal_iiT6_lPT7_lllS6_lllPT8_llli ; -- Begin function _ZL30rocblas_trmm_outofplace_kernelI19rocblas_complex_numIdELi32ELi2ELb1ELb1ELb0ELb0ES1_KS1_S1_Ev17rocblas_diagonal_iiT6_lPT7_lllS6_lllPT8_llli
	.p2align	8
	.type	_ZL30rocblas_trmm_outofplace_kernelI19rocblas_complex_numIdELi32ELi2ELb1ELb1ELb0ELb0ES1_KS1_S1_Ev17rocblas_diagonal_iiT6_lPT7_lllS6_lllPT8_llli,@function
_ZL30rocblas_trmm_outofplace_kernelI19rocblas_complex_numIdELi32ELi2ELb1ELb1ELb0ELb0ES1_KS1_S1_Ev17rocblas_diagonal_iiT6_lPT7_lllS6_lllPT8_llli: ; @_ZL30rocblas_trmm_outofplace_kernelI19rocblas_complex_numIdELi32ELi2ELb1ELb1ELb0ELb0ES1_KS1_S1_Ev17rocblas_diagonal_iiT6_lPT7_lllS6_lllPT8_llli
; %bb.0:
	s_load_b32 s33, s[0:1], 0x88
	s_bfe_u32 s2, ttmp6, 0x40014
	s_lshr_b32 s3, ttmp7, 16
	s_add_co_i32 s2, s2, 1
	s_bfe_u32 s5, ttmp6, 0x40008
	s_mul_i32 s4, s3, s2
	s_getreg_b32 s2, hwreg(HW_REG_IB_STS2, 6, 4)
	s_add_co_i32 s5, s5, s4
	s_cmp_eq_u32 s2, 0
	s_cselect_b32 s34, s3, s5
	s_wait_kmcnt 0x0
	s_cmp_ge_u32 s34, s33
	s_cbranch_scc1 .LBB111_67
; %bb.1:
	s_load_b128 s[28:31], s[0:1], 0x10
	s_wait_kmcnt 0x0
	v_cmp_eq_f64_e64 s3, s[28:29], 0
	v_cmp_eq_f64_e64 s4, s[30:31], 0
	s_and_b32 s3, s3, s4
	s_delay_alu instid0(SALU_CYCLE_1)
	s_and_b32 vcc_lo, exec_lo, s3
	s_cbranch_vccnz .LBB111_67
; %bb.2:
	s_clause 0x1
	s_load_b96 s[36:38], s[0:1], 0x0
	s_load_b512 s[4:19], s[0:1], 0x28
	s_bfe_u32 s20, ttmp6, 0x4000c
	s_bfe_u32 s22, ttmp6, 0x40010
	s_and_b32 s21, ttmp7, 0xffff
	s_add_co_i32 s20, s20, 1
	s_add_co_i32 s22, s22, 1
	s_and_b32 s3, ttmp6, 15
	s_bfe_u32 s23, ttmp6, 0x40004
	s_mul_i32 s20, ttmp9, s20
	s_mul_i32 s22, s21, s22
	s_add_co_i32 s3, s3, s20
	s_add_co_i32 s23, s23, s22
	v_bfe_u32 v68, v0, 10, 10
	v_and_b32_e32 v6, 0x3ff, v0
	s_add_nc_u64 s[40:41], s[0:1], 0x90
	s_mov_b32 s35, 0
	s_delay_alu instid0(VALU_DEP_1)
	v_dual_lshlrev_b32 v0, 9, v68 :: v_dual_lshlrev_b32 v69, 4, v6
	s_wait_kmcnt 0x0
	s_add_co_i32 s24, s38, -1
	s_mov_b32 s42, s37
	s_ashr_i32 s25, s24, 31
	v_add_nc_u32_e32 v71, 0x4000, v0
	s_lshr_b32 s25, s25, 27
	v_add_nc_u32_e32 v70, v69, v0
	s_add_co_i32 s24, s24, s25
	s_mov_b32 s44, s38
	s_ashr_i32 s39, s24, 5
	s_cmp_eq_u32 s2, 0
	s_cselect_b32 s52, s21, s23
	s_cselect_b32 s2, ttmp9, s3
	s_cmp_le_i32 s52, s39
	s_load_b256 s[20:27], s[0:1], 0x68
	s_cselect_b32 s53, -1, 0
	s_lshl_b32 s2, s2, 5
	v_lshl_add_u32 v79, s52, 5, v68
	v_dual_add_nc_u32 v18, s2, v68 :: v_dual_add_nc_u32 v20, s2, v6
	s_sub_co_i32 s54, s37, s2
	s_delay_alu instid0(SALU_CYCLE_1) | instskip(NEXT) | instid1(VALU_DEP_1)
	s_cmp_gt_i32 s54, 0
	v_dual_ashrrev_i32 v19, 31, v18 :: v_dual_ashrrev_i32 v21, 31, v20
	s_cselect_b32 s55, -1, 0
	s_cmp_eq_u32 s36, 0x84
	v_add_nc_u32_e32 v22, 16, v20
	s_delay_alu instid0(VALU_DEP_2)
	v_mul_u64_e32 v[2:3], s[8:9], v[18:19]
	v_lshl_add_u64 v[0:1], v[18:19], 4, 0x100
	s_cselect_b32 s56, -1, 0
	s_wait_xcnt 0x0
	s_lshl_b64 s[0:1], s[6:7], 4
	v_add_nc_u64_e32 v[24:25], 16, v[20:21]
	s_add_nc_u64 s[4:5], s[4:5], s[0:1]
	v_sub_nc_u64_e32 v[26:27], v[20:21], v[18:19]
	v_mad_nc_u64_u32 v[4:5], s8, v0, s[4:5]
	s_ashr_i32 s43, s37, 31
	s_wait_kmcnt 0x0
	s_lshl_b64 s[2:3], s[22:23], 4
	s_lshl_b64 s[6:7], s[14:15], 4
	s_add_nc_u64 s[14:15], s[20:21], s[2:3]
	v_lshlrev_b64_e32 v[28:29], 4, v[20:21]
	v_cmp_le_i64_e64 s3, s[42:43], v[24:25]
	v_add_nc_u64_e32 v[30:31], 16, v[26:27]
	v_add_nc_u64_e32 v[32:33], -16, v[26:27]
	v_cmp_le_i32_e64 s0, s37, v20
	v_cmp_gt_i32_e64 s1, s37, v20
	v_mad_u32 v0, s9, v0, v5
	s_add_nc_u64 s[6:7], s[12:13], s[6:7]
	s_ashr_i32 s45, s38, 31
	s_lshl_b64 s[46:47], s[8:9], 9
	s_add_nc_u64 s[20:21], s[42:43], -16
	s_add_nc_u64 s[12:13], s[6:7], 0x100
	s_lshl_b64 s[18:19], s[18:19], 4
	s_lshl_b64 s[22:23], s[16:17], 4
	;; [unrolled: 1-line block ×3, first 2 shown]
	s_delay_alu instid0(VALU_DEP_1) | instskip(SKIP_1) | instid1(VALU_DEP_1)
	v_mad_u32 v5, s8, v1, v0
	v_lshl_add_u64 v[0:1], v[2:3], 4, s[4:5]
	v_add_nc_u64_e32 v[34:35], 0x100, v[0:1]
	v_dual_mov_b32 v0, 0 :: v_dual_add_nc_u32 v72, v71, v69
	s_delay_alu instid0(VALU_DEP_4)
	v_add_nc_u64_e32 v[36:37], 0x100, v[4:5]
	v_add_nc_u32_e32 v73, 0x100, v70
	v_add_nc_u32_e32 v74, 0x2000, v70
	;; [unrolled: 1-line block ×6, first 2 shown]
	v_mov_b32_e32 v1, 0x3ff00000
	v_cmp_gt_i32_e64 s2, s37, v22
	v_ashrrev_i32_e32 v23, 31, v22
	s_branch .LBB111_4
.LBB111_3:                              ;   in Loop: Header=BB111_4 Depth=1
	s_add_co_i32 s34, s34, 0x10000
	s_delay_alu instid0(SALU_CYCLE_1)
	s_cmp_ge_u32 s34, s33
	s_cbranch_scc1 .LBB111_67
.LBB111_4:                              ; =>This Loop Header: Depth=1
                                        ;     Child Loop BB111_7 Depth 2
                                        ;       Child Loop BB111_10 Depth 3
	s_and_not1_b32 vcc_lo, exec_lo, s53
	s_cbranch_vccnz .LBB111_3
; %bb.5:                                ;   in Loop: Header=BB111_4 Depth=1
	s_load_b32 s9, s[40:41], 0x4
	v_mad_nc_u64_u32 v[38:39], s10, s34, v[36:37]
	v_mad_nc_u64_u32 v[40:41], s10, s34, v[34:35]
	s_mul_i32 s8, s11, s34
	s_mul_u64 s[6:7], s[26:27], s[34:35]
	v_mov_b32_e32 v42, v79
	s_mul_u64 s[4:5], s[18:19], s[34:35]
	s_lshl_b64 s[6:7], s[6:7], 4
	s_add_nc_u64 s[36:37], s[12:13], s[4:5]
	s_add_nc_u64 s[48:49], s[14:15], s[6:7]
	s_mov_b32 s58, s52
	s_delay_alu instid0(VALU_DEP_2)
	v_dual_add_nc_u32 v39, s8, v39 :: v_dual_add_nc_u32 v41, s8, v41
	s_wait_kmcnt 0x0
	s_lshl_b32 s57, s9, 5
	s_branch .LBB111_7
.LBB111_6:                              ;   in Loop: Header=BB111_7 Depth=2
	s_wait_xcnt 0x0
	s_or_b32 exec_lo, exec_lo, s4
	v_add_nc_u32_e32 v42, s57, v42
	s_add_co_i32 s58, s9, s58
	s_delay_alu instid0(SALU_CYCLE_1)
	s_cmp_gt_i32 s58, s39
	s_cbranch_scc1 .LBB111_3
.LBB111_7:                              ;   Parent Loop BB111_4 Depth=1
                                        ; =>  This Loop Header: Depth=2
                                        ;       Child Loop BB111_10 Depth 3
	v_lshl_add_u32 v44, s58, 5, v68
	s_and_not1_b32 vcc_lo, exec_lo, s55
	s_delay_alu instid0(VALU_DEP_1)
	v_ashrrev_i32_e32 v45, 31, v44
	s_cbranch_vccnz .LBB111_58
; %bb.8:                                ;   in Loop: Header=BB111_7 Depth=2
	v_ashrrev_i32_e32 v43, 31, v42
	v_mad_nc_u64_u32 v[46:47], s22, v42, s[36:37]
	s_delay_alu instid0(VALU_DEP_3)
	v_sub_nc_u64_e32 v[4:5], s[44:45], v[44:45]
	v_mov_b64_e32 v[62:63], 0
	v_mov_b64_e32 v[66:67], 0
	v_lshl_add_u64 v[2:3], v[42:43], 4, 0x100
	v_mov_b64_e32 v[58:59], 0
	v_mov_b64_e32 v[60:61], 0
	v_mov_b64_e32 v[16:17], 0
	v_cmp_lt_i64_e64 s4, 16, v[4:5]
	v_mad_nc_u64_u32 v[48:49], s16, v2, s[36:37]
	v_mov_b64_e32 v[14:15], 0
	v_mad_u32 v6, s23, v42, v47
	v_mov_b64_e32 v[56:57], 0
	v_mov_b64_e32 v[54:55], 0
	;; [unrolled: 1-line block ×4, first 2 shown]
	s_mov_b64 s[50:51], 0
	v_cmp_lt_i64_e32 vcc_lo, 0, v[4:5]
	v_mad_u32 v2, s17, v2, v49
	v_mad_u32 v47, s22, v43, v6
	s_delay_alu instid0(VALU_DEP_2)
	v_mad_u32 v49, s16, v3, v2
	s_branch .LBB111_10
.LBB111_9:                              ;   in Loop: Header=BB111_10 Depth=3
	s_wait_xcnt 0x0
	s_or_b32 exec_lo, exec_lo, s5
	s_wait_dscnt 0x0
	s_barrier_signal -1
	s_barrier_wait -1
	ds_load_b128 v[80:83], v71
	ds_load_b128 v[10:13], v71 offset:16
	ds_load_b128 v[6:9], v71 offset:32
	;; [unrolled: 1-line block ×3, first 2 shown]
	ds_load_b128 v[84:87], v69
	v_add_nc_u64_e32 v[46:47], 0x200, v[46:47]
	v_add_nc_u64_e32 v[48:49], 0x200, v[48:49]
	;; [unrolled: 1-line block ×4, first 2 shown]
	s_add_nc_u64 s[50:51], s[50:51], 32
	s_delay_alu instid0(SALU_CYCLE_1) | instskip(SKIP_3) | instid1(VALU_DEP_2)
	s_cmp_ge_i32 s50, s54
	s_wait_dscnt 0x0
	v_mul_f64_e32 v[64:65], v[82:83], v[86:87]
	v_mul_f64_e32 v[88:89], v[80:81], v[86:87]
	v_fma_f64 v[64:65], v[80:81], v[84:85], -v[64:65]
	s_delay_alu instid0(VALU_DEP_2) | instskip(NEXT) | instid1(VALU_DEP_2)
	v_fmac_f64_e32 v[88:89], v[82:83], v[84:85]
	v_add_f64_e32 v[90:91], v[54:55], v[64:65]
	s_delay_alu instid0(VALU_DEP_2) | instskip(SKIP_3) | instid1(VALU_DEP_1)
	v_add_f64_e32 v[88:89], v[88:89], v[56:57]
	ds_load_b128 v[54:57], v69 offset:256
	s_wait_dscnt 0x0
	v_mul_f64_e32 v[64:65], v[82:83], v[56:57]
	v_fma_f64 v[64:65], v[80:81], v[54:55], -v[64:65]
	v_mul_f64_e32 v[80:81], v[80:81], v[56:57]
	s_delay_alu instid0(VALU_DEP_2) | instskip(NEXT) | instid1(VALU_DEP_2)
	v_add_f64_e32 v[92:93], v[14:15], v[64:65]
	v_fmac_f64_e32 v[80:81], v[82:83], v[54:55]
	s_delay_alu instid0(VALU_DEP_1) | instskip(SKIP_4) | instid1(VALU_DEP_2)
	v_add_f64_e32 v[94:95], v[80:81], v[16:17]
	ds_load_b128 v[14:17], v71 offset:8192
	s_wait_dscnt 0x0
	v_mul_f64_e32 v[64:65], v[16:17], v[86:87]
	v_mul_f64_e32 v[80:81], v[14:15], v[86:87]
	v_fma_f64 v[64:65], v[14:15], v[84:85], -v[64:65]
	s_delay_alu instid0(VALU_DEP_2) | instskip(NEXT) | instid1(VALU_DEP_2)
	v_fmac_f64_e32 v[80:81], v[16:17], v[84:85]
	v_add_f64_e32 v[60:61], v[60:61], v[64:65]
	v_mul_f64_e32 v[64:65], v[16:17], v[56:57]
	s_delay_alu instid0(VALU_DEP_3)
	v_add_f64_e32 v[58:59], v[80:81], v[58:59]
	ds_load_b128 v[80:83], v69 offset:768
	s_wait_dscnt 0x0
	v_mul_f64_e32 v[84:85], v[10:11], v[82:83]
	v_fma_f64 v[64:65], v[14:15], v[54:55], -v[64:65]
	v_mul_f64_e32 v[14:15], v[14:15], v[56:57]
	s_delay_alu instid0(VALU_DEP_3) | instskip(NEXT) | instid1(VALU_DEP_3)
	v_fmac_f64_e32 v[84:85], v[12:13], v[80:81]
	v_add_f64_e32 v[64:65], v[66:67], v[64:65]
	s_delay_alu instid0(VALU_DEP_3) | instskip(SKIP_1) | instid1(VALU_DEP_2)
	v_fmac_f64_e32 v[14:15], v[16:17], v[54:55]
	v_mul_f64_e32 v[66:67], v[12:13], v[82:83]
	v_add_f64_e32 v[62:63], v[14:15], v[62:63]
	ds_load_b128 v[14:17], v69 offset:512
	v_fma_f64 v[66:67], v[10:11], v[80:81], -v[66:67]
	s_wait_dscnt 0x0
	v_mul_f64_e32 v[56:57], v[10:11], v[16:17]
	v_mul_f64_e32 v[54:55], v[12:13], v[16:17]
	s_delay_alu instid0(VALU_DEP_2) | instskip(NEXT) | instid1(VALU_DEP_2)
	v_fmac_f64_e32 v[56:57], v[12:13], v[14:15]
	v_fma_f64 v[54:55], v[10:11], v[14:15], -v[54:55]
	v_add_f64_e32 v[12:13], v[84:85], v[94:95]
	ds_load_b128 v[84:87], v71 offset:8208
	v_add_f64_e32 v[10:11], v[92:93], v[66:67]
	s_wait_dscnt 0x0
	v_mul_f64_e32 v[66:67], v[86:87], v[16:17]
	v_mul_f64_e32 v[16:17], v[84:85], v[16:17]
	v_add_f64_e32 v[56:57], v[56:57], v[88:89]
	v_add_f64_e32 v[54:55], v[90:91], v[54:55]
	s_delay_alu instid0(VALU_DEP_4) | instskip(NEXT) | instid1(VALU_DEP_4)
	v_fma_f64 v[66:67], v[84:85], v[14:15], -v[66:67]
	v_fmac_f64_e32 v[16:17], v[86:87], v[14:15]
	v_mul_f64_e32 v[14:15], v[86:87], v[82:83]
	s_delay_alu instid0(VALU_DEP_3) | instskip(NEXT) | instid1(VALU_DEP_3)
	v_add_f64_e32 v[60:61], v[60:61], v[66:67]
	v_add_f64_e32 v[66:67], v[16:17], v[58:59]
	v_mul_f64_e32 v[16:17], v[84:85], v[82:83]
	s_delay_alu instid0(VALU_DEP_4) | instskip(NEXT) | instid1(VALU_DEP_2)
	v_fma_f64 v[14:15], v[84:85], v[80:81], -v[14:15]
	v_fmac_f64_e32 v[16:17], v[86:87], v[80:81]
	s_delay_alu instid0(VALU_DEP_2) | instskip(NEXT) | instid1(VALU_DEP_2)
	v_add_f64_e32 v[64:65], v[64:65], v[14:15]
	v_add_f64_e32 v[62:63], v[16:17], v[62:63]
	ds_load_b128 v[14:17], v69 offset:1024
	s_wait_dscnt 0x0
	v_mul_f64_e32 v[58:59], v[8:9], v[16:17]
	v_mul_f64_e32 v[80:81], v[6:7], v[16:17]
	s_delay_alu instid0(VALU_DEP_2) | instskip(NEXT) | instid1(VALU_DEP_2)
	v_fma_f64 v[58:59], v[6:7], v[14:15], -v[58:59]
	v_fmac_f64_e32 v[80:81], v[8:9], v[14:15]
	s_delay_alu instid0(VALU_DEP_2) | instskip(NEXT) | instid1(VALU_DEP_2)
	v_add_f64_e32 v[82:83], v[54:55], v[58:59]
	v_add_f64_e32 v[80:81], v[80:81], v[56:57]
	ds_load_b128 v[54:57], v69 offset:1280
	s_wait_dscnt 0x0
	v_mul_f64_e32 v[58:59], v[8:9], v[56:57]
	s_delay_alu instid0(VALU_DEP_1) | instskip(SKIP_1) | instid1(VALU_DEP_2)
	v_fma_f64 v[58:59], v[6:7], v[54:55], -v[58:59]
	v_mul_f64_e32 v[6:7], v[6:7], v[56:57]
	v_add_f64_e32 v[84:85], v[10:11], v[58:59]
	s_delay_alu instid0(VALU_DEP_2) | instskip(NEXT) | instid1(VALU_DEP_1)
	v_fmac_f64_e32 v[6:7], v[8:9], v[54:55]
	v_add_f64_e32 v[86:87], v[6:7], v[12:13]
	ds_load_b128 v[6:9], v71 offset:8224
	s_wait_dscnt 0x0
	v_mul_f64_e32 v[10:11], v[8:9], v[16:17]
	v_mul_f64_e32 v[12:13], v[6:7], v[16:17]
	s_delay_alu instid0(VALU_DEP_2) | instskip(NEXT) | instid1(VALU_DEP_2)
	v_fma_f64 v[10:11], v[6:7], v[14:15], -v[10:11]
	v_fmac_f64_e32 v[12:13], v[8:9], v[14:15]
	s_delay_alu instid0(VALU_DEP_2) | instskip(SKIP_1) | instid1(VALU_DEP_3)
	v_add_f64_e32 v[58:59], v[60:61], v[10:11]
	v_mul_f64_e32 v[10:11], v[8:9], v[56:57]
	v_add_f64_e32 v[60:61], v[12:13], v[66:67]
	s_delay_alu instid0(VALU_DEP_2) | instskip(SKIP_1) | instid1(VALU_DEP_1)
	v_fma_f64 v[10:11], v[6:7], v[54:55], -v[10:11]
	v_mul_f64_e32 v[6:7], v[6:7], v[56:57]
	v_fmac_f64_e32 v[6:7], v[8:9], v[54:55]
	s_delay_alu instid0(VALU_DEP_3)
	v_add_f64_e32 v[54:55], v[64:65], v[10:11]
	ds_load_b128 v[10:13], v69 offset:1536
	s_wait_dscnt 0x0
	v_mul_f64_e32 v[8:9], v[2:3], v[12:13]
	v_add_f64_e32 v[56:57], v[6:7], v[62:63]
	v_mul_f64_e32 v[6:7], v[4:5], v[12:13]
	s_delay_alu instid0(VALU_DEP_3) | instskip(NEXT) | instid1(VALU_DEP_2)
	v_fmac_f64_e32 v[8:9], v[4:5], v[10:11]
	v_fma_f64 v[6:7], v[2:3], v[10:11], -v[6:7]
	s_delay_alu instid0(VALU_DEP_2) | instskip(NEXT) | instid1(VALU_DEP_2)
	v_add_f64_e32 v[16:17], v[8:9], v[80:81]
	v_add_f64_e32 v[14:15], v[82:83], v[6:7]
	ds_load_b128 v[6:9], v69 offset:1792
	s_wait_dscnt 0x0
	v_mul_f64_e32 v[62:63], v[4:5], v[8:9]
	v_mul_f64_e32 v[64:65], v[2:3], v[8:9]
	s_delay_alu instid0(VALU_DEP_2) | instskip(NEXT) | instid1(VALU_DEP_2)
	v_fma_f64 v[62:63], v[2:3], v[6:7], -v[62:63]
	v_fmac_f64_e32 v[64:65], v[4:5], v[6:7]
	s_delay_alu instid0(VALU_DEP_2) | instskip(NEXT) | instid1(VALU_DEP_2)
	v_add_f64_e32 v[2:3], v[84:85], v[62:63]
	v_add_f64_e32 v[4:5], v[64:65], v[86:87]
	ds_load_b128 v[62:65], v71 offset:8240
	s_wait_dscnt 0x0
	v_mul_f64_e32 v[66:67], v[64:65], v[12:13]
	v_mul_f64_e32 v[12:13], v[62:63], v[12:13]
	s_delay_alu instid0(VALU_DEP_2) | instskip(NEXT) | instid1(VALU_DEP_2)
	v_fma_f64 v[66:67], v[62:63], v[10:11], -v[66:67]
	v_fmac_f64_e32 v[12:13], v[64:65], v[10:11]
	v_mul_f64_e32 v[10:11], v[64:65], v[8:9]
	v_mul_f64_e32 v[8:9], v[62:63], v[8:9]
	s_delay_alu instid0(VALU_DEP_4) | instskip(NEXT) | instid1(VALU_DEP_4)
	v_add_f64_e32 v[58:59], v[58:59], v[66:67]
	v_add_f64_e32 v[60:61], v[12:13], v[60:61]
	s_delay_alu instid0(VALU_DEP_4) | instskip(NEXT) | instid1(VALU_DEP_4)
	v_fma_f64 v[10:11], v[62:63], v[6:7], -v[10:11]
	v_fmac_f64_e32 v[8:9], v[64:65], v[6:7]
	s_delay_alu instid0(VALU_DEP_2) | instskip(NEXT) | instid1(VALU_DEP_2)
	v_add_f64_e32 v[54:55], v[54:55], v[10:11]
	v_add_f64_e32 v[56:57], v[8:9], v[56:57]
	ds_load_b128 v[6:9], v71 offset:64
	ds_load_b128 v[10:13], v69 offset:2048
	s_wait_dscnt 0x0
	v_mul_f64_e32 v[62:63], v[8:9], v[12:13]
	v_mul_f64_e32 v[64:65], v[6:7], v[12:13]
	s_delay_alu instid0(VALU_DEP_2) | instskip(NEXT) | instid1(VALU_DEP_2)
	v_fma_f64 v[62:63], v[6:7], v[10:11], -v[62:63]
	v_fmac_f64_e32 v[64:65], v[8:9], v[10:11]
	s_delay_alu instid0(VALU_DEP_2) | instskip(NEXT) | instid1(VALU_DEP_2)
	v_add_f64_e32 v[62:63], v[14:15], v[62:63]
	v_add_f64_e32 v[64:65], v[64:65], v[16:17]
	ds_load_b128 v[14:17], v69 offset:2304
	s_wait_dscnt 0x0
	v_mul_f64_e32 v[66:67], v[8:9], v[16:17]
	s_delay_alu instid0(VALU_DEP_1) | instskip(SKIP_1) | instid1(VALU_DEP_2)
	v_fma_f64 v[66:67], v[6:7], v[14:15], -v[66:67]
	v_mul_f64_e32 v[6:7], v[6:7], v[16:17]
	v_add_f64_e32 v[66:67], v[2:3], v[66:67]
	s_delay_alu instid0(VALU_DEP_2) | instskip(NEXT) | instid1(VALU_DEP_1)
	v_fmac_f64_e32 v[6:7], v[8:9], v[14:15]
	v_add_f64_e32 v[80:81], v[6:7], v[4:5]
	ds_load_b128 v[2:5], v71 offset:8256
	s_wait_dscnt 0x0
	v_mul_f64_e32 v[6:7], v[4:5], v[12:13]
	v_mul_f64_e32 v[8:9], v[2:3], v[12:13]
	s_delay_alu instid0(VALU_DEP_2) | instskip(NEXT) | instid1(VALU_DEP_2)
	v_fma_f64 v[6:7], v[2:3], v[10:11], -v[6:7]
	v_fmac_f64_e32 v[8:9], v[4:5], v[10:11]
	s_delay_alu instid0(VALU_DEP_2) | instskip(SKIP_1) | instid1(VALU_DEP_3)
	v_add_f64_e32 v[10:11], v[58:59], v[6:7]
	v_mul_f64_e32 v[6:7], v[4:5], v[16:17]
	v_add_f64_e32 v[12:13], v[8:9], v[60:61]
	s_delay_alu instid0(VALU_DEP_2) | instskip(SKIP_1) | instid1(VALU_DEP_2)
	v_fma_f64 v[6:7], v[2:3], v[14:15], -v[6:7]
	v_mul_f64_e32 v[2:3], v[2:3], v[16:17]
	v_add_f64_e32 v[6:7], v[54:55], v[6:7]
	s_delay_alu instid0(VALU_DEP_2)
	v_fmac_f64_e32 v[2:3], v[4:5], v[14:15]
	ds_load_b128 v[14:17], v71 offset:80
	ds_load_b128 v[58:61], v69 offset:2560
	s_wait_dscnt 0x0
	v_mul_f64_e32 v[4:5], v[14:15], v[60:61]
	v_add_f64_e32 v[8:9], v[2:3], v[56:57]
	v_mul_f64_e32 v[2:3], v[16:17], v[60:61]
	s_delay_alu instid0(VALU_DEP_3) | instskip(NEXT) | instid1(VALU_DEP_2)
	v_fmac_f64_e32 v[4:5], v[16:17], v[58:59]
	v_fma_f64 v[2:3], v[14:15], v[58:59], -v[2:3]
	s_delay_alu instid0(VALU_DEP_2) | instskip(NEXT) | instid1(VALU_DEP_2)
	v_add_f64_e32 v[56:57], v[4:5], v[64:65]
	v_add_f64_e32 v[54:55], v[62:63], v[2:3]
	ds_load_b128 v[2:5], v69 offset:2816
	s_wait_dscnt 0x0
	v_mul_f64_e32 v[62:63], v[16:17], v[4:5]
	v_mul_f64_e32 v[64:65], v[14:15], v[4:5]
	s_delay_alu instid0(VALU_DEP_2) | instskip(NEXT) | instid1(VALU_DEP_2)
	v_fma_f64 v[62:63], v[14:15], v[2:3], -v[62:63]
	v_fmac_f64_e32 v[64:65], v[16:17], v[2:3]
	s_delay_alu instid0(VALU_DEP_2) | instskip(NEXT) | instid1(VALU_DEP_2)
	v_add_f64_e32 v[14:15], v[66:67], v[62:63]
	v_add_f64_e32 v[16:17], v[64:65], v[80:81]
	ds_load_b128 v[62:65], v71 offset:8272
	s_wait_dscnt 0x0
	v_mul_f64_e32 v[66:67], v[64:65], v[60:61]
	v_mul_f64_e32 v[60:61], v[62:63], v[60:61]
	s_delay_alu instid0(VALU_DEP_2) | instskip(NEXT) | instid1(VALU_DEP_2)
	v_fma_f64 v[66:67], v[62:63], v[58:59], -v[66:67]
	v_fmac_f64_e32 v[60:61], v[64:65], v[58:59]
	v_mul_f64_e32 v[58:59], v[64:65], v[4:5]
	v_mul_f64_e32 v[4:5], v[62:63], v[4:5]
	s_delay_alu instid0(VALU_DEP_4) | instskip(NEXT) | instid1(VALU_DEP_4)
	v_add_f64_e32 v[10:11], v[10:11], v[66:67]
	v_add_f64_e32 v[12:13], v[60:61], v[12:13]
	s_delay_alu instid0(VALU_DEP_4) | instskip(NEXT) | instid1(VALU_DEP_4)
	v_fma_f64 v[58:59], v[62:63], v[2:3], -v[58:59]
	v_fmac_f64_e32 v[4:5], v[64:65], v[2:3]
	s_delay_alu instid0(VALU_DEP_2) | instskip(NEXT) | instid1(VALU_DEP_2)
	v_add_f64_e32 v[58:59], v[6:7], v[58:59]
	v_add_f64_e32 v[60:61], v[4:5], v[8:9]
	ds_load_b128 v[2:5], v71 offset:96
	ds_load_b128 v[6:9], v69 offset:3072
	s_wait_dscnt 0x0
	v_mul_f64_e32 v[62:63], v[4:5], v[8:9]
	v_mul_f64_e32 v[64:65], v[2:3], v[8:9]
	s_delay_alu instid0(VALU_DEP_2) | instskip(NEXT) | instid1(VALU_DEP_2)
	v_fma_f64 v[62:63], v[2:3], v[6:7], -v[62:63]
	v_fmac_f64_e32 v[64:65], v[4:5], v[6:7]
	s_delay_alu instid0(VALU_DEP_2) | instskip(NEXT) | instid1(VALU_DEP_2)
	v_add_f64_e32 v[62:63], v[54:55], v[62:63]
	v_add_f64_e32 v[64:65], v[64:65], v[56:57]
	ds_load_b128 v[54:57], v69 offset:3328
	s_wait_dscnt 0x0
	v_mul_f64_e32 v[66:67], v[4:5], v[56:57]
	s_delay_alu instid0(VALU_DEP_1) | instskip(SKIP_1) | instid1(VALU_DEP_2)
	v_fma_f64 v[66:67], v[2:3], v[54:55], -v[66:67]
	v_mul_f64_e32 v[2:3], v[2:3], v[56:57]
	v_add_f64_e32 v[66:67], v[14:15], v[66:67]
	s_delay_alu instid0(VALU_DEP_2) | instskip(NEXT) | instid1(VALU_DEP_1)
	v_fmac_f64_e32 v[2:3], v[4:5], v[54:55]
	v_add_f64_e32 v[80:81], v[2:3], v[16:17]
	ds_load_b128 v[2:5], v71 offset:8288
	s_wait_dscnt 0x0
	v_mul_f64_e32 v[14:15], v[4:5], v[8:9]
	v_mul_f64_e32 v[8:9], v[2:3], v[8:9]
	s_delay_alu instid0(VALU_DEP_2) | instskip(NEXT) | instid1(VALU_DEP_2)
	v_fma_f64 v[14:15], v[2:3], v[6:7], -v[14:15]
	v_fmac_f64_e32 v[8:9], v[4:5], v[6:7]
	v_mul_f64_e32 v[6:7], v[4:5], v[56:57]
	s_delay_alu instid0(VALU_DEP_3) | instskip(NEXT) | instid1(VALU_DEP_3)
	v_add_f64_e32 v[10:11], v[10:11], v[14:15]
	v_add_f64_e32 v[12:13], v[8:9], v[12:13]
	s_delay_alu instid0(VALU_DEP_3) | instskip(SKIP_1) | instid1(VALU_DEP_2)
	v_fma_f64 v[6:7], v[2:3], v[54:55], -v[6:7]
	v_mul_f64_e32 v[2:3], v[2:3], v[56:57]
	v_add_f64_e32 v[6:7], v[58:59], v[6:7]
	s_delay_alu instid0(VALU_DEP_2) | instskip(NEXT) | instid1(VALU_DEP_1)
	v_fmac_f64_e32 v[2:3], v[4:5], v[54:55]
	v_add_f64_e32 v[8:9], v[2:3], v[60:61]
	ds_load_b128 v[14:17], v71 offset:112
	ds_load_b128 v[58:61], v69 offset:3584
	s_wait_dscnt 0x0
	v_mul_f64_e32 v[2:3], v[16:17], v[60:61]
	v_mul_f64_e32 v[4:5], v[14:15], v[60:61]
	s_delay_alu instid0(VALU_DEP_2) | instskip(NEXT) | instid1(VALU_DEP_2)
	v_fma_f64 v[2:3], v[14:15], v[58:59], -v[2:3]
	v_fmac_f64_e32 v[4:5], v[16:17], v[58:59]
	s_delay_alu instid0(VALU_DEP_2) | instskip(NEXT) | instid1(VALU_DEP_2)
	v_add_f64_e32 v[54:55], v[62:63], v[2:3]
	v_add_f64_e32 v[56:57], v[4:5], v[64:65]
	ds_load_b128 v[2:5], v69 offset:3840
	s_wait_dscnt 0x0
	v_mul_f64_e32 v[62:63], v[16:17], v[4:5]
	v_mul_f64_e32 v[64:65], v[14:15], v[4:5]
	s_delay_alu instid0(VALU_DEP_2) | instskip(NEXT) | instid1(VALU_DEP_2)
	v_fma_f64 v[62:63], v[14:15], v[2:3], -v[62:63]
	v_fmac_f64_e32 v[64:65], v[16:17], v[2:3]
	s_delay_alu instid0(VALU_DEP_2) | instskip(NEXT) | instid1(VALU_DEP_2)
	v_add_f64_e32 v[14:15], v[66:67], v[62:63]
	v_add_f64_e32 v[16:17], v[64:65], v[80:81]
	ds_load_b128 v[62:65], v71 offset:8304
	s_wait_dscnt 0x0
	v_mul_f64_e32 v[66:67], v[64:65], v[60:61]
	v_mul_f64_e32 v[60:61], v[62:63], v[60:61]
	s_delay_alu instid0(VALU_DEP_2) | instskip(NEXT) | instid1(VALU_DEP_2)
	v_fma_f64 v[66:67], v[62:63], v[58:59], -v[66:67]
	v_fmac_f64_e32 v[60:61], v[64:65], v[58:59]
	v_mul_f64_e32 v[58:59], v[64:65], v[4:5]
	v_mul_f64_e32 v[4:5], v[62:63], v[4:5]
	s_delay_alu instid0(VALU_DEP_4) | instskip(NEXT) | instid1(VALU_DEP_4)
	v_add_f64_e32 v[10:11], v[10:11], v[66:67]
	v_add_f64_e32 v[12:13], v[60:61], v[12:13]
	s_delay_alu instid0(VALU_DEP_4) | instskip(NEXT) | instid1(VALU_DEP_4)
	v_fma_f64 v[58:59], v[62:63], v[2:3], -v[58:59]
	v_fmac_f64_e32 v[4:5], v[64:65], v[2:3]
	s_delay_alu instid0(VALU_DEP_2) | instskip(NEXT) | instid1(VALU_DEP_2)
	v_add_f64_e32 v[58:59], v[6:7], v[58:59]
	v_add_f64_e32 v[60:61], v[4:5], v[8:9]
	ds_load_b128 v[2:5], v71 offset:128
	ds_load_b128 v[6:9], v69 offset:4096
	s_wait_dscnt 0x0
	v_mul_f64_e32 v[62:63], v[4:5], v[8:9]
	v_mul_f64_e32 v[64:65], v[2:3], v[8:9]
	s_delay_alu instid0(VALU_DEP_2) | instskip(NEXT) | instid1(VALU_DEP_2)
	v_fma_f64 v[62:63], v[2:3], v[6:7], -v[62:63]
	v_fmac_f64_e32 v[64:65], v[4:5], v[6:7]
	s_delay_alu instid0(VALU_DEP_2) | instskip(NEXT) | instid1(VALU_DEP_2)
	v_add_f64_e32 v[62:63], v[54:55], v[62:63]
	v_add_f64_e32 v[64:65], v[64:65], v[56:57]
	ds_load_b128 v[54:57], v69 offset:4352
	s_wait_dscnt 0x0
	v_mul_f64_e32 v[66:67], v[4:5], v[56:57]
	s_delay_alu instid0(VALU_DEP_1) | instskip(SKIP_1) | instid1(VALU_DEP_2)
	v_fma_f64 v[66:67], v[2:3], v[54:55], -v[66:67]
	v_mul_f64_e32 v[2:3], v[2:3], v[56:57]
	v_add_f64_e32 v[66:67], v[14:15], v[66:67]
	s_delay_alu instid0(VALU_DEP_2) | instskip(NEXT) | instid1(VALU_DEP_1)
	v_fmac_f64_e32 v[2:3], v[4:5], v[54:55]
	v_add_f64_e32 v[80:81], v[2:3], v[16:17]
	ds_load_b128 v[2:5], v71 offset:8320
	s_wait_dscnt 0x0
	v_mul_f64_e32 v[14:15], v[4:5], v[8:9]
	v_mul_f64_e32 v[8:9], v[2:3], v[8:9]
	s_delay_alu instid0(VALU_DEP_2) | instskip(NEXT) | instid1(VALU_DEP_2)
	v_fma_f64 v[14:15], v[2:3], v[6:7], -v[14:15]
	v_fmac_f64_e32 v[8:9], v[4:5], v[6:7]
	v_mul_f64_e32 v[6:7], v[4:5], v[56:57]
	s_delay_alu instid0(VALU_DEP_3) | instskip(NEXT) | instid1(VALU_DEP_3)
	v_add_f64_e32 v[10:11], v[10:11], v[14:15]
	v_add_f64_e32 v[12:13], v[8:9], v[12:13]
	s_delay_alu instid0(VALU_DEP_3) | instskip(SKIP_1) | instid1(VALU_DEP_2)
	v_fma_f64 v[6:7], v[2:3], v[54:55], -v[6:7]
	v_mul_f64_e32 v[2:3], v[2:3], v[56:57]
	v_add_f64_e32 v[6:7], v[58:59], v[6:7]
	s_delay_alu instid0(VALU_DEP_2) | instskip(NEXT) | instid1(VALU_DEP_1)
	v_fmac_f64_e32 v[2:3], v[4:5], v[54:55]
	v_add_f64_e32 v[8:9], v[2:3], v[60:61]
	ds_load_b128 v[14:17], v71 offset:144
	ds_load_b128 v[58:61], v69 offset:4608
	s_wait_dscnt 0x0
	v_mul_f64_e32 v[2:3], v[16:17], v[60:61]
	v_mul_f64_e32 v[4:5], v[14:15], v[60:61]
	s_delay_alu instid0(VALU_DEP_2) | instskip(NEXT) | instid1(VALU_DEP_2)
	v_fma_f64 v[2:3], v[14:15], v[58:59], -v[2:3]
	v_fmac_f64_e32 v[4:5], v[16:17], v[58:59]
	s_delay_alu instid0(VALU_DEP_2) | instskip(NEXT) | instid1(VALU_DEP_2)
	v_add_f64_e32 v[54:55], v[62:63], v[2:3]
	v_add_f64_e32 v[56:57], v[4:5], v[64:65]
	ds_load_b128 v[2:5], v69 offset:4864
	s_wait_dscnt 0x0
	v_mul_f64_e32 v[62:63], v[16:17], v[4:5]
	v_mul_f64_e32 v[64:65], v[14:15], v[4:5]
	s_delay_alu instid0(VALU_DEP_2) | instskip(NEXT) | instid1(VALU_DEP_2)
	v_fma_f64 v[62:63], v[14:15], v[2:3], -v[62:63]
	v_fmac_f64_e32 v[64:65], v[16:17], v[2:3]
	s_delay_alu instid0(VALU_DEP_2) | instskip(NEXT) | instid1(VALU_DEP_2)
	v_add_f64_e32 v[14:15], v[66:67], v[62:63]
	v_add_f64_e32 v[16:17], v[64:65], v[80:81]
	ds_load_b128 v[62:65], v71 offset:8336
	s_wait_dscnt 0x0
	v_mul_f64_e32 v[66:67], v[64:65], v[60:61]
	v_mul_f64_e32 v[60:61], v[62:63], v[60:61]
	s_delay_alu instid0(VALU_DEP_2) | instskip(NEXT) | instid1(VALU_DEP_2)
	v_fma_f64 v[66:67], v[62:63], v[58:59], -v[66:67]
	v_fmac_f64_e32 v[60:61], v[64:65], v[58:59]
	v_mul_f64_e32 v[58:59], v[64:65], v[4:5]
	v_mul_f64_e32 v[4:5], v[62:63], v[4:5]
	s_delay_alu instid0(VALU_DEP_4) | instskip(NEXT) | instid1(VALU_DEP_4)
	v_add_f64_e32 v[10:11], v[10:11], v[66:67]
	v_add_f64_e32 v[12:13], v[60:61], v[12:13]
	s_delay_alu instid0(VALU_DEP_4) | instskip(NEXT) | instid1(VALU_DEP_4)
	v_fma_f64 v[58:59], v[62:63], v[2:3], -v[58:59]
	v_fmac_f64_e32 v[4:5], v[64:65], v[2:3]
	s_delay_alu instid0(VALU_DEP_2) | instskip(NEXT) | instid1(VALU_DEP_2)
	v_add_f64_e32 v[58:59], v[6:7], v[58:59]
	v_add_f64_e32 v[60:61], v[4:5], v[8:9]
	ds_load_b128 v[2:5], v71 offset:160
	ds_load_b128 v[6:9], v69 offset:5120
	s_wait_dscnt 0x0
	v_mul_f64_e32 v[62:63], v[4:5], v[8:9]
	v_mul_f64_e32 v[64:65], v[2:3], v[8:9]
	s_delay_alu instid0(VALU_DEP_2) | instskip(NEXT) | instid1(VALU_DEP_2)
	v_fma_f64 v[62:63], v[2:3], v[6:7], -v[62:63]
	v_fmac_f64_e32 v[64:65], v[4:5], v[6:7]
	s_delay_alu instid0(VALU_DEP_2) | instskip(NEXT) | instid1(VALU_DEP_2)
	v_add_f64_e32 v[62:63], v[54:55], v[62:63]
	v_add_f64_e32 v[64:65], v[64:65], v[56:57]
	ds_load_b128 v[54:57], v69 offset:5376
	s_wait_dscnt 0x0
	v_mul_f64_e32 v[66:67], v[4:5], v[56:57]
	s_delay_alu instid0(VALU_DEP_1) | instskip(SKIP_1) | instid1(VALU_DEP_2)
	v_fma_f64 v[66:67], v[2:3], v[54:55], -v[66:67]
	v_mul_f64_e32 v[2:3], v[2:3], v[56:57]
	v_add_f64_e32 v[66:67], v[14:15], v[66:67]
	s_delay_alu instid0(VALU_DEP_2) | instskip(NEXT) | instid1(VALU_DEP_1)
	v_fmac_f64_e32 v[2:3], v[4:5], v[54:55]
	v_add_f64_e32 v[80:81], v[2:3], v[16:17]
	ds_load_b128 v[2:5], v71 offset:8352
	s_wait_dscnt 0x0
	v_mul_f64_e32 v[14:15], v[4:5], v[8:9]
	v_mul_f64_e32 v[8:9], v[2:3], v[8:9]
	s_delay_alu instid0(VALU_DEP_2) | instskip(NEXT) | instid1(VALU_DEP_2)
	v_fma_f64 v[14:15], v[2:3], v[6:7], -v[14:15]
	v_fmac_f64_e32 v[8:9], v[4:5], v[6:7]
	v_mul_f64_e32 v[6:7], v[4:5], v[56:57]
	s_delay_alu instid0(VALU_DEP_3) | instskip(NEXT) | instid1(VALU_DEP_3)
	v_add_f64_e32 v[10:11], v[10:11], v[14:15]
	v_add_f64_e32 v[12:13], v[8:9], v[12:13]
	s_delay_alu instid0(VALU_DEP_3) | instskip(SKIP_1) | instid1(VALU_DEP_2)
	v_fma_f64 v[6:7], v[2:3], v[54:55], -v[6:7]
	v_mul_f64_e32 v[2:3], v[2:3], v[56:57]
	v_add_f64_e32 v[6:7], v[58:59], v[6:7]
	s_delay_alu instid0(VALU_DEP_2) | instskip(NEXT) | instid1(VALU_DEP_1)
	v_fmac_f64_e32 v[2:3], v[4:5], v[54:55]
	v_add_f64_e32 v[8:9], v[2:3], v[60:61]
	ds_load_b128 v[14:17], v71 offset:176
	ds_load_b128 v[58:61], v69 offset:5632
	s_wait_dscnt 0x0
	v_mul_f64_e32 v[2:3], v[16:17], v[60:61]
	v_mul_f64_e32 v[4:5], v[14:15], v[60:61]
	s_delay_alu instid0(VALU_DEP_2) | instskip(NEXT) | instid1(VALU_DEP_2)
	v_fma_f64 v[2:3], v[14:15], v[58:59], -v[2:3]
	v_fmac_f64_e32 v[4:5], v[16:17], v[58:59]
	s_delay_alu instid0(VALU_DEP_2) | instskip(NEXT) | instid1(VALU_DEP_2)
	v_add_f64_e32 v[54:55], v[62:63], v[2:3]
	v_add_f64_e32 v[56:57], v[4:5], v[64:65]
	ds_load_b128 v[2:5], v69 offset:5888
	s_wait_dscnt 0x0
	v_mul_f64_e32 v[62:63], v[16:17], v[4:5]
	v_mul_f64_e32 v[64:65], v[14:15], v[4:5]
	s_delay_alu instid0(VALU_DEP_2) | instskip(NEXT) | instid1(VALU_DEP_2)
	v_fma_f64 v[62:63], v[14:15], v[2:3], -v[62:63]
	v_fmac_f64_e32 v[64:65], v[16:17], v[2:3]
	s_delay_alu instid0(VALU_DEP_2) | instskip(NEXT) | instid1(VALU_DEP_2)
	v_add_f64_e32 v[14:15], v[66:67], v[62:63]
	v_add_f64_e32 v[16:17], v[64:65], v[80:81]
	ds_load_b128 v[62:65], v71 offset:8368
	s_wait_dscnt 0x0
	v_mul_f64_e32 v[66:67], v[64:65], v[60:61]
	v_mul_f64_e32 v[60:61], v[62:63], v[60:61]
	s_delay_alu instid0(VALU_DEP_2) | instskip(NEXT) | instid1(VALU_DEP_2)
	v_fma_f64 v[66:67], v[62:63], v[58:59], -v[66:67]
	v_fmac_f64_e32 v[60:61], v[64:65], v[58:59]
	v_mul_f64_e32 v[58:59], v[64:65], v[4:5]
	v_mul_f64_e32 v[4:5], v[62:63], v[4:5]
	s_delay_alu instid0(VALU_DEP_4) | instskip(NEXT) | instid1(VALU_DEP_4)
	v_add_f64_e32 v[10:11], v[10:11], v[66:67]
	v_add_f64_e32 v[12:13], v[60:61], v[12:13]
	s_delay_alu instid0(VALU_DEP_4) | instskip(NEXT) | instid1(VALU_DEP_4)
	v_fma_f64 v[58:59], v[62:63], v[2:3], -v[58:59]
	v_fmac_f64_e32 v[4:5], v[64:65], v[2:3]
	s_delay_alu instid0(VALU_DEP_2) | instskip(NEXT) | instid1(VALU_DEP_2)
	v_add_f64_e32 v[58:59], v[6:7], v[58:59]
	v_add_f64_e32 v[60:61], v[4:5], v[8:9]
	ds_load_b128 v[2:5], v71 offset:192
	ds_load_b128 v[6:9], v69 offset:6144
	s_wait_dscnt 0x0
	v_mul_f64_e32 v[62:63], v[4:5], v[8:9]
	v_mul_f64_e32 v[64:65], v[2:3], v[8:9]
	s_delay_alu instid0(VALU_DEP_2) | instskip(NEXT) | instid1(VALU_DEP_2)
	v_fma_f64 v[62:63], v[2:3], v[6:7], -v[62:63]
	v_fmac_f64_e32 v[64:65], v[4:5], v[6:7]
	s_delay_alu instid0(VALU_DEP_2) | instskip(NEXT) | instid1(VALU_DEP_2)
	v_add_f64_e32 v[62:63], v[54:55], v[62:63]
	v_add_f64_e32 v[64:65], v[64:65], v[56:57]
	ds_load_b128 v[54:57], v69 offset:6400
	s_wait_dscnt 0x0
	v_mul_f64_e32 v[66:67], v[4:5], v[56:57]
	s_delay_alu instid0(VALU_DEP_1) | instskip(SKIP_1) | instid1(VALU_DEP_2)
	v_fma_f64 v[66:67], v[2:3], v[54:55], -v[66:67]
	v_mul_f64_e32 v[2:3], v[2:3], v[56:57]
	v_add_f64_e32 v[66:67], v[14:15], v[66:67]
	s_delay_alu instid0(VALU_DEP_2) | instskip(NEXT) | instid1(VALU_DEP_1)
	v_fmac_f64_e32 v[2:3], v[4:5], v[54:55]
	v_add_f64_e32 v[80:81], v[2:3], v[16:17]
	ds_load_b128 v[2:5], v71 offset:8384
	s_wait_dscnt 0x0
	v_mul_f64_e32 v[14:15], v[4:5], v[8:9]
	v_mul_f64_e32 v[8:9], v[2:3], v[8:9]
	s_delay_alu instid0(VALU_DEP_2) | instskip(NEXT) | instid1(VALU_DEP_2)
	v_fma_f64 v[14:15], v[2:3], v[6:7], -v[14:15]
	v_fmac_f64_e32 v[8:9], v[4:5], v[6:7]
	v_mul_f64_e32 v[6:7], v[4:5], v[56:57]
	s_delay_alu instid0(VALU_DEP_3) | instskip(NEXT) | instid1(VALU_DEP_3)
	v_add_f64_e32 v[10:11], v[10:11], v[14:15]
	v_add_f64_e32 v[12:13], v[8:9], v[12:13]
	s_delay_alu instid0(VALU_DEP_3) | instskip(SKIP_1) | instid1(VALU_DEP_2)
	v_fma_f64 v[6:7], v[2:3], v[54:55], -v[6:7]
	v_mul_f64_e32 v[2:3], v[2:3], v[56:57]
	v_add_f64_e32 v[6:7], v[58:59], v[6:7]
	s_delay_alu instid0(VALU_DEP_2) | instskip(NEXT) | instid1(VALU_DEP_1)
	v_fmac_f64_e32 v[2:3], v[4:5], v[54:55]
	v_add_f64_e32 v[8:9], v[2:3], v[60:61]
	ds_load_b128 v[14:17], v71 offset:208
	ds_load_b128 v[58:61], v69 offset:6656
	s_wait_dscnt 0x0
	v_mul_f64_e32 v[2:3], v[16:17], v[60:61]
	v_mul_f64_e32 v[4:5], v[14:15], v[60:61]
	s_delay_alu instid0(VALU_DEP_2) | instskip(NEXT) | instid1(VALU_DEP_2)
	v_fma_f64 v[2:3], v[14:15], v[58:59], -v[2:3]
	v_fmac_f64_e32 v[4:5], v[16:17], v[58:59]
	s_delay_alu instid0(VALU_DEP_2) | instskip(NEXT) | instid1(VALU_DEP_2)
	v_add_f64_e32 v[54:55], v[62:63], v[2:3]
	v_add_f64_e32 v[56:57], v[4:5], v[64:65]
	ds_load_b128 v[2:5], v69 offset:6912
	s_wait_dscnt 0x0
	v_mul_f64_e32 v[62:63], v[16:17], v[4:5]
	v_mul_f64_e32 v[64:65], v[14:15], v[4:5]
	s_delay_alu instid0(VALU_DEP_2) | instskip(NEXT) | instid1(VALU_DEP_2)
	v_fma_f64 v[62:63], v[14:15], v[2:3], -v[62:63]
	v_fmac_f64_e32 v[64:65], v[16:17], v[2:3]
	s_delay_alu instid0(VALU_DEP_2) | instskip(NEXT) | instid1(VALU_DEP_2)
	v_add_f64_e32 v[14:15], v[66:67], v[62:63]
	v_add_f64_e32 v[16:17], v[64:65], v[80:81]
	ds_load_b128 v[62:65], v71 offset:8400
	s_wait_dscnt 0x0
	v_mul_f64_e32 v[66:67], v[64:65], v[60:61]
	v_mul_f64_e32 v[60:61], v[62:63], v[60:61]
	s_delay_alu instid0(VALU_DEP_2) | instskip(NEXT) | instid1(VALU_DEP_2)
	v_fma_f64 v[66:67], v[62:63], v[58:59], -v[66:67]
	v_fmac_f64_e32 v[60:61], v[64:65], v[58:59]
	v_mul_f64_e32 v[58:59], v[64:65], v[4:5]
	v_mul_f64_e32 v[4:5], v[62:63], v[4:5]
	s_delay_alu instid0(VALU_DEP_4) | instskip(NEXT) | instid1(VALU_DEP_4)
	v_add_f64_e32 v[10:11], v[10:11], v[66:67]
	v_add_f64_e32 v[12:13], v[60:61], v[12:13]
	s_delay_alu instid0(VALU_DEP_4) | instskip(NEXT) | instid1(VALU_DEP_4)
	v_fma_f64 v[58:59], v[62:63], v[2:3], -v[58:59]
	v_fmac_f64_e32 v[4:5], v[64:65], v[2:3]
	s_delay_alu instid0(VALU_DEP_2) | instskip(NEXT) | instid1(VALU_DEP_2)
	v_add_f64_e32 v[58:59], v[6:7], v[58:59]
	v_add_f64_e32 v[60:61], v[4:5], v[8:9]
	ds_load_b128 v[2:5], v71 offset:224
	ds_load_b128 v[6:9], v69 offset:7168
	s_wait_dscnt 0x0
	v_mul_f64_e32 v[62:63], v[4:5], v[8:9]
	v_mul_f64_e32 v[64:65], v[2:3], v[8:9]
	s_delay_alu instid0(VALU_DEP_2) | instskip(NEXT) | instid1(VALU_DEP_2)
	v_fma_f64 v[62:63], v[2:3], v[6:7], -v[62:63]
	v_fmac_f64_e32 v[64:65], v[4:5], v[6:7]
	s_delay_alu instid0(VALU_DEP_2) | instskip(NEXT) | instid1(VALU_DEP_2)
	v_add_f64_e32 v[62:63], v[54:55], v[62:63]
	v_add_f64_e32 v[64:65], v[64:65], v[56:57]
	ds_load_b128 v[54:57], v69 offset:7424
	s_wait_dscnt 0x0
	v_mul_f64_e32 v[66:67], v[4:5], v[56:57]
	s_delay_alu instid0(VALU_DEP_1) | instskip(SKIP_1) | instid1(VALU_DEP_2)
	v_fma_f64 v[66:67], v[2:3], v[54:55], -v[66:67]
	v_mul_f64_e32 v[2:3], v[2:3], v[56:57]
	v_add_f64_e32 v[66:67], v[14:15], v[66:67]
	s_delay_alu instid0(VALU_DEP_2) | instskip(NEXT) | instid1(VALU_DEP_1)
	v_fmac_f64_e32 v[2:3], v[4:5], v[54:55]
	v_add_f64_e32 v[80:81], v[2:3], v[16:17]
	ds_load_b128 v[2:5], v71 offset:8416
	s_wait_dscnt 0x0
	v_mul_f64_e32 v[14:15], v[4:5], v[8:9]
	v_mul_f64_e32 v[8:9], v[2:3], v[8:9]
	s_delay_alu instid0(VALU_DEP_2) | instskip(NEXT) | instid1(VALU_DEP_2)
	v_fma_f64 v[14:15], v[2:3], v[6:7], -v[14:15]
	v_fmac_f64_e32 v[8:9], v[4:5], v[6:7]
	v_mul_f64_e32 v[6:7], v[4:5], v[56:57]
	s_delay_alu instid0(VALU_DEP_3) | instskip(NEXT) | instid1(VALU_DEP_3)
	v_add_f64_e32 v[10:11], v[10:11], v[14:15]
	v_add_f64_e32 v[12:13], v[8:9], v[12:13]
	s_delay_alu instid0(VALU_DEP_3) | instskip(SKIP_1) | instid1(VALU_DEP_2)
	v_fma_f64 v[6:7], v[2:3], v[54:55], -v[6:7]
	v_mul_f64_e32 v[2:3], v[2:3], v[56:57]
	v_add_f64_e32 v[6:7], v[58:59], v[6:7]
	s_delay_alu instid0(VALU_DEP_2) | instskip(NEXT) | instid1(VALU_DEP_1)
	v_fmac_f64_e32 v[2:3], v[4:5], v[54:55]
	v_add_f64_e32 v[8:9], v[2:3], v[60:61]
	ds_load_b128 v[14:17], v71 offset:240
	ds_load_b128 v[58:61], v69 offset:7680
	s_wait_dscnt 0x0
	v_mul_f64_e32 v[2:3], v[16:17], v[60:61]
	v_mul_f64_e32 v[4:5], v[14:15], v[60:61]
	s_delay_alu instid0(VALU_DEP_2) | instskip(NEXT) | instid1(VALU_DEP_2)
	v_fma_f64 v[2:3], v[14:15], v[58:59], -v[2:3]
	v_fmac_f64_e32 v[4:5], v[16:17], v[58:59]
	s_delay_alu instid0(VALU_DEP_2) | instskip(NEXT) | instid1(VALU_DEP_2)
	v_add_f64_e32 v[54:55], v[62:63], v[2:3]
	v_add_f64_e32 v[56:57], v[4:5], v[64:65]
	ds_load_b128 v[2:5], v69 offset:7936
	s_wait_dscnt 0x0
	v_mul_f64_e32 v[62:63], v[16:17], v[4:5]
	v_mul_f64_e32 v[64:65], v[14:15], v[4:5]
	s_delay_alu instid0(VALU_DEP_2) | instskip(NEXT) | instid1(VALU_DEP_2)
	v_fma_f64 v[62:63], v[14:15], v[2:3], -v[62:63]
	v_fmac_f64_e32 v[64:65], v[16:17], v[2:3]
	s_delay_alu instid0(VALU_DEP_2) | instskip(NEXT) | instid1(VALU_DEP_2)
	v_add_f64_e32 v[14:15], v[66:67], v[62:63]
	v_add_f64_e32 v[16:17], v[64:65], v[80:81]
	ds_load_b128 v[62:65], v71 offset:8432
	s_wait_dscnt 0x0
	v_mul_f64_e32 v[66:67], v[64:65], v[60:61]
	v_mul_f64_e32 v[60:61], v[62:63], v[60:61]
	s_delay_alu instid0(VALU_DEP_2) | instskip(NEXT) | instid1(VALU_DEP_2)
	v_fma_f64 v[66:67], v[62:63], v[58:59], -v[66:67]
	v_fmac_f64_e32 v[60:61], v[64:65], v[58:59]
	v_mul_f64_e32 v[58:59], v[64:65], v[4:5]
	v_mul_f64_e32 v[4:5], v[62:63], v[4:5]
	s_delay_alu instid0(VALU_DEP_4) | instskip(NEXT) | instid1(VALU_DEP_4)
	v_add_f64_e32 v[10:11], v[10:11], v[66:67]
	v_add_f64_e32 v[12:13], v[60:61], v[12:13]
	s_delay_alu instid0(VALU_DEP_4) | instskip(NEXT) | instid1(VALU_DEP_4)
	v_fma_f64 v[58:59], v[62:63], v[2:3], -v[58:59]
	v_fmac_f64_e32 v[4:5], v[64:65], v[2:3]
	s_delay_alu instid0(VALU_DEP_2) | instskip(NEXT) | instid1(VALU_DEP_2)
	v_add_f64_e32 v[58:59], v[6:7], v[58:59]
	v_add_f64_e32 v[60:61], v[4:5], v[8:9]
	ds_load_b128 v[2:5], v71 offset:256
	ds_load_b128 v[6:9], v69 offset:8192
	s_wait_dscnt 0x0
	v_mul_f64_e32 v[62:63], v[4:5], v[8:9]
	v_mul_f64_e32 v[64:65], v[2:3], v[8:9]
	s_delay_alu instid0(VALU_DEP_2) | instskip(NEXT) | instid1(VALU_DEP_2)
	v_fma_f64 v[62:63], v[2:3], v[6:7], -v[62:63]
	v_fmac_f64_e32 v[64:65], v[4:5], v[6:7]
	s_delay_alu instid0(VALU_DEP_2) | instskip(NEXT) | instid1(VALU_DEP_2)
	v_add_f64_e32 v[62:63], v[54:55], v[62:63]
	v_add_f64_e32 v[64:65], v[64:65], v[56:57]
	ds_load_b128 v[54:57], v69 offset:8448
	s_wait_dscnt 0x0
	v_mul_f64_e32 v[66:67], v[4:5], v[56:57]
	s_delay_alu instid0(VALU_DEP_1) | instskip(SKIP_1) | instid1(VALU_DEP_2)
	v_fma_f64 v[66:67], v[2:3], v[54:55], -v[66:67]
	v_mul_f64_e32 v[2:3], v[2:3], v[56:57]
	v_add_f64_e32 v[66:67], v[14:15], v[66:67]
	s_delay_alu instid0(VALU_DEP_2) | instskip(NEXT) | instid1(VALU_DEP_1)
	v_fmac_f64_e32 v[2:3], v[4:5], v[54:55]
	v_add_f64_e32 v[80:81], v[2:3], v[16:17]
	ds_load_b128 v[2:5], v71 offset:8448
	s_wait_dscnt 0x0
	v_mul_f64_e32 v[14:15], v[4:5], v[8:9]
	v_mul_f64_e32 v[8:9], v[2:3], v[8:9]
	s_delay_alu instid0(VALU_DEP_2) | instskip(NEXT) | instid1(VALU_DEP_2)
	v_fma_f64 v[14:15], v[2:3], v[6:7], -v[14:15]
	v_fmac_f64_e32 v[8:9], v[4:5], v[6:7]
	v_mul_f64_e32 v[6:7], v[4:5], v[56:57]
	s_delay_alu instid0(VALU_DEP_3) | instskip(NEXT) | instid1(VALU_DEP_3)
	v_add_f64_e32 v[10:11], v[10:11], v[14:15]
	v_add_f64_e32 v[12:13], v[8:9], v[12:13]
	s_delay_alu instid0(VALU_DEP_3) | instskip(SKIP_1) | instid1(VALU_DEP_2)
	v_fma_f64 v[6:7], v[2:3], v[54:55], -v[6:7]
	v_mul_f64_e32 v[2:3], v[2:3], v[56:57]
	v_add_f64_e32 v[6:7], v[58:59], v[6:7]
	s_delay_alu instid0(VALU_DEP_2) | instskip(NEXT) | instid1(VALU_DEP_1)
	v_fmac_f64_e32 v[2:3], v[4:5], v[54:55]
	v_add_f64_e32 v[8:9], v[2:3], v[60:61]
	ds_load_b128 v[14:17], v71 offset:272
	ds_load_b128 v[58:61], v69 offset:8704
	s_wait_dscnt 0x0
	v_mul_f64_e32 v[2:3], v[16:17], v[60:61]
	v_mul_f64_e32 v[4:5], v[14:15], v[60:61]
	s_delay_alu instid0(VALU_DEP_2) | instskip(NEXT) | instid1(VALU_DEP_2)
	v_fma_f64 v[2:3], v[14:15], v[58:59], -v[2:3]
	v_fmac_f64_e32 v[4:5], v[16:17], v[58:59]
	s_delay_alu instid0(VALU_DEP_2) | instskip(NEXT) | instid1(VALU_DEP_2)
	v_add_f64_e32 v[54:55], v[62:63], v[2:3]
	v_add_f64_e32 v[56:57], v[4:5], v[64:65]
	ds_load_b128 v[2:5], v69 offset:8960
	s_wait_dscnt 0x0
	v_mul_f64_e32 v[62:63], v[16:17], v[4:5]
	v_mul_f64_e32 v[64:65], v[14:15], v[4:5]
	s_delay_alu instid0(VALU_DEP_2) | instskip(NEXT) | instid1(VALU_DEP_2)
	v_fma_f64 v[62:63], v[14:15], v[2:3], -v[62:63]
	v_fmac_f64_e32 v[64:65], v[16:17], v[2:3]
	s_delay_alu instid0(VALU_DEP_2) | instskip(NEXT) | instid1(VALU_DEP_2)
	v_add_f64_e32 v[14:15], v[66:67], v[62:63]
	v_add_f64_e32 v[16:17], v[64:65], v[80:81]
	ds_load_b128 v[62:65], v71 offset:8464
	s_wait_dscnt 0x0
	v_mul_f64_e32 v[66:67], v[64:65], v[60:61]
	v_mul_f64_e32 v[60:61], v[62:63], v[60:61]
	s_delay_alu instid0(VALU_DEP_2) | instskip(NEXT) | instid1(VALU_DEP_2)
	v_fma_f64 v[66:67], v[62:63], v[58:59], -v[66:67]
	v_fmac_f64_e32 v[60:61], v[64:65], v[58:59]
	v_mul_f64_e32 v[58:59], v[64:65], v[4:5]
	v_mul_f64_e32 v[4:5], v[62:63], v[4:5]
	s_delay_alu instid0(VALU_DEP_4) | instskip(NEXT) | instid1(VALU_DEP_4)
	v_add_f64_e32 v[10:11], v[10:11], v[66:67]
	v_add_f64_e32 v[12:13], v[60:61], v[12:13]
	s_delay_alu instid0(VALU_DEP_4) | instskip(NEXT) | instid1(VALU_DEP_4)
	v_fma_f64 v[58:59], v[62:63], v[2:3], -v[58:59]
	v_fmac_f64_e32 v[4:5], v[64:65], v[2:3]
	s_delay_alu instid0(VALU_DEP_2) | instskip(NEXT) | instid1(VALU_DEP_2)
	v_add_f64_e32 v[58:59], v[6:7], v[58:59]
	v_add_f64_e32 v[60:61], v[4:5], v[8:9]
	ds_load_b128 v[2:5], v71 offset:288
	ds_load_b128 v[6:9], v69 offset:9216
	s_wait_dscnt 0x0
	v_mul_f64_e32 v[62:63], v[4:5], v[8:9]
	v_mul_f64_e32 v[64:65], v[2:3], v[8:9]
	s_delay_alu instid0(VALU_DEP_2) | instskip(NEXT) | instid1(VALU_DEP_2)
	v_fma_f64 v[62:63], v[2:3], v[6:7], -v[62:63]
	v_fmac_f64_e32 v[64:65], v[4:5], v[6:7]
	s_delay_alu instid0(VALU_DEP_2) | instskip(NEXT) | instid1(VALU_DEP_2)
	v_add_f64_e32 v[62:63], v[54:55], v[62:63]
	v_add_f64_e32 v[64:65], v[64:65], v[56:57]
	ds_load_b128 v[54:57], v69 offset:9472
	s_wait_dscnt 0x0
	v_mul_f64_e32 v[66:67], v[4:5], v[56:57]
	s_delay_alu instid0(VALU_DEP_1) | instskip(SKIP_1) | instid1(VALU_DEP_2)
	v_fma_f64 v[66:67], v[2:3], v[54:55], -v[66:67]
	v_mul_f64_e32 v[2:3], v[2:3], v[56:57]
	v_add_f64_e32 v[66:67], v[14:15], v[66:67]
	s_delay_alu instid0(VALU_DEP_2) | instskip(NEXT) | instid1(VALU_DEP_1)
	v_fmac_f64_e32 v[2:3], v[4:5], v[54:55]
	v_add_f64_e32 v[80:81], v[2:3], v[16:17]
	ds_load_b128 v[2:5], v71 offset:8480
	s_wait_dscnt 0x0
	v_mul_f64_e32 v[14:15], v[4:5], v[8:9]
	v_mul_f64_e32 v[8:9], v[2:3], v[8:9]
	s_delay_alu instid0(VALU_DEP_2) | instskip(NEXT) | instid1(VALU_DEP_2)
	v_fma_f64 v[14:15], v[2:3], v[6:7], -v[14:15]
	v_fmac_f64_e32 v[8:9], v[4:5], v[6:7]
	v_mul_f64_e32 v[6:7], v[4:5], v[56:57]
	s_delay_alu instid0(VALU_DEP_3) | instskip(NEXT) | instid1(VALU_DEP_3)
	v_add_f64_e32 v[10:11], v[10:11], v[14:15]
	v_add_f64_e32 v[12:13], v[8:9], v[12:13]
	s_delay_alu instid0(VALU_DEP_3) | instskip(SKIP_1) | instid1(VALU_DEP_2)
	v_fma_f64 v[6:7], v[2:3], v[54:55], -v[6:7]
	v_mul_f64_e32 v[2:3], v[2:3], v[56:57]
	v_add_f64_e32 v[6:7], v[58:59], v[6:7]
	s_delay_alu instid0(VALU_DEP_2) | instskip(NEXT) | instid1(VALU_DEP_1)
	v_fmac_f64_e32 v[2:3], v[4:5], v[54:55]
	v_add_f64_e32 v[8:9], v[2:3], v[60:61]
	ds_load_b128 v[14:17], v71 offset:304
	ds_load_b128 v[58:61], v69 offset:9728
	s_wait_dscnt 0x0
	v_mul_f64_e32 v[2:3], v[16:17], v[60:61]
	v_mul_f64_e32 v[4:5], v[14:15], v[60:61]
	s_delay_alu instid0(VALU_DEP_2) | instskip(NEXT) | instid1(VALU_DEP_2)
	v_fma_f64 v[2:3], v[14:15], v[58:59], -v[2:3]
	v_fmac_f64_e32 v[4:5], v[16:17], v[58:59]
	s_delay_alu instid0(VALU_DEP_2) | instskip(NEXT) | instid1(VALU_DEP_2)
	v_add_f64_e32 v[54:55], v[62:63], v[2:3]
	v_add_f64_e32 v[56:57], v[4:5], v[64:65]
	ds_load_b128 v[2:5], v69 offset:9984
	s_wait_dscnt 0x0
	v_mul_f64_e32 v[62:63], v[16:17], v[4:5]
	v_mul_f64_e32 v[64:65], v[14:15], v[4:5]
	s_delay_alu instid0(VALU_DEP_2) | instskip(NEXT) | instid1(VALU_DEP_2)
	v_fma_f64 v[62:63], v[14:15], v[2:3], -v[62:63]
	v_fmac_f64_e32 v[64:65], v[16:17], v[2:3]
	s_delay_alu instid0(VALU_DEP_2) | instskip(NEXT) | instid1(VALU_DEP_2)
	v_add_f64_e32 v[14:15], v[66:67], v[62:63]
	v_add_f64_e32 v[16:17], v[64:65], v[80:81]
	ds_load_b128 v[62:65], v71 offset:8496
	s_wait_dscnt 0x0
	v_mul_f64_e32 v[66:67], v[64:65], v[60:61]
	v_mul_f64_e32 v[60:61], v[62:63], v[60:61]
	s_delay_alu instid0(VALU_DEP_2) | instskip(NEXT) | instid1(VALU_DEP_2)
	v_fma_f64 v[66:67], v[62:63], v[58:59], -v[66:67]
	v_fmac_f64_e32 v[60:61], v[64:65], v[58:59]
	v_mul_f64_e32 v[58:59], v[64:65], v[4:5]
	v_mul_f64_e32 v[4:5], v[62:63], v[4:5]
	s_delay_alu instid0(VALU_DEP_4) | instskip(NEXT) | instid1(VALU_DEP_4)
	v_add_f64_e32 v[10:11], v[10:11], v[66:67]
	v_add_f64_e32 v[12:13], v[60:61], v[12:13]
	s_delay_alu instid0(VALU_DEP_4) | instskip(NEXT) | instid1(VALU_DEP_4)
	v_fma_f64 v[58:59], v[62:63], v[2:3], -v[58:59]
	v_fmac_f64_e32 v[4:5], v[64:65], v[2:3]
	s_delay_alu instid0(VALU_DEP_2) | instskip(NEXT) | instid1(VALU_DEP_2)
	v_add_f64_e32 v[58:59], v[6:7], v[58:59]
	v_add_f64_e32 v[60:61], v[4:5], v[8:9]
	ds_load_b128 v[2:5], v71 offset:320
	ds_load_b128 v[6:9], v69 offset:10240
	s_wait_dscnt 0x0
	v_mul_f64_e32 v[62:63], v[4:5], v[8:9]
	v_mul_f64_e32 v[64:65], v[2:3], v[8:9]
	s_delay_alu instid0(VALU_DEP_2) | instskip(NEXT) | instid1(VALU_DEP_2)
	v_fma_f64 v[62:63], v[2:3], v[6:7], -v[62:63]
	v_fmac_f64_e32 v[64:65], v[4:5], v[6:7]
	s_delay_alu instid0(VALU_DEP_2) | instskip(NEXT) | instid1(VALU_DEP_2)
	v_add_f64_e32 v[62:63], v[54:55], v[62:63]
	v_add_f64_e32 v[64:65], v[64:65], v[56:57]
	ds_load_b128 v[54:57], v69 offset:10496
	s_wait_dscnt 0x0
	v_mul_f64_e32 v[66:67], v[4:5], v[56:57]
	s_delay_alu instid0(VALU_DEP_1) | instskip(SKIP_1) | instid1(VALU_DEP_2)
	v_fma_f64 v[66:67], v[2:3], v[54:55], -v[66:67]
	v_mul_f64_e32 v[2:3], v[2:3], v[56:57]
	v_add_f64_e32 v[66:67], v[14:15], v[66:67]
	s_delay_alu instid0(VALU_DEP_2) | instskip(NEXT) | instid1(VALU_DEP_1)
	v_fmac_f64_e32 v[2:3], v[4:5], v[54:55]
	v_add_f64_e32 v[80:81], v[2:3], v[16:17]
	ds_load_b128 v[2:5], v71 offset:8512
	s_wait_dscnt 0x0
	v_mul_f64_e32 v[14:15], v[4:5], v[8:9]
	v_mul_f64_e32 v[8:9], v[2:3], v[8:9]
	s_delay_alu instid0(VALU_DEP_2) | instskip(NEXT) | instid1(VALU_DEP_2)
	v_fma_f64 v[14:15], v[2:3], v[6:7], -v[14:15]
	v_fmac_f64_e32 v[8:9], v[4:5], v[6:7]
	v_mul_f64_e32 v[6:7], v[4:5], v[56:57]
	s_delay_alu instid0(VALU_DEP_3) | instskip(NEXT) | instid1(VALU_DEP_3)
	v_add_f64_e32 v[10:11], v[10:11], v[14:15]
	v_add_f64_e32 v[12:13], v[8:9], v[12:13]
	s_delay_alu instid0(VALU_DEP_3) | instskip(SKIP_1) | instid1(VALU_DEP_2)
	v_fma_f64 v[6:7], v[2:3], v[54:55], -v[6:7]
	v_mul_f64_e32 v[2:3], v[2:3], v[56:57]
	v_add_f64_e32 v[6:7], v[58:59], v[6:7]
	s_delay_alu instid0(VALU_DEP_2) | instskip(NEXT) | instid1(VALU_DEP_1)
	v_fmac_f64_e32 v[2:3], v[4:5], v[54:55]
	v_add_f64_e32 v[8:9], v[2:3], v[60:61]
	ds_load_b128 v[14:17], v71 offset:336
	ds_load_b128 v[58:61], v69 offset:10752
	s_wait_dscnt 0x0
	v_mul_f64_e32 v[2:3], v[16:17], v[60:61]
	v_mul_f64_e32 v[4:5], v[14:15], v[60:61]
	s_delay_alu instid0(VALU_DEP_2) | instskip(NEXT) | instid1(VALU_DEP_2)
	v_fma_f64 v[2:3], v[14:15], v[58:59], -v[2:3]
	v_fmac_f64_e32 v[4:5], v[16:17], v[58:59]
	s_delay_alu instid0(VALU_DEP_2) | instskip(NEXT) | instid1(VALU_DEP_2)
	v_add_f64_e32 v[54:55], v[62:63], v[2:3]
	v_add_f64_e32 v[56:57], v[4:5], v[64:65]
	ds_load_b128 v[2:5], v69 offset:11008
	s_wait_dscnt 0x0
	v_mul_f64_e32 v[62:63], v[16:17], v[4:5]
	v_mul_f64_e32 v[64:65], v[14:15], v[4:5]
	s_delay_alu instid0(VALU_DEP_2) | instskip(NEXT) | instid1(VALU_DEP_2)
	v_fma_f64 v[62:63], v[14:15], v[2:3], -v[62:63]
	v_fmac_f64_e32 v[64:65], v[16:17], v[2:3]
	s_delay_alu instid0(VALU_DEP_2) | instskip(NEXT) | instid1(VALU_DEP_2)
	v_add_f64_e32 v[14:15], v[66:67], v[62:63]
	v_add_f64_e32 v[16:17], v[64:65], v[80:81]
	ds_load_b128 v[62:65], v71 offset:8528
	s_wait_dscnt 0x0
	v_mul_f64_e32 v[66:67], v[64:65], v[60:61]
	v_mul_f64_e32 v[60:61], v[62:63], v[60:61]
	s_delay_alu instid0(VALU_DEP_2) | instskip(NEXT) | instid1(VALU_DEP_2)
	v_fma_f64 v[66:67], v[62:63], v[58:59], -v[66:67]
	v_fmac_f64_e32 v[60:61], v[64:65], v[58:59]
	v_mul_f64_e32 v[58:59], v[64:65], v[4:5]
	v_mul_f64_e32 v[4:5], v[62:63], v[4:5]
	s_delay_alu instid0(VALU_DEP_4) | instskip(NEXT) | instid1(VALU_DEP_4)
	v_add_f64_e32 v[10:11], v[10:11], v[66:67]
	v_add_f64_e32 v[12:13], v[60:61], v[12:13]
	s_delay_alu instid0(VALU_DEP_4) | instskip(NEXT) | instid1(VALU_DEP_4)
	v_fma_f64 v[58:59], v[62:63], v[2:3], -v[58:59]
	v_fmac_f64_e32 v[4:5], v[64:65], v[2:3]
	s_delay_alu instid0(VALU_DEP_2) | instskip(NEXT) | instid1(VALU_DEP_2)
	v_add_f64_e32 v[58:59], v[6:7], v[58:59]
	v_add_f64_e32 v[60:61], v[4:5], v[8:9]
	ds_load_b128 v[2:5], v71 offset:352
	ds_load_b128 v[6:9], v69 offset:11264
	s_wait_dscnt 0x0
	v_mul_f64_e32 v[62:63], v[4:5], v[8:9]
	v_mul_f64_e32 v[64:65], v[2:3], v[8:9]
	s_delay_alu instid0(VALU_DEP_2) | instskip(NEXT) | instid1(VALU_DEP_2)
	v_fma_f64 v[62:63], v[2:3], v[6:7], -v[62:63]
	v_fmac_f64_e32 v[64:65], v[4:5], v[6:7]
	s_delay_alu instid0(VALU_DEP_2) | instskip(NEXT) | instid1(VALU_DEP_2)
	v_add_f64_e32 v[62:63], v[54:55], v[62:63]
	v_add_f64_e32 v[64:65], v[64:65], v[56:57]
	ds_load_b128 v[54:57], v69 offset:11520
	s_wait_dscnt 0x0
	v_mul_f64_e32 v[66:67], v[4:5], v[56:57]
	s_delay_alu instid0(VALU_DEP_1) | instskip(SKIP_1) | instid1(VALU_DEP_2)
	v_fma_f64 v[66:67], v[2:3], v[54:55], -v[66:67]
	v_mul_f64_e32 v[2:3], v[2:3], v[56:57]
	v_add_f64_e32 v[66:67], v[14:15], v[66:67]
	s_delay_alu instid0(VALU_DEP_2) | instskip(NEXT) | instid1(VALU_DEP_1)
	v_fmac_f64_e32 v[2:3], v[4:5], v[54:55]
	v_add_f64_e32 v[80:81], v[2:3], v[16:17]
	ds_load_b128 v[2:5], v71 offset:8544
	s_wait_dscnt 0x0
	v_mul_f64_e32 v[14:15], v[4:5], v[8:9]
	v_mul_f64_e32 v[8:9], v[2:3], v[8:9]
	s_delay_alu instid0(VALU_DEP_2) | instskip(NEXT) | instid1(VALU_DEP_2)
	v_fma_f64 v[14:15], v[2:3], v[6:7], -v[14:15]
	v_fmac_f64_e32 v[8:9], v[4:5], v[6:7]
	v_mul_f64_e32 v[6:7], v[4:5], v[56:57]
	s_delay_alu instid0(VALU_DEP_3) | instskip(NEXT) | instid1(VALU_DEP_3)
	v_add_f64_e32 v[10:11], v[10:11], v[14:15]
	v_add_f64_e32 v[12:13], v[8:9], v[12:13]
	s_delay_alu instid0(VALU_DEP_3) | instskip(SKIP_1) | instid1(VALU_DEP_2)
	v_fma_f64 v[6:7], v[2:3], v[54:55], -v[6:7]
	v_mul_f64_e32 v[2:3], v[2:3], v[56:57]
	v_add_f64_e32 v[6:7], v[58:59], v[6:7]
	s_delay_alu instid0(VALU_DEP_2) | instskip(NEXT) | instid1(VALU_DEP_1)
	v_fmac_f64_e32 v[2:3], v[4:5], v[54:55]
	v_add_f64_e32 v[8:9], v[2:3], v[60:61]
	ds_load_b128 v[14:17], v71 offset:368
	ds_load_b128 v[58:61], v69 offset:11776
	s_wait_dscnt 0x0
	v_mul_f64_e32 v[2:3], v[16:17], v[60:61]
	v_mul_f64_e32 v[4:5], v[14:15], v[60:61]
	s_delay_alu instid0(VALU_DEP_2) | instskip(NEXT) | instid1(VALU_DEP_2)
	v_fma_f64 v[2:3], v[14:15], v[58:59], -v[2:3]
	v_fmac_f64_e32 v[4:5], v[16:17], v[58:59]
	s_delay_alu instid0(VALU_DEP_2) | instskip(NEXT) | instid1(VALU_DEP_2)
	v_add_f64_e32 v[54:55], v[62:63], v[2:3]
	v_add_f64_e32 v[56:57], v[4:5], v[64:65]
	ds_load_b128 v[2:5], v69 offset:12032
	s_wait_dscnt 0x0
	v_mul_f64_e32 v[62:63], v[16:17], v[4:5]
	v_mul_f64_e32 v[64:65], v[14:15], v[4:5]
	s_delay_alu instid0(VALU_DEP_2) | instskip(NEXT) | instid1(VALU_DEP_2)
	v_fma_f64 v[62:63], v[14:15], v[2:3], -v[62:63]
	v_fmac_f64_e32 v[64:65], v[16:17], v[2:3]
	s_delay_alu instid0(VALU_DEP_2) | instskip(NEXT) | instid1(VALU_DEP_2)
	v_add_f64_e32 v[14:15], v[66:67], v[62:63]
	v_add_f64_e32 v[16:17], v[64:65], v[80:81]
	ds_load_b128 v[62:65], v71 offset:8560
	s_wait_dscnt 0x0
	v_mul_f64_e32 v[66:67], v[64:65], v[60:61]
	v_mul_f64_e32 v[60:61], v[62:63], v[60:61]
	s_delay_alu instid0(VALU_DEP_2) | instskip(NEXT) | instid1(VALU_DEP_2)
	v_fma_f64 v[66:67], v[62:63], v[58:59], -v[66:67]
	v_fmac_f64_e32 v[60:61], v[64:65], v[58:59]
	v_mul_f64_e32 v[58:59], v[64:65], v[4:5]
	v_mul_f64_e32 v[4:5], v[62:63], v[4:5]
	s_delay_alu instid0(VALU_DEP_4) | instskip(NEXT) | instid1(VALU_DEP_4)
	v_add_f64_e32 v[10:11], v[10:11], v[66:67]
	v_add_f64_e32 v[12:13], v[60:61], v[12:13]
	s_delay_alu instid0(VALU_DEP_4) | instskip(NEXT) | instid1(VALU_DEP_4)
	v_fma_f64 v[58:59], v[62:63], v[2:3], -v[58:59]
	v_fmac_f64_e32 v[4:5], v[64:65], v[2:3]
	s_delay_alu instid0(VALU_DEP_2) | instskip(NEXT) | instid1(VALU_DEP_2)
	v_add_f64_e32 v[58:59], v[6:7], v[58:59]
	v_add_f64_e32 v[60:61], v[4:5], v[8:9]
	ds_load_b128 v[2:5], v71 offset:384
	ds_load_b128 v[6:9], v69 offset:12288
	s_wait_dscnt 0x0
	v_mul_f64_e32 v[62:63], v[4:5], v[8:9]
	v_mul_f64_e32 v[64:65], v[2:3], v[8:9]
	s_delay_alu instid0(VALU_DEP_2) | instskip(NEXT) | instid1(VALU_DEP_2)
	v_fma_f64 v[62:63], v[2:3], v[6:7], -v[62:63]
	v_fmac_f64_e32 v[64:65], v[4:5], v[6:7]
	s_delay_alu instid0(VALU_DEP_2) | instskip(NEXT) | instid1(VALU_DEP_2)
	v_add_f64_e32 v[62:63], v[54:55], v[62:63]
	v_add_f64_e32 v[64:65], v[64:65], v[56:57]
	ds_load_b128 v[54:57], v69 offset:12544
	s_wait_dscnt 0x0
	v_mul_f64_e32 v[66:67], v[4:5], v[56:57]
	s_delay_alu instid0(VALU_DEP_1) | instskip(SKIP_1) | instid1(VALU_DEP_2)
	v_fma_f64 v[66:67], v[2:3], v[54:55], -v[66:67]
	v_mul_f64_e32 v[2:3], v[2:3], v[56:57]
	v_add_f64_e32 v[66:67], v[14:15], v[66:67]
	s_delay_alu instid0(VALU_DEP_2) | instskip(NEXT) | instid1(VALU_DEP_1)
	v_fmac_f64_e32 v[2:3], v[4:5], v[54:55]
	v_add_f64_e32 v[80:81], v[2:3], v[16:17]
	ds_load_b128 v[2:5], v71 offset:8576
	s_wait_dscnt 0x0
	v_mul_f64_e32 v[14:15], v[4:5], v[8:9]
	v_mul_f64_e32 v[8:9], v[2:3], v[8:9]
	s_delay_alu instid0(VALU_DEP_2) | instskip(NEXT) | instid1(VALU_DEP_2)
	v_fma_f64 v[14:15], v[2:3], v[6:7], -v[14:15]
	v_fmac_f64_e32 v[8:9], v[4:5], v[6:7]
	v_mul_f64_e32 v[6:7], v[4:5], v[56:57]
	s_delay_alu instid0(VALU_DEP_3) | instskip(NEXT) | instid1(VALU_DEP_3)
	v_add_f64_e32 v[10:11], v[10:11], v[14:15]
	v_add_f64_e32 v[12:13], v[8:9], v[12:13]
	s_delay_alu instid0(VALU_DEP_3) | instskip(SKIP_1) | instid1(VALU_DEP_2)
	v_fma_f64 v[6:7], v[2:3], v[54:55], -v[6:7]
	v_mul_f64_e32 v[2:3], v[2:3], v[56:57]
	v_add_f64_e32 v[6:7], v[58:59], v[6:7]
	s_delay_alu instid0(VALU_DEP_2) | instskip(NEXT) | instid1(VALU_DEP_1)
	v_fmac_f64_e32 v[2:3], v[4:5], v[54:55]
	v_add_f64_e32 v[8:9], v[2:3], v[60:61]
	ds_load_b128 v[14:17], v71 offset:400
	ds_load_b128 v[58:61], v69 offset:12800
	s_wait_dscnt 0x0
	v_mul_f64_e32 v[2:3], v[16:17], v[60:61]
	v_mul_f64_e32 v[4:5], v[14:15], v[60:61]
	s_delay_alu instid0(VALU_DEP_2) | instskip(NEXT) | instid1(VALU_DEP_2)
	v_fma_f64 v[2:3], v[14:15], v[58:59], -v[2:3]
	v_fmac_f64_e32 v[4:5], v[16:17], v[58:59]
	s_delay_alu instid0(VALU_DEP_2) | instskip(NEXT) | instid1(VALU_DEP_2)
	v_add_f64_e32 v[54:55], v[62:63], v[2:3]
	v_add_f64_e32 v[56:57], v[4:5], v[64:65]
	ds_load_b128 v[2:5], v69 offset:13056
	s_wait_dscnt 0x0
	v_mul_f64_e32 v[62:63], v[16:17], v[4:5]
	v_mul_f64_e32 v[64:65], v[14:15], v[4:5]
	s_delay_alu instid0(VALU_DEP_2) | instskip(NEXT) | instid1(VALU_DEP_2)
	v_fma_f64 v[62:63], v[14:15], v[2:3], -v[62:63]
	v_fmac_f64_e32 v[64:65], v[16:17], v[2:3]
	s_delay_alu instid0(VALU_DEP_2) | instskip(NEXT) | instid1(VALU_DEP_2)
	v_add_f64_e32 v[14:15], v[66:67], v[62:63]
	v_add_f64_e32 v[16:17], v[64:65], v[80:81]
	ds_load_b128 v[62:65], v71 offset:8592
	s_wait_dscnt 0x0
	v_mul_f64_e32 v[66:67], v[64:65], v[60:61]
	v_mul_f64_e32 v[60:61], v[62:63], v[60:61]
	s_delay_alu instid0(VALU_DEP_2) | instskip(NEXT) | instid1(VALU_DEP_2)
	v_fma_f64 v[66:67], v[62:63], v[58:59], -v[66:67]
	v_fmac_f64_e32 v[60:61], v[64:65], v[58:59]
	s_delay_alu instid0(VALU_DEP_2) | instskip(SKIP_2) | instid1(VALU_DEP_4)
	v_add_f64_e32 v[58:59], v[10:11], v[66:67]
	v_mul_f64_e32 v[10:11], v[64:65], v[4:5]
	v_mul_f64_e32 v[4:5], v[62:63], v[4:5]
	v_add_f64_e32 v[60:61], v[60:61], v[12:13]
	s_delay_alu instid0(VALU_DEP_3) | instskip(NEXT) | instid1(VALU_DEP_3)
	v_fma_f64 v[10:11], v[62:63], v[2:3], -v[10:11]
	v_fmac_f64_e32 v[4:5], v[64:65], v[2:3]
	s_delay_alu instid0(VALU_DEP_2) | instskip(NEXT) | instid1(VALU_DEP_2)
	v_add_f64_e32 v[62:63], v[6:7], v[10:11]
	v_add_f64_e32 v[64:65], v[4:5], v[8:9]
	ds_load_b128 v[2:5], v71 offset:416
	ds_load_b128 v[6:9], v69 offset:13312
	s_wait_dscnt 0x0
	v_mul_f64_e32 v[10:11], v[4:5], v[8:9]
	v_mul_f64_e32 v[12:13], v[2:3], v[8:9]
	s_delay_alu instid0(VALU_DEP_2) | instskip(NEXT) | instid1(VALU_DEP_2)
	v_fma_f64 v[10:11], v[2:3], v[6:7], -v[10:11]
	v_fmac_f64_e32 v[12:13], v[4:5], v[6:7]
	s_delay_alu instid0(VALU_DEP_2) | instskip(NEXT) | instid1(VALU_DEP_2)
	v_add_f64_e32 v[66:67], v[54:55], v[10:11]
	v_add_f64_e32 v[80:81], v[12:13], v[56:57]
	ds_load_b128 v[10:13], v69 offset:13568
	s_wait_dscnt 0x0
	v_mul_f64_e32 v[54:55], v[4:5], v[12:13]
	s_delay_alu instid0(VALU_DEP_1) | instskip(SKIP_1) | instid1(VALU_DEP_2)
	v_fma_f64 v[54:55], v[2:3], v[10:11], -v[54:55]
	v_mul_f64_e32 v[2:3], v[2:3], v[12:13]
	v_add_f64_e32 v[82:83], v[14:15], v[54:55]
	s_delay_alu instid0(VALU_DEP_2) | instskip(NEXT) | instid1(VALU_DEP_1)
	v_fmac_f64_e32 v[2:3], v[4:5], v[10:11]
	v_add_f64_e32 v[84:85], v[2:3], v[16:17]
	ds_load_b128 v[2:5], v71 offset:8608
	s_wait_dscnt 0x0
	v_mul_f64_e32 v[14:15], v[4:5], v[8:9]
	v_mul_f64_e32 v[8:9], v[2:3], v[8:9]
	s_delay_alu instid0(VALU_DEP_2) | instskip(NEXT) | instid1(VALU_DEP_2)
	v_fma_f64 v[14:15], v[2:3], v[6:7], -v[14:15]
	v_fmac_f64_e32 v[8:9], v[4:5], v[6:7]
	v_mul_f64_e32 v[6:7], v[4:5], v[12:13]
	s_delay_alu instid0(VALU_DEP_3) | instskip(NEXT) | instid1(VALU_DEP_3)
	v_add_f64_e32 v[54:55], v[58:59], v[14:15]
	v_add_f64_e32 v[56:57], v[8:9], v[60:61]
	s_delay_alu instid0(VALU_DEP_3) | instskip(SKIP_1) | instid1(VALU_DEP_2)
	v_fma_f64 v[6:7], v[2:3], v[10:11], -v[6:7]
	v_mul_f64_e32 v[2:3], v[2:3], v[12:13]
	v_add_f64_e32 v[14:15], v[62:63], v[6:7]
	s_delay_alu instid0(VALU_DEP_2)
	v_fmac_f64_e32 v[2:3], v[4:5], v[10:11]
	ds_load_b128 v[10:13], v71 offset:432
	ds_load_b128 v[6:9], v69 offset:13824
	s_wait_dscnt 0x0
	v_mul_f64_e32 v[4:5], v[10:11], v[8:9]
	v_add_f64_e32 v[16:17], v[2:3], v[64:65]
	v_mul_f64_e32 v[2:3], v[12:13], v[8:9]
	s_delay_alu instid0(VALU_DEP_3) | instskip(NEXT) | instid1(VALU_DEP_2)
	v_fmac_f64_e32 v[4:5], v[12:13], v[6:7]
	v_fma_f64 v[2:3], v[10:11], v[6:7], -v[2:3]
	s_delay_alu instid0(VALU_DEP_2) | instskip(NEXT) | instid1(VALU_DEP_2)
	v_add_f64_e32 v[64:65], v[4:5], v[80:81]
	v_add_f64_e32 v[62:63], v[66:67], v[2:3]
	ds_load_b128 v[2:5], v69 offset:14080
	s_wait_dscnt 0x0
	v_mul_f64_e32 v[58:59], v[12:13], v[4:5]
	s_delay_alu instid0(VALU_DEP_1) | instskip(SKIP_1) | instid1(VALU_DEP_2)
	v_fma_f64 v[58:59], v[10:11], v[2:3], -v[58:59]
	v_mul_f64_e32 v[10:11], v[10:11], v[4:5]
	v_add_f64_e32 v[58:59], v[82:83], v[58:59]
	s_delay_alu instid0(VALU_DEP_2) | instskip(NEXT) | instid1(VALU_DEP_1)
	v_fmac_f64_e32 v[10:11], v[12:13], v[2:3]
	v_add_f64_e32 v[60:61], v[10:11], v[84:85]
	ds_load_b128 v[10:13], v71 offset:8624
	s_wait_dscnt 0x0
	v_mul_f64_e32 v[66:67], v[12:13], v[8:9]
	v_mul_f64_e32 v[8:9], v[10:11], v[8:9]
	s_delay_alu instid0(VALU_DEP_2) | instskip(NEXT) | instid1(VALU_DEP_2)
	v_fma_f64 v[66:67], v[10:11], v[6:7], -v[66:67]
	v_fmac_f64_e32 v[8:9], v[12:13], v[6:7]
	v_mul_f64_e32 v[6:7], v[12:13], v[4:5]
	v_mul_f64_e32 v[4:5], v[10:11], v[4:5]
	s_delay_alu instid0(VALU_DEP_4) | instskip(NEXT) | instid1(VALU_DEP_4)
	v_add_f64_e32 v[54:55], v[54:55], v[66:67]
	v_add_f64_e32 v[56:57], v[8:9], v[56:57]
	s_delay_alu instid0(VALU_DEP_4) | instskip(NEXT) | instid1(VALU_DEP_4)
	v_fma_f64 v[6:7], v[10:11], v[2:3], -v[6:7]
	v_fmac_f64_e32 v[4:5], v[12:13], v[2:3]
	s_delay_alu instid0(VALU_DEP_2) | instskip(NEXT) | instid1(VALU_DEP_2)
	v_add_f64_e32 v[66:67], v[14:15], v[6:7]
	v_add_f64_e32 v[80:81], v[4:5], v[16:17]
	ds_load_b128 v[2:5], v71 offset:448
	ds_load_b128 v[6:9], v69 offset:14336
	s_wait_dscnt 0x0
	v_mul_f64_e32 v[10:11], v[4:5], v[8:9]
	v_mul_f64_e32 v[12:13], v[2:3], v[8:9]
	s_delay_alu instid0(VALU_DEP_2) | instskip(NEXT) | instid1(VALU_DEP_2)
	v_fma_f64 v[10:11], v[2:3], v[6:7], -v[10:11]
	v_fmac_f64_e32 v[12:13], v[4:5], v[6:7]
	s_delay_alu instid0(VALU_DEP_2) | instskip(NEXT) | instid1(VALU_DEP_2)
	v_add_f64_e32 v[62:63], v[62:63], v[10:11]
	v_add_f64_e32 v[64:65], v[12:13], v[64:65]
	ds_load_b128 v[10:13], v69 offset:14592
	s_wait_dscnt 0x0
	v_mul_f64_e32 v[14:15], v[4:5], v[12:13]
	s_delay_alu instid0(VALU_DEP_1) | instskip(SKIP_1) | instid1(VALU_DEP_2)
	v_fma_f64 v[14:15], v[2:3], v[10:11], -v[14:15]
	v_mul_f64_e32 v[2:3], v[2:3], v[12:13]
	v_add_f64_e32 v[82:83], v[58:59], v[14:15]
	s_delay_alu instid0(VALU_DEP_2) | instskip(NEXT) | instid1(VALU_DEP_1)
	v_fmac_f64_e32 v[2:3], v[4:5], v[10:11]
	v_add_f64_e32 v[84:85], v[2:3], v[60:61]
	ds_load_b128 v[2:5], v71 offset:8640
	s_wait_dscnt 0x0
	v_mul_f64_e32 v[14:15], v[4:5], v[8:9]
	v_mul_f64_e32 v[8:9], v[2:3], v[8:9]
	s_delay_alu instid0(VALU_DEP_2) | instskip(NEXT) | instid1(VALU_DEP_2)
	v_fma_f64 v[14:15], v[2:3], v[6:7], -v[14:15]
	v_fmac_f64_e32 v[8:9], v[4:5], v[6:7]
	v_mul_f64_e32 v[6:7], v[4:5], v[12:13]
	s_delay_alu instid0(VALU_DEP_3) | instskip(NEXT) | instid1(VALU_DEP_3)
	v_add_f64_e32 v[14:15], v[54:55], v[14:15]
	v_add_f64_e32 v[16:17], v[8:9], v[56:57]
	s_delay_alu instid0(VALU_DEP_3) | instskip(SKIP_1) | instid1(VALU_DEP_1)
	v_fma_f64 v[6:7], v[2:3], v[10:11], -v[6:7]
	v_mul_f64_e32 v[2:3], v[2:3], v[12:13]
	v_fmac_f64_e32 v[2:3], v[4:5], v[10:11]
	s_delay_alu instid0(VALU_DEP_3)
	v_add_f64_e32 v[10:11], v[66:67], v[6:7]
	ds_load_b128 v[54:57], v71 offset:464
	ds_load_b128 v[6:9], v69 offset:14848
	s_wait_dscnt 0x0
	v_mul_f64_e32 v[4:5], v[54:55], v[8:9]
	v_add_f64_e32 v[12:13], v[2:3], v[80:81]
	v_mul_f64_e32 v[2:3], v[56:57], v[8:9]
	s_delay_alu instid0(VALU_DEP_3) | instskip(NEXT) | instid1(VALU_DEP_2)
	v_fmac_f64_e32 v[4:5], v[56:57], v[6:7]
	v_fma_f64 v[2:3], v[54:55], v[6:7], -v[2:3]
	s_delay_alu instid0(VALU_DEP_2) | instskip(NEXT) | instid1(VALU_DEP_2)
	v_add_f64_e32 v[60:61], v[4:5], v[64:65]
	v_add_f64_e32 v[58:59], v[62:63], v[2:3]
	ds_load_b128 v[2:5], v69 offset:15104
	s_wait_dscnt 0x0
	v_mul_f64_e32 v[62:63], v[56:57], v[4:5]
	v_mul_f64_e32 v[64:65], v[54:55], v[4:5]
	s_delay_alu instid0(VALU_DEP_2) | instskip(NEXT) | instid1(VALU_DEP_2)
	v_fma_f64 v[62:63], v[54:55], v[2:3], -v[62:63]
	v_fmac_f64_e32 v[64:65], v[56:57], v[2:3]
	s_delay_alu instid0(VALU_DEP_2) | instskip(NEXT) | instid1(VALU_DEP_2)
	v_add_f64_e32 v[54:55], v[82:83], v[62:63]
	v_add_f64_e32 v[56:57], v[64:65], v[84:85]
	ds_load_b128 v[62:65], v71 offset:8656
	s_wait_dscnt 0x0
	v_mul_f64_e32 v[66:67], v[64:65], v[8:9]
	v_mul_f64_e32 v[8:9], v[62:63], v[8:9]
	s_delay_alu instid0(VALU_DEP_2) | instskip(NEXT) | instid1(VALU_DEP_2)
	v_fma_f64 v[66:67], v[62:63], v[6:7], -v[66:67]
	v_fmac_f64_e32 v[8:9], v[64:65], v[6:7]
	v_mul_f64_e32 v[6:7], v[64:65], v[4:5]
	v_mul_f64_e32 v[4:5], v[62:63], v[4:5]
	s_delay_alu instid0(VALU_DEP_4) | instskip(NEXT) | instid1(VALU_DEP_4)
	v_add_f64_e32 v[14:15], v[14:15], v[66:67]
	v_add_f64_e32 v[16:17], v[8:9], v[16:17]
	s_delay_alu instid0(VALU_DEP_4) | instskip(NEXT) | instid1(VALU_DEP_4)
	v_fma_f64 v[6:7], v[62:63], v[2:3], -v[6:7]
	v_fmac_f64_e32 v[4:5], v[64:65], v[2:3]
	s_delay_alu instid0(VALU_DEP_2) | instskip(NEXT) | instid1(VALU_DEP_2)
	v_add_f64_e32 v[62:63], v[10:11], v[6:7]
	v_add_f64_e32 v[64:65], v[4:5], v[12:13]
	ds_load_b128 v[2:5], v71 offset:480
	ds_load_b128 v[6:9], v69 offset:15360
	s_wait_dscnt 0x0
	v_mul_f64_e32 v[10:11], v[4:5], v[8:9]
	v_mul_f64_e32 v[12:13], v[2:3], v[8:9]
	s_delay_alu instid0(VALU_DEP_2) | instskip(NEXT) | instid1(VALU_DEP_2)
	v_fma_f64 v[10:11], v[2:3], v[6:7], -v[10:11]
	v_fmac_f64_e32 v[12:13], v[4:5], v[6:7]
	s_delay_alu instid0(VALU_DEP_2) | instskip(NEXT) | instid1(VALU_DEP_2)
	v_add_f64_e32 v[80:81], v[58:59], v[10:11]
	v_add_f64_e32 v[60:61], v[12:13], v[60:61]
	ds_load_b128 v[10:13], v69 offset:15616
	s_wait_dscnt 0x0
	v_mul_f64_e32 v[58:59], v[4:5], v[12:13]
	s_delay_alu instid0(VALU_DEP_1) | instskip(SKIP_1) | instid1(VALU_DEP_2)
	v_fma_f64 v[58:59], v[2:3], v[10:11], -v[58:59]
	v_mul_f64_e32 v[2:3], v[2:3], v[12:13]
	v_add_f64_e32 v[82:83], v[54:55], v[58:59]
	s_delay_alu instid0(VALU_DEP_2) | instskip(NEXT) | instid1(VALU_DEP_1)
	v_fmac_f64_e32 v[2:3], v[4:5], v[10:11]
	v_add_f64_e32 v[84:85], v[2:3], v[56:57]
	ds_load_b128 v[2:5], v71 offset:8672
	s_wait_dscnt 0x0
	v_mul_f64_e32 v[54:55], v[4:5], v[8:9]
	v_mul_f64_e32 v[8:9], v[2:3], v[8:9]
	s_delay_alu instid0(VALU_DEP_2) | instskip(NEXT) | instid1(VALU_DEP_2)
	v_fma_f64 v[54:55], v[2:3], v[6:7], -v[54:55]
	v_fmac_f64_e32 v[8:9], v[4:5], v[6:7]
	v_mul_f64_e32 v[6:7], v[4:5], v[12:13]
	s_delay_alu instid0(VALU_DEP_3) | instskip(NEXT) | instid1(VALU_DEP_3)
	v_add_f64_e32 v[58:59], v[14:15], v[54:55]
	v_add_f64_e32 v[66:67], v[8:9], v[16:17]
	s_delay_alu instid0(VALU_DEP_3) | instskip(SKIP_1) | instid1(VALU_DEP_2)
	v_fma_f64 v[6:7], v[2:3], v[10:11], -v[6:7]
	v_mul_f64_e32 v[2:3], v[2:3], v[12:13]
	v_add_f64_e32 v[62:63], v[62:63], v[6:7]
	s_delay_alu instid0(VALU_DEP_2)
	v_fmac_f64_e32 v[2:3], v[4:5], v[10:11]
	ds_load_b128 v[6:9], v71 offset:496
	ds_load_b128 v[10:13], v69 offset:15872
	s_wait_dscnt 0x0
	v_mul_f64_e32 v[4:5], v[6:7], v[12:13]
	v_add_f64_e32 v[64:65], v[2:3], v[64:65]
	v_mul_f64_e32 v[2:3], v[8:9], v[12:13]
	s_delay_alu instid0(VALU_DEP_3) | instskip(NEXT) | instid1(VALU_DEP_2)
	v_fmac_f64_e32 v[4:5], v[8:9], v[10:11]
	v_fma_f64 v[2:3], v[6:7], v[10:11], -v[2:3]
	s_delay_alu instid0(VALU_DEP_2) | instskip(NEXT) | instid1(VALU_DEP_2)
	v_add_f64_e32 v[56:57], v[4:5], v[60:61]
	v_add_f64_e32 v[54:55], v[80:81], v[2:3]
	ds_load_b128 v[2:5], v69 offset:16128
	s_wait_dscnt 0x0
	v_mul_f64_e32 v[14:15], v[8:9], v[4:5]
	s_delay_alu instid0(VALU_DEP_1) | instskip(SKIP_1) | instid1(VALU_DEP_2)
	v_fma_f64 v[14:15], v[6:7], v[2:3], -v[14:15]
	v_mul_f64_e32 v[6:7], v[6:7], v[4:5]
	v_add_f64_e32 v[14:15], v[82:83], v[14:15]
	s_delay_alu instid0(VALU_DEP_2) | instskip(NEXT) | instid1(VALU_DEP_1)
	v_fmac_f64_e32 v[6:7], v[8:9], v[2:3]
	v_add_f64_e32 v[16:17], v[6:7], v[84:85]
	ds_load_b128 v[6:9], v71 offset:8688
	s_wait_dscnt 0x0
	s_barrier_signal -1
	s_barrier_wait -1
	v_mul_f64_e32 v[60:61], v[8:9], v[12:13]
	v_mul_f64_e32 v[12:13], v[6:7], v[12:13]
	s_delay_alu instid0(VALU_DEP_2) | instskip(NEXT) | instid1(VALU_DEP_2)
	v_fma_f64 v[60:61], v[6:7], v[10:11], -v[60:61]
	v_fmac_f64_e32 v[12:13], v[8:9], v[10:11]
	v_mul_f64_e32 v[10:11], v[8:9], v[4:5]
	v_mul_f64_e32 v[4:5], v[6:7], v[4:5]
	s_delay_alu instid0(VALU_DEP_4) | instskip(NEXT) | instid1(VALU_DEP_4)
	v_add_f64_e32 v[60:61], v[58:59], v[60:61]
	v_add_f64_e32 v[58:59], v[12:13], v[66:67]
	s_delay_alu instid0(VALU_DEP_4) | instskip(NEXT) | instid1(VALU_DEP_4)
	v_fma_f64 v[10:11], v[6:7], v[2:3], -v[10:11]
	v_fmac_f64_e32 v[4:5], v[8:9], v[2:3]
	s_delay_alu instid0(VALU_DEP_2) | instskip(NEXT) | instid1(VALU_DEP_2)
	v_add_f64_e32 v[66:67], v[62:63], v[10:11]
	v_add_f64_e32 v[62:63], v[4:5], v[64:65]
	s_cbranch_scc1 .LBB111_59
.LBB111_10:                             ;   Parent Loop BB111_4 Depth=1
                                        ;     Parent Loop BB111_7 Depth=2
                                        ; =>    This Inner Loop Header: Depth=3
	v_add_nc_u64_e32 v[4:5], s[50:51], v[18:19]
	v_cmp_eq_u64_e64 s7, s[50:51], v[26:27]
	v_add_nc_u64_e32 v[6:7], v[50:51], v[28:29]
	s_delay_alu instid0(VALU_DEP_3) | instskip(SKIP_3) | instid1(SALU_CYCLE_1)
	v_cmp_le_i64_e64 s6, s[42:43], v[4:5]
	v_cmp_lt_i64_e64 s5, v[4:5], v[20:21]
	s_and_b32 s60, s56, s7
	s_or_b32 s7, s6, s5
	s_or_b32 s7, s7, s60
	s_delay_alu instid0(SALU_CYCLE_1) | instskip(NEXT) | instid1(SALU_CYCLE_1)
	s_nor_b32 s7, s0, s7
	s_and_saveexec_b32 s8, s7
	s_delay_alu instid0(SALU_CYCLE_1)
	s_xor_b32 s7, exec_lo, s8
	s_cbranch_execz .LBB111_12
; %bb.11:                               ;   in Loop: Header=BB111_10 Depth=3
	global_load_b128 v[8:11], v[6:7], off offset:-256
	s_wait_loadcnt 0x0
	ds_store_2addr_b64 v70, v[8:9], v[10:11] offset1:1
.LBB111_12:                             ;   in Loop: Header=BB111_10 Depth=3
	s_wait_xcnt 0x0
	s_or_saveexec_b32 s7, s7
	s_xor_b32 s59, s60, -1
	s_xor_b32 exec_lo, exec_lo, s7
	s_cbranch_execz .LBB111_18
; %bb.13:                               ;   in Loop: Header=BB111_10 Depth=3
	s_and_saveexec_b32 s8, s59
	s_delay_alu instid0(SALU_CYCLE_1)
	s_xor_b32 s8, exec_lo, s8
; %bb.14:                               ;   in Loop: Header=BB111_10 Depth=3
	v_dual_mov_b32 v8, v0 :: v_dual_mov_b32 v9, v0
	v_dual_mov_b32 v10, v0 :: v_dual_mov_b32 v11, v0
	ds_store_b128 v70, v[8:11]
; %bb.15:                               ;   in Loop: Header=BB111_10 Depth=3
	s_and_not1_saveexec_b32 s8, s8
; %bb.16:                               ;   in Loop: Header=BB111_10 Depth=3
	v_dual_mov_b32 v2, v0 :: v_dual_mov_b32 v3, v0
	ds_store_b128 v70, v[0:3]
; %bb.17:                               ;   in Loop: Header=BB111_10 Depth=3
	s_or_b32 exec_lo, exec_lo, s8
.LBB111_18:                             ;   in Loop: Header=BB111_10 Depth=3
	s_delay_alu instid0(SALU_CYCLE_1) | instskip(SKIP_4) | instid1(SALU_CYCLE_1)
	s_or_b32 exec_lo, exec_lo, s7
	v_cmp_eq_u64_e64 s7, s[50:51], v[30:31]
	v_cmp_gt_i64_e64 s8, v[24:25], v[4:5]
	s_and_b32 s7, s56, s7
	s_or_b32 s6, s6, s8
	s_or_b32 s6, s6, s7
	s_delay_alu instid0(SALU_CYCLE_1) | instskip(NEXT) | instid1(SALU_CYCLE_1)
	s_nor_b32 s6, s3, s6
	s_and_saveexec_b32 s8, s6
	s_delay_alu instid0(SALU_CYCLE_1)
	s_xor_b32 s6, exec_lo, s8
	s_cbranch_execz .LBB111_20
; %bb.19:                               ;   in Loop: Header=BB111_10 Depth=3
	global_load_b128 v[6:9], v[6:7], off
	s_wait_loadcnt 0x0
	ds_store_2addr_b64 v73, v[6:7], v[8:9] offset1:1
.LBB111_20:                             ;   in Loop: Header=BB111_10 Depth=3
	s_wait_xcnt 0x0
	s_and_not1_saveexec_b32 s6, s6
	s_cbranch_execz .LBB111_26
; %bb.21:                               ;   in Loop: Header=BB111_10 Depth=3
	s_xor_b32 s7, s7, -1
	s_delay_alu instid0(SALU_CYCLE_1) | instskip(NEXT) | instid1(SALU_CYCLE_1)
	s_and_saveexec_b32 s8, s7
	s_xor_b32 s7, exec_lo, s8
; %bb.22:                               ;   in Loop: Header=BB111_10 Depth=3
	v_dual_mov_b32 v6, v0 :: v_dual_mov_b32 v7, v0
	v_dual_mov_b32 v8, v0 :: v_dual_mov_b32 v9, v0
	ds_store_b128 v70, v[6:9] offset:256
; %bb.23:                               ;   in Loop: Header=BB111_10 Depth=3
	s_and_not1_saveexec_b32 s7, s7
; %bb.24:                               ;   in Loop: Header=BB111_10 Depth=3
	v_dual_mov_b32 v2, v0 :: v_dual_mov_b32 v3, v0
	ds_store_b128 v70, v[0:3] offset:256
; %bb.25:                               ;   in Loop: Header=BB111_10 Depth=3
	s_or_b32 exec_lo, exec_lo, s7
.LBB111_26:                             ;   in Loop: Header=BB111_10 Depth=3
	s_delay_alu instid0(SALU_CYCLE_1) | instskip(SKIP_3) | instid1(VALU_DEP_3)
	s_or_b32 exec_lo, exec_lo, s6
	v_add_nc_u64_e32 v[2:3], 16, v[4:5]
	v_cmp_eq_u64_e64 s7, s[50:51], v[32:33]
	v_add_nc_u64_e32 v[4:5], v[52:53], v[28:29]
	v_cmp_le_i64_e64 s6, s[42:43], v[2:3]
	v_cmp_lt_i64_e64 s8, v[2:3], v[20:21]
	s_and_b32 s61, s56, s7
	s_or_b32 s7, s6, s8
	s_delay_alu instid0(SALU_CYCLE_1) | instskip(NEXT) | instid1(SALU_CYCLE_1)
	s_or_b32 s7, s7, s61
	s_nor_b32 s7, s0, s7
	s_delay_alu instid0(SALU_CYCLE_1) | instskip(NEXT) | instid1(SALU_CYCLE_1)
	s_and_saveexec_b32 s8, s7
	s_xor_b32 s7, exec_lo, s8
	s_cbranch_execz .LBB111_28
; %bb.27:                               ;   in Loop: Header=BB111_10 Depth=3
	global_load_b128 v[6:9], v[4:5], off offset:-256
	s_wait_loadcnt 0x0
	ds_store_2addr_b64 v74, v[6:7], v[8:9] offset1:1
.LBB111_28:                             ;   in Loop: Header=BB111_10 Depth=3
	s_wait_xcnt 0x0
	s_and_not1_saveexec_b32 s7, s7
	s_cbranch_execz .LBB111_34
; %bb.29:                               ;   in Loop: Header=BB111_10 Depth=3
	s_xor_b32 s8, s61, -1
	s_delay_alu instid0(SALU_CYCLE_1) | instskip(NEXT) | instid1(SALU_CYCLE_1)
	s_and_saveexec_b32 s61, s8
	s_xor_b32 s8, exec_lo, s61
; %bb.30:                               ;   in Loop: Header=BB111_10 Depth=3
	v_dual_mov_b32 v6, v0 :: v_dual_mov_b32 v7, v0
	v_dual_mov_b32 v8, v0 :: v_dual_mov_b32 v9, v0
	ds_store_b128 v70, v[6:9] offset:8192
; %bb.31:                               ;   in Loop: Header=BB111_10 Depth=3
	s_and_not1_saveexec_b32 s8, s8
; %bb.32:                               ;   in Loop: Header=BB111_10 Depth=3
	v_dual_mov_b32 v2, v0 :: v_dual_mov_b32 v3, v0
	ds_store_b128 v70, v[0:3] offset:8192
; %bb.33:                               ;   in Loop: Header=BB111_10 Depth=3
	s_or_b32 exec_lo, exec_lo, s8
.LBB111_34:                             ;   in Loop: Header=BB111_10 Depth=3
	s_delay_alu instid0(SALU_CYCLE_1) | instskip(SKIP_1) | instid1(SALU_CYCLE_1)
	s_or_b32 exec_lo, exec_lo, s7
	s_or_b32 s5, s6, s5
	s_or_b32 s5, s5, s60
	s_delay_alu instid0(SALU_CYCLE_1) | instskip(NEXT) | instid1(SALU_CYCLE_1)
	s_nor_b32 s5, s3, s5
	s_and_saveexec_b32 s6, s5
	s_delay_alu instid0(SALU_CYCLE_1)
	s_xor_b32 s5, exec_lo, s6
	s_cbranch_execz .LBB111_36
; %bb.35:                               ;   in Loop: Header=BB111_10 Depth=3
	global_load_b128 v[2:5], v[4:5], off
	s_wait_loadcnt 0x0
	ds_store_2addr_b64 v75, v[2:3], v[4:5] offset1:1
.LBB111_36:                             ;   in Loop: Header=BB111_10 Depth=3
	s_wait_xcnt 0x0
	s_and_not1_saveexec_b32 s5, s5
	s_cbranch_execz .LBB111_42
; %bb.37:                               ;   in Loop: Header=BB111_10 Depth=3
	s_and_saveexec_b32 s6, s59
	s_delay_alu instid0(SALU_CYCLE_1)
	s_xor_b32 s6, exec_lo, s6
; %bb.38:                               ;   in Loop: Header=BB111_10 Depth=3
	v_dual_mov_b32 v2, v0 :: v_dual_mov_b32 v3, v0
	v_dual_mov_b32 v4, v0 :: v_dual_mov_b32 v5, v0
	ds_store_b128 v70, v[2:5] offset:8448
; %bb.39:                               ;   in Loop: Header=BB111_10 Depth=3
	s_and_not1_saveexec_b32 s6, s6
; %bb.40:                               ;   in Loop: Header=BB111_10 Depth=3
	v_dual_mov_b32 v2, v0 :: v_dual_mov_b32 v3, v0
	ds_store_b128 v70, v[0:3] offset:8448
; %bb.41:                               ;   in Loop: Header=BB111_10 Depth=3
	s_or_b32 exec_lo, exec_lo, s6
.LBB111_42:                             ;   in Loop: Header=BB111_10 Depth=3
	s_delay_alu instid0(SALU_CYCLE_1) | instskip(SKIP_1) | instid1(VALU_DEP_1)
	s_or_b32 exec_lo, exec_lo, s5
	v_add_nc_u64_e32 v[2:3], s[50:51], v[20:21]
	v_cmp_gt_i64_e64 s5, s[42:43], v[2:3]
	s_and_b32 s6, vcc_lo, s5
	s_delay_alu instid0(SALU_CYCLE_1) | instskip(NEXT) | instid1(SALU_CYCLE_1)
	s_xor_b32 s6, s6, -1
	s_and_saveexec_b32 s7, s6
	s_delay_alu instid0(SALU_CYCLE_1)
	s_xor_b32 s6, exec_lo, s7
; %bb.43:                               ;   in Loop: Header=BB111_10 Depth=3
	v_dual_mov_b32 v4, v0 :: v_dual_mov_b32 v5, v0
	v_dual_mov_b32 v6, v0 :: v_dual_mov_b32 v7, v0
	ds_store_b128 v72, v[4:7]
; %bb.44:                               ;   in Loop: Header=BB111_10 Depth=3
	s_or_saveexec_b32 s6, s6
	v_add_nc_u64_e32 v[4:5], v[46:47], v[28:29]
	s_xor_b32 exec_lo, exec_lo, s6
	s_cbranch_execz .LBB111_46
; %bb.45:                               ;   in Loop: Header=BB111_10 Depth=3
	global_load_b128 v[6:9], v[4:5], off offset:-256
	s_wait_loadcnt 0x0
	ds_store_2addr_b64 v72, v[6:7], v[8:9] offset1:1
.LBB111_46:                             ;   in Loop: Header=BB111_10 Depth=3
	s_wait_xcnt 0x0
	s_or_b32 exec_lo, exec_lo, s6
	v_cmp_gt_i64_e64 s6, s[20:21], v[2:3]
	s_and_b32 s7, vcc_lo, s6
	s_delay_alu instid0(SALU_CYCLE_1) | instskip(NEXT) | instid1(SALU_CYCLE_1)
	s_xor_b32 s7, s7, -1
	s_and_saveexec_b32 s8, s7
	s_delay_alu instid0(SALU_CYCLE_1)
	s_xor_b32 s7, exec_lo, s8
; %bb.47:                               ;   in Loop: Header=BB111_10 Depth=3
	v_dual_mov_b32 v2, v0 :: v_dual_mov_b32 v3, v0
	v_dual_mov_b32 v4, v0 :: v_dual_mov_b32 v5, v0
	ds_store_b128 v72, v[2:5] offset:256
                                        ; implicit-def: $vgpr4_vgpr5
; %bb.48:                               ;   in Loop: Header=BB111_10 Depth=3
	s_and_not1_saveexec_b32 s7, s7
	s_cbranch_execz .LBB111_50
; %bb.49:                               ;   in Loop: Header=BB111_10 Depth=3
	global_load_b128 v[2:5], v[4:5], off
	s_wait_loadcnt 0x0
	ds_store_2addr_b64 v76, v[2:3], v[4:5] offset1:1
.LBB111_50:                             ;   in Loop: Header=BB111_10 Depth=3
	s_wait_xcnt 0x0
	s_or_b32 exec_lo, exec_lo, s7
	s_and_b32 s5, s4, s5
	s_delay_alu instid0(SALU_CYCLE_1) | instskip(NEXT) | instid1(SALU_CYCLE_1)
	s_xor_b32 s5, s5, -1
	s_and_saveexec_b32 s7, s5
	s_delay_alu instid0(SALU_CYCLE_1)
	s_xor_b32 s5, exec_lo, s7
; %bb.51:                               ;   in Loop: Header=BB111_10 Depth=3
	v_dual_mov_b32 v2, v0 :: v_dual_mov_b32 v3, v0
	v_dual_mov_b32 v4, v0 :: v_dual_mov_b32 v5, v0
	ds_store_b128 v72, v[2:5] offset:8192
; %bb.52:                               ;   in Loop: Header=BB111_10 Depth=3
	s_or_saveexec_b32 s5, s5
	v_add_nc_u64_e32 v[2:3], v[48:49], v[28:29]
	s_xor_b32 exec_lo, exec_lo, s5
	s_cbranch_execz .LBB111_54
; %bb.53:                               ;   in Loop: Header=BB111_10 Depth=3
	global_load_b128 v[4:7], v[2:3], off offset:-256
	s_wait_loadcnt 0x0
	ds_store_2addr_b64 v77, v[4:5], v[6:7] offset1:1
.LBB111_54:                             ;   in Loop: Header=BB111_10 Depth=3
	s_wait_xcnt 0x0
	s_or_b32 exec_lo, exec_lo, s5
	s_and_b32 s5, s4, s6
	s_delay_alu instid0(SALU_CYCLE_1) | instskip(NEXT) | instid1(SALU_CYCLE_1)
	s_xor_b32 s5, s5, -1
	s_and_saveexec_b32 s6, s5
	s_delay_alu instid0(SALU_CYCLE_1)
	s_xor_b32 s5, exec_lo, s6
; %bb.55:                               ;   in Loop: Header=BB111_10 Depth=3
	v_dual_mov_b32 v2, v0 :: v_dual_mov_b32 v3, v0
	v_dual_mov_b32 v4, v0 :: v_dual_mov_b32 v5, v0
	ds_store_b128 v72, v[2:5] offset:8448
                                        ; implicit-def: $vgpr2_vgpr3
; %bb.56:                               ;   in Loop: Header=BB111_10 Depth=3
	s_and_not1_saveexec_b32 s5, s5
	s_cbranch_execz .LBB111_9
; %bb.57:                               ;   in Loop: Header=BB111_10 Depth=3
	global_load_b128 v[2:5], v[2:3], off
	s_wait_loadcnt 0x0
	ds_store_2addr_b64 v78, v[2:3], v[4:5] offset1:1
	s_branch .LBB111_9
.LBB111_58:                             ;   in Loop: Header=BB111_7 Depth=2
	v_mov_b64_e32 v[54:55], 0
	v_mov_b64_e32 v[56:57], 0
	;; [unrolled: 1-line block ×8, first 2 shown]
.LBB111_59:                             ;   in Loop: Header=BB111_7 Depth=2
	v_mul_u64_e32 v[2:3], s[24:25], v[44:45]
	v_cmp_gt_i32_e32 vcc_lo, s38, v44
	s_and_b32 s5, s1, vcc_lo
	s_delay_alu instid0(VALU_DEP_2)
	v_lshl_add_u64 v[2:3], v[2:3], 4, s[48:49]
	s_and_saveexec_b32 s4, s5
	s_cbranch_execz .LBB111_61
; %bb.60:                               ;   in Loop: Header=BB111_7 Depth=2
	s_delay_alu instid0(VALU_DEP_1)
	v_lshl_add_u64 v[8:9], v[20:21], 4, v[2:3]
	v_mul_f64_e32 v[10:11], s[30:31], v[56:57]
	v_mul_f64_e32 v[12:13], s[28:29], v[56:57]
	global_load_b128 v[4:7], v[8:9], off
	v_fma_f64 v[10:11], s[28:29], v[54:55], -v[10:11]
	v_fmac_f64_e32 v[12:13], s[30:31], v[54:55]
	s_wait_loadcnt 0x0
	s_delay_alu instid0(VALU_DEP_2) | instskip(NEXT) | instid1(VALU_DEP_2)
	v_add_f64_e32 v[4:5], v[4:5], v[10:11]
	v_add_f64_e32 v[6:7], v[12:13], v[6:7]
	global_store_b128 v[8:9], v[4:7], off
.LBB111_61:                             ;   in Loop: Header=BB111_7 Depth=2
	s_wait_xcnt 0x0
	s_or_b32 exec_lo, exec_lo, s4
	s_and_b32 s5, s2, vcc_lo
	s_delay_alu instid0(SALU_CYCLE_1)
	s_and_saveexec_b32 s4, s5
	s_cbranch_execz .LBB111_63
; %bb.62:                               ;   in Loop: Header=BB111_7 Depth=2
	v_lshl_add_u64 v[6:7], v[22:23], 4, v[2:3]
	v_mul_f64_e32 v[8:9], s[30:31], v[16:17]
	v_mul_f64_e32 v[10:11], s[28:29], v[16:17]
	global_load_b128 v[2:5], v[6:7], off
	v_fma_f64 v[8:9], s[28:29], v[14:15], -v[8:9]
	v_fmac_f64_e32 v[10:11], s[30:31], v[14:15]
	s_wait_loadcnt 0x0
	s_delay_alu instid0(VALU_DEP_2) | instskip(NEXT) | instid1(VALU_DEP_2)
	v_add_f64_e32 v[2:3], v[2:3], v[8:9]
	v_add_f64_e32 v[4:5], v[10:11], v[4:5]
	global_store_b128 v[6:7], v[2:5], off
.LBB111_63:                             ;   in Loop: Header=BB111_7 Depth=2
	s_wait_xcnt 0x0
	s_or_b32 exec_lo, exec_lo, s4
	v_add_nc_u32_e32 v2, 16, v44
	s_delay_alu instid0(VALU_DEP_1) | instskip(SKIP_1) | instid1(VALU_DEP_2)
	v_ashrrev_i32_e32 v3, 31, v2
	v_cmp_gt_i32_e32 vcc_lo, s38, v2
	v_mul_u64_e32 v[4:5], s[24:25], v[2:3]
	s_and_b32 s5, s1, vcc_lo
	s_delay_alu instid0(VALU_DEP_1)
	v_lshl_add_u64 v[2:3], v[4:5], 4, s[48:49]
	s_and_saveexec_b32 s4, s5
	s_cbranch_execz .LBB111_65
; %bb.64:                               ;   in Loop: Header=BB111_7 Depth=2
	s_delay_alu instid0(VALU_DEP_1)
	v_lshl_add_u64 v[8:9], v[20:21], 4, v[2:3]
	v_mul_f64_e32 v[10:11], s[30:31], v[58:59]
	v_mul_f64_e32 v[12:13], s[28:29], v[58:59]
	global_load_b128 v[4:7], v[8:9], off
	v_fma_f64 v[10:11], s[28:29], v[60:61], -v[10:11]
	v_fmac_f64_e32 v[12:13], s[30:31], v[60:61]
	s_wait_loadcnt 0x0
	s_delay_alu instid0(VALU_DEP_2) | instskip(NEXT) | instid1(VALU_DEP_2)
	v_add_f64_e32 v[4:5], v[4:5], v[10:11]
	v_add_f64_e32 v[6:7], v[12:13], v[6:7]
	global_store_b128 v[8:9], v[4:7], off
.LBB111_65:                             ;   in Loop: Header=BB111_7 Depth=2
	s_wait_xcnt 0x0
	s_or_b32 exec_lo, exec_lo, s4
	s_and_b32 s5, s2, vcc_lo
	s_delay_alu instid0(SALU_CYCLE_1)
	s_and_saveexec_b32 s4, s5
	s_cbranch_execz .LBB111_6
; %bb.66:                               ;   in Loop: Header=BB111_7 Depth=2
	v_lshl_add_u64 v[6:7], v[22:23], 4, v[2:3]
	v_mul_f64_e32 v[8:9], s[30:31], v[62:63]
	v_mul_f64_e32 v[10:11], s[28:29], v[62:63]
	global_load_b128 v[2:5], v[6:7], off
	v_fma_f64 v[8:9], s[28:29], v[66:67], -v[8:9]
	v_fmac_f64_e32 v[10:11], s[30:31], v[66:67]
	s_wait_loadcnt 0x0
	s_delay_alu instid0(VALU_DEP_2) | instskip(NEXT) | instid1(VALU_DEP_2)
	v_add_f64_e32 v[2:3], v[2:3], v[8:9]
	v_add_f64_e32 v[4:5], v[10:11], v[4:5]
	global_store_b128 v[6:7], v[2:5], off
	s_branch .LBB111_6
.LBB111_67:
	s_sendmsg sendmsg(MSG_DEALLOC_VGPRS)
	s_endpgm
	.section	.rodata,"a",@progbits
	.p2align	6, 0x0
	.amdhsa_kernel _ZL30rocblas_trmm_outofplace_kernelI19rocblas_complex_numIdELi32ELi2ELb1ELb1ELb0ELb0ES1_KS1_S1_Ev17rocblas_diagonal_iiT6_lPT7_lllS6_lllPT8_llli
		.amdhsa_group_segment_fixed_size 32768
		.amdhsa_private_segment_fixed_size 0
		.amdhsa_kernarg_size 400
		.amdhsa_user_sgpr_count 2
		.amdhsa_user_sgpr_dispatch_ptr 0
		.amdhsa_user_sgpr_queue_ptr 0
		.amdhsa_user_sgpr_kernarg_segment_ptr 1
		.amdhsa_user_sgpr_dispatch_id 0
		.amdhsa_user_sgpr_kernarg_preload_length 0
		.amdhsa_user_sgpr_kernarg_preload_offset 0
		.amdhsa_user_sgpr_private_segment_size 0
		.amdhsa_wavefront_size32 1
		.amdhsa_uses_dynamic_stack 0
		.amdhsa_enable_private_segment 0
		.amdhsa_system_sgpr_workgroup_id_x 1
		.amdhsa_system_sgpr_workgroup_id_y 1
		.amdhsa_system_sgpr_workgroup_id_z 1
		.amdhsa_system_sgpr_workgroup_info 0
		.amdhsa_system_vgpr_workitem_id 1
		.amdhsa_next_free_vgpr 96
		.amdhsa_next_free_sgpr 62
		.amdhsa_named_barrier_count 0
		.amdhsa_reserve_vcc 1
		.amdhsa_float_round_mode_32 0
		.amdhsa_float_round_mode_16_64 0
		.amdhsa_float_denorm_mode_32 3
		.amdhsa_float_denorm_mode_16_64 3
		.amdhsa_fp16_overflow 0
		.amdhsa_memory_ordered 1
		.amdhsa_forward_progress 1
		.amdhsa_inst_pref_size 67
		.amdhsa_round_robin_scheduling 0
		.amdhsa_exception_fp_ieee_invalid_op 0
		.amdhsa_exception_fp_denorm_src 0
		.amdhsa_exception_fp_ieee_div_zero 0
		.amdhsa_exception_fp_ieee_overflow 0
		.amdhsa_exception_fp_ieee_underflow 0
		.amdhsa_exception_fp_ieee_inexact 0
		.amdhsa_exception_int_div_zero 0
	.end_amdhsa_kernel
	.section	.text._ZL30rocblas_trmm_outofplace_kernelI19rocblas_complex_numIdELi32ELi2ELb1ELb1ELb0ELb0ES1_KS1_S1_Ev17rocblas_diagonal_iiT6_lPT7_lllS6_lllPT8_llli,"axG",@progbits,_ZL30rocblas_trmm_outofplace_kernelI19rocblas_complex_numIdELi32ELi2ELb1ELb1ELb0ELb0ES1_KS1_S1_Ev17rocblas_diagonal_iiT6_lPT7_lllS6_lllPT8_llli,comdat
.Lfunc_end111:
	.size	_ZL30rocblas_trmm_outofplace_kernelI19rocblas_complex_numIdELi32ELi2ELb1ELb1ELb0ELb0ES1_KS1_S1_Ev17rocblas_diagonal_iiT6_lPT7_lllS6_lllPT8_llli, .Lfunc_end111-_ZL30rocblas_trmm_outofplace_kernelI19rocblas_complex_numIdELi32ELi2ELb1ELb1ELb0ELb0ES1_KS1_S1_Ev17rocblas_diagonal_iiT6_lPT7_lllS6_lllPT8_llli
                                        ; -- End function
	.set _ZL30rocblas_trmm_outofplace_kernelI19rocblas_complex_numIdELi32ELi2ELb1ELb1ELb0ELb0ES1_KS1_S1_Ev17rocblas_diagonal_iiT6_lPT7_lllS6_lllPT8_llli.num_vgpr, 96
	.set _ZL30rocblas_trmm_outofplace_kernelI19rocblas_complex_numIdELi32ELi2ELb1ELb1ELb0ELb0ES1_KS1_S1_Ev17rocblas_diagonal_iiT6_lPT7_lllS6_lllPT8_llli.num_agpr, 0
	.set _ZL30rocblas_trmm_outofplace_kernelI19rocblas_complex_numIdELi32ELi2ELb1ELb1ELb0ELb0ES1_KS1_S1_Ev17rocblas_diagonal_iiT6_lPT7_lllS6_lllPT8_llli.numbered_sgpr, 62
	.set _ZL30rocblas_trmm_outofplace_kernelI19rocblas_complex_numIdELi32ELi2ELb1ELb1ELb0ELb0ES1_KS1_S1_Ev17rocblas_diagonal_iiT6_lPT7_lllS6_lllPT8_llli.num_named_barrier, 0
	.set _ZL30rocblas_trmm_outofplace_kernelI19rocblas_complex_numIdELi32ELi2ELb1ELb1ELb0ELb0ES1_KS1_S1_Ev17rocblas_diagonal_iiT6_lPT7_lllS6_lllPT8_llli.private_seg_size, 0
	.set _ZL30rocblas_trmm_outofplace_kernelI19rocblas_complex_numIdELi32ELi2ELb1ELb1ELb0ELb0ES1_KS1_S1_Ev17rocblas_diagonal_iiT6_lPT7_lllS6_lllPT8_llli.uses_vcc, 1
	.set _ZL30rocblas_trmm_outofplace_kernelI19rocblas_complex_numIdELi32ELi2ELb1ELb1ELb0ELb0ES1_KS1_S1_Ev17rocblas_diagonal_iiT6_lPT7_lllS6_lllPT8_llli.uses_flat_scratch, 0
	.set _ZL30rocblas_trmm_outofplace_kernelI19rocblas_complex_numIdELi32ELi2ELb1ELb1ELb0ELb0ES1_KS1_S1_Ev17rocblas_diagonal_iiT6_lPT7_lllS6_lllPT8_llli.has_dyn_sized_stack, 0
	.set _ZL30rocblas_trmm_outofplace_kernelI19rocblas_complex_numIdELi32ELi2ELb1ELb1ELb0ELb0ES1_KS1_S1_Ev17rocblas_diagonal_iiT6_lPT7_lllS6_lllPT8_llli.has_recursion, 0
	.set _ZL30rocblas_trmm_outofplace_kernelI19rocblas_complex_numIdELi32ELi2ELb1ELb1ELb0ELb0ES1_KS1_S1_Ev17rocblas_diagonal_iiT6_lPT7_lllS6_lllPT8_llli.has_indirect_call, 0
	.section	.AMDGPU.csdata,"",@progbits
; Kernel info:
; codeLenInByte = 8512
; TotalNumSgprs: 64
; NumVgprs: 96
; ScratchSize: 0
; MemoryBound: 0
; FloatMode: 240
; IeeeMode: 1
; LDSByteSize: 32768 bytes/workgroup (compile time only)
; SGPRBlocks: 0
; VGPRBlocks: 5
; NumSGPRsForWavesPerEU: 64
; NumVGPRsForWavesPerEU: 96
; NamedBarCnt: 0
; Occupancy: 10
; WaveLimiterHint : 0
; COMPUTE_PGM_RSRC2:SCRATCH_EN: 0
; COMPUTE_PGM_RSRC2:USER_SGPR: 2
; COMPUTE_PGM_RSRC2:TRAP_HANDLER: 0
; COMPUTE_PGM_RSRC2:TGID_X_EN: 1
; COMPUTE_PGM_RSRC2:TGID_Y_EN: 1
; COMPUTE_PGM_RSRC2:TGID_Z_EN: 1
; COMPUTE_PGM_RSRC2:TIDIG_COMP_CNT: 1
	.section	.text._ZL30rocblas_trmm_outofplace_kernelI19rocblas_complex_numIdELi32ELi2ELb1ELb0ELb1ELb0EPKS1_S2_S1_Ev17rocblas_diagonal_iiT6_lPT7_lllS7_lllPT8_llli,"axG",@progbits,_ZL30rocblas_trmm_outofplace_kernelI19rocblas_complex_numIdELi32ELi2ELb1ELb0ELb1ELb0EPKS1_S2_S1_Ev17rocblas_diagonal_iiT6_lPT7_lllS7_lllPT8_llli,comdat
	.globl	_ZL30rocblas_trmm_outofplace_kernelI19rocblas_complex_numIdELi32ELi2ELb1ELb0ELb1ELb0EPKS1_S2_S1_Ev17rocblas_diagonal_iiT6_lPT7_lllS7_lllPT8_llli ; -- Begin function _ZL30rocblas_trmm_outofplace_kernelI19rocblas_complex_numIdELi32ELi2ELb1ELb0ELb1ELb0EPKS1_S2_S1_Ev17rocblas_diagonal_iiT6_lPT7_lllS7_lllPT8_llli
	.p2align	8
	.type	_ZL30rocblas_trmm_outofplace_kernelI19rocblas_complex_numIdELi32ELi2ELb1ELb0ELb1ELb0EPKS1_S2_S1_Ev17rocblas_diagonal_iiT6_lPT7_lllS7_lllPT8_llli,@function
_ZL30rocblas_trmm_outofplace_kernelI19rocblas_complex_numIdELi32ELi2ELb1ELb0ELb1ELb0EPKS1_S2_S1_Ev17rocblas_diagonal_iiT6_lPT7_lllS7_lllPT8_llli: ; @_ZL30rocblas_trmm_outofplace_kernelI19rocblas_complex_numIdELi32ELi2ELb1ELb0ELb1ELb0EPKS1_S2_S1_Ev17rocblas_diagonal_iiT6_lPT7_lllS7_lllPT8_llli
; %bb.0:
	s_load_b32 s11, s[0:1], 0x80
	s_bfe_u32 s2, ttmp6, 0x40014
	s_lshr_b32 s3, ttmp7, 16
	s_add_co_i32 s2, s2, 1
	s_bfe_u32 s5, ttmp6, 0x40008
	s_mul_i32 s2, s3, s2
	s_getreg_b32 s4, hwreg(HW_REG_IB_STS2, 6, 4)
	s_add_co_i32 s5, s5, s2
	s_cmp_eq_u32 s4, 0
	s_mov_b32 s35, 0
	s_cselect_b32 s34, s3, s5
	s_wait_kmcnt 0x0
	s_cmp_ge_u32 s34, s11
	s_cbranch_scc1 .LBB112_68
; %bb.1:
	s_clause 0x2
	s_load_b96 s[8:10], s[0:1], 0x0
	s_load_b256 s[36:43], s[0:1], 0x50
	s_load_b512 s[12:27], s[0:1], 0x10
	s_bfe_u32 s3, ttmp6, 0x4000c
	s_and_b32 s2, ttmp6, 15
	s_add_co_i32 s3, s3, 1
	s_bfe_u32 s6, ttmp6, 0x40010
	s_mul_i32 s3, ttmp9, s3
	s_and_b32 s5, ttmp7, 0xffff
	s_add_co_i32 s6, s6, 1
	s_add_co_i32 s30, s2, s3
	s_bfe_u32 s7, ttmp6, 0x40004
	s_mul_i32 s6, s5, s6
	v_and_b32_e32 v1, 0x3ff, v0
	s_add_co_i32 s7, s7, s6
	v_bfe_u32 v76, v0, 10, 10
	s_delay_alu instid0(VALU_DEP_2) | instskip(SKIP_2) | instid1(VALU_DEP_2)
	v_lshlrev_b32_e32 v77, 4, v1
	s_wait_kmcnt 0x0
	s_add_co_i32 s28, s10, -1
	v_lshlrev_b32_e32 v0, 9, v76
	s_ashr_i32 s29, s28, 31
	s_mov_b32 s44, s10
	s_lshr_b32 s2, s29, 27
	s_delay_alu instid0(SALU_CYCLE_1)
	s_add_co_i32 s28, s28, s2
	s_lshl_b64 s[2:3], s[42:43], 4
	s_ashr_i32 s33, s28, 5
	s_cmp_eq_u32 s4, 0
	v_add_nc_u32_e32 v78, 0x4000, v0
	s_cselect_b32 s48, s5, s7
	s_cselect_b32 s4, ttmp9, s30
	s_cmp_le_i32 s48, s33
	s_load_b128 s[28:31], s[0:1], 0x70
	s_cselect_b32 s49, -1, 0
	s_lshl_b32 s6, s4, 5
	s_add_nc_u64 s[40:41], s[40:41], s[2:3]
	v_add_nc_u32_e32 v20, s6, v1
	s_sub_co_i32 s50, s9, s6
	s_mov_b32 s42, s9
	s_cmp_gt_i32 s50, 0
	v_lshl_add_u32 v86, s48, 5, v76
	v_ashrrev_i32_e32 v21, 31, v20
	s_cselect_b32 s51, -1, 0
	s_cmp_eq_u32 s8, 0x84
	v_dual_add_nc_u32 v80, v78, v77 :: v_dual_add_nc_u32 v22, s6, v76
	s_delay_alu instid0(VALU_DEP_2)
	v_lshlrev_b64_e32 v[2:3], 4, v[20:21]
	v_mul_u64_e32 v[4:5], s[20:21], v[20:21]
	s_cselect_b32 s52, -1, 0
	s_lshl_b64 s[4:5], s[18:19], 4
	v_dual_ashrrev_i32 v23, 31, v22 :: v_dual_add_nc_u32 v24, 16, v20
	s_lshl_b64 s[2:3], s[26:27], 4
	s_delay_alu instid0(VALU_DEP_3) | instskip(SKIP_1) | instid1(VALU_DEP_3)
	v_add_nc_u64_e32 v[6:7], 0x100, v[2:3]
	v_add_nc_u64_e32 v[26:27], 16, v[20:21]
	v_lshlrev_b64_e32 v[10:11], 4, v[22:23]
	v_sub_nc_u64_e32 v[28:29], v[20:21], v[22:23]
	v_dual_mov_b32 v0, 0 :: v_dual_add_nc_u32 v79, v77, v0
	s_ashr_i32 s43, s9, 31
	v_mad_nc_u64_u32 v[8:9], s20, v6, s[4:5]
	s_add_nc_u64 s[18:19], s[0:1], 0x88
	s_delay_alu instid0(VALU_DEP_2) | instskip(NEXT) | instid1(VALU_DEP_4)
	v_add_nc_u32_e32 v81, 0x2000, v79
	v_add_nc_u64_e32 v[30:31], 16, v[28:29]
	v_add_nc_u64_e32 v[32:33], -16, v[28:29]
	v_add_nc_u32_e32 v82, 0x2100, v79
	v_add_nc_u32_e32 v83, 0x100, v80
	;; [unrolled: 1-line block ×4, first 2 shown]
	s_wait_xcnt 0x0
	v_cmp_le_i32_e64 s0, s9, v20
	v_cmp_gt_i32_e64 s1, s9, v20
	v_mad_u32 v1, s21, v6, v9
	v_ashrrev_i32_e32 v25, 31, v24
	s_ashr_i32 s45, s10, 31
	s_lshl_b64 s[22:23], s[22:23], 4
	v_lshl_add_u64 v[4:5], v[4:5], 4, s[4:5]
	s_add_nc_u64 s[4:5], s[24:25], s[2:3]
	v_cmp_le_i64_e64 s3, s[42:43], v[26:27]
	s_delay_alu instid0(VALU_DEP_4)
	v_mad_u32 v9, s20, v7, v1
	v_add_nc_u64_e32 v[2:3], s[4:5], v[2:3]
	v_add_nc_u64_e32 v[4:5], v[4:5], v[10:11]
	v_cmp_gt_i32_e64 s2, s9, v24
	v_mov_b32_e32 v1, 0x3ff00000
	s_add_nc_u64 s[20:21], s[42:43], -16
	s_lshl_b64 s[24:25], s[36:37], 4
	v_add_nc_u64_e32 v[34:35], 0x100, v[2:3]
	v_add_nc_u64_e32 v[4:5], s[16:17], v[4:5]
	;; [unrolled: 1-line block ×3, first 2 shown]
	s_delay_alu instid0(VALU_DEP_2) | instskip(NEXT) | instid1(VALU_DEP_2)
	v_add_nc_u64_e32 v[36:37], 0x100, v[4:5]
	v_add_nc_u64_e32 v[38:39], s[16:17], v[6:7]
	s_lshl_b64 s[16:17], s[38:39], 4
	s_branch .LBB112_4
.LBB112_2:                              ;   in Loop: Header=BB112_4 Depth=1
	s_add_co_i32 s34, s34, 0x10000
	s_delay_alu instid0(SALU_CYCLE_1)
	s_cmp_ge_u32 s34, s11
	s_cselect_b32 s4, -1, 0
.LBB112_3:                              ;   in Loop: Header=BB112_4 Depth=1
	s_delay_alu instid0(SALU_CYCLE_1)
	s_and_b32 vcc_lo, exec_lo, s4
	s_cbranch_vccnz .LBB112_68
.LBB112_4:                              ; =>This Loop Header: Depth=1
                                        ;     Child Loop BB112_8 Depth 2
                                        ;       Child Loop BB112_11 Depth 3
	s_mul_u64 s[4:5], s[14:15], s[34:35]
	s_delay_alu instid0(SALU_CYCLE_1) | instskip(NEXT) | instid1(SALU_CYCLE_1)
	s_lshl_b64 s[4:5], s[4:5], 4
	s_add_nc_u64 s[4:5], s[12:13], s[4:5]
	global_load_b128 v[4:7], v0, s[4:5]
	s_wait_loadcnt 0x0
	v_cmp_eq_f64_e32 vcc_lo, 0, v[4:5]
	s_wait_xcnt 0x0
	v_cmp_eq_f64_e64 s4, 0, v[6:7]
	s_and_b32 s4, vcc_lo, s4
	s_delay_alu instid0(SALU_CYCLE_1)
	s_and_b32 vcc_lo, exec_lo, s4
	s_mov_b32 s4, -1
	s_cbranch_vccnz .LBB112_3
; %bb.5:                                ;   in Loop: Header=BB112_4 Depth=1
	s_and_not1_b32 vcc_lo, exec_lo, s49
	s_cbranch_vccnz .LBB112_2
; %bb.6:                                ;   in Loop: Header=BB112_4 Depth=1
	s_load_b32 s9, s[18:19], 0x4
	v_mad_nc_u64_u32 v[40:41], s16, s34, v[34:35]
	v_mad_nc_u64_u32 v[42:43], s22, s34, v[36:37]
	;; [unrolled: 1-line block ×3, first 2 shown]
	s_mul_i32 s6, s23, s34
	s_wait_kmcnt 0x0
	s_mul_u64 s[4:5], s[30:31], s[34:35]
	v_mov_b32_e32 v46, v86
	s_lshl_b64 s[4:5], s[4:5], 4
	s_mov_b32 s54, s48
	s_add_nc_u64 s[26:27], s[40:41], s[4:5]
	s_delay_alu instid0(VALU_DEP_4) | instskip(NEXT) | instid1(VALU_DEP_3)
	v_mad_u32 v41, s17, s34, v41
	v_dual_add_nc_u32 v43, s6, v43 :: v_dual_add_nc_u32 v45, s6, v45
	s_lshl_b32 s53, s9, 5
	s_branch .LBB112_8
.LBB112_7:                              ;   in Loop: Header=BB112_8 Depth=2
	s_wait_xcnt 0x0
	s_or_b32 exec_lo, exec_lo, s4
	v_add_nc_u32_e32 v46, s53, v46
	s_add_co_i32 s54, s9, s54
	s_delay_alu instid0(SALU_CYCLE_1)
	s_cmp_gt_i32 s54, s33
	s_cbranch_scc1 .LBB112_2
.LBB112_8:                              ;   Parent Loop BB112_4 Depth=1
                                        ; =>  This Loop Header: Depth=2
                                        ;       Child Loop BB112_11 Depth 3
	v_lshl_add_u32 v48, s54, 5, v76
	s_and_not1_b32 vcc_lo, exec_lo, s51
	s_delay_alu instid0(VALU_DEP_1)
	v_ashrrev_i32_e32 v49, 31, v48
	s_cbranch_vccnz .LBB112_59
; %bb.9:                                ;   in Loop: Header=BB112_8 Depth=2
	v_ashrrev_i32_e32 v47, 31, v46
	v_mad_nc_u64_u32 v[50:51], s24, v46, v[40:41]
	s_delay_alu instid0(VALU_DEP_3)
	v_sub_nc_u64_e32 v[8:9], s[44:45], v[48:49]
	v_mov_b64_e32 v[62:63], 0
	v_mov_b64_e32 v[66:67], 0
	v_lshl_add_u64 v[2:3], v[46:47], 4, 0x100
	v_mov_b64_e32 v[64:65], 0
	v_mov_b64_e32 v[68:69], 0
	;; [unrolled: 1-line block ×3, first 2 shown]
	v_cmp_lt_i64_e64 s4, 16, v[8:9]
	v_mad_nc_u64_u32 v[52:53], s36, v2, v[40:41]
	v_mov_b64_e32 v[54:55], 0
	v_mad_u32 v10, s25, v46, v51
	v_mov_b64_e32 v[60:61], 0
	v_mov_b64_e32 v[58:59], 0
	s_mov_b64 s[38:39], 0
	s_mov_b64 s[46:47], 0
	v_cmp_lt_i64_e32 vcc_lo, 0, v[8:9]
	v_mad_u32 v2, s37, v2, v53
	v_mad_u32 v51, s24, v47, v10
	s_delay_alu instid0(VALU_DEP_2)
	v_mad_u32 v53, s36, v3, v2
	s_branch .LBB112_11
.LBB112_10:                             ;   in Loop: Header=BB112_11 Depth=3
	s_wait_xcnt 0x0
	s_or_b32 exec_lo, exec_lo, s5
	s_wait_dscnt 0x0
	s_barrier_signal -1
	s_barrier_wait -1
	ds_load_b128 v[88:91], v78
	ds_load_b128 v[16:19], v78 offset:16
	ds_load_b128 v[12:15], v78 offset:32
	;; [unrolled: 1-line block ×3, first 2 shown]
	ds_load_b128 v[92:95], v77
	s_add_nc_u64 s[46:47], s[46:47], 32
	s_add_nc_u64 s[38:39], s[38:39], 0x200
	s_cmp_ge_i32 s46, s50
	s_wait_dscnt 0x0
	v_mul_f64_e32 v[2:3], v[90:91], v[94:95]
	v_mul_f64_e32 v[70:71], v[88:89], v[94:95]
	s_delay_alu instid0(VALU_DEP_2) | instskip(NEXT) | instid1(VALU_DEP_2)
	v_fma_f64 v[2:3], v[88:89], v[92:93], -v[2:3]
	v_fmac_f64_e32 v[70:71], v[90:91], v[92:93]
	s_delay_alu instid0(VALU_DEP_2) | instskip(NEXT) | instid1(VALU_DEP_2)
	v_add_f64_e32 v[72:73], v[58:59], v[2:3]
	v_add_f64_e32 v[74:75], v[70:71], v[60:61]
	ds_load_b128 v[58:61], v77 offset:256
	s_wait_dscnt 0x0
	v_mul_f64_e32 v[70:71], v[88:89], v[60:61]
	v_mul_f64_e32 v[2:3], v[90:91], v[60:61]
	s_delay_alu instid0(VALU_DEP_2) | instskip(NEXT) | instid1(VALU_DEP_2)
	v_fmac_f64_e32 v[70:71], v[90:91], v[58:59]
	v_fma_f64 v[2:3], v[88:89], v[58:59], -v[2:3]
	ds_load_b128 v[88:91], v78 offset:8192
	v_add_f64_e32 v[70:71], v[70:71], v[56:57]
	s_wait_dscnt 0x0
	v_mul_f64_e32 v[56:57], v[88:89], v[94:95]
	v_add_f64_e32 v[2:3], v[54:55], v[2:3]
	v_mul_f64_e32 v[54:55], v[90:91], v[94:95]
	s_delay_alu instid0(VALU_DEP_3) | instskip(NEXT) | instid1(VALU_DEP_2)
	v_fmac_f64_e32 v[56:57], v[90:91], v[92:93]
	v_fma_f64 v[54:55], v[88:89], v[92:93], -v[54:55]
	s_delay_alu instid0(VALU_DEP_2) | instskip(SKIP_2) | instid1(VALU_DEP_4)
	v_add_f64_e32 v[64:65], v[56:57], v[64:65]
	v_mul_f64_e32 v[56:57], v[90:91], v[60:61]
	v_mul_f64_e32 v[60:61], v[88:89], v[60:61]
	v_add_f64_e32 v[54:55], v[68:69], v[54:55]
	s_delay_alu instid0(VALU_DEP_3) | instskip(NEXT) | instid1(VALU_DEP_3)
	v_fma_f64 v[56:57], v[88:89], v[58:59], -v[56:57]
	v_fmac_f64_e32 v[60:61], v[90:91], v[58:59]
	s_delay_alu instid0(VALU_DEP_2)
	v_add_f64_e32 v[56:57], v[66:67], v[56:57]
	ds_load_b128 v[66:69], v77 offset:512
	v_add_f64_e32 v[58:59], v[60:61], v[62:63]
	s_wait_dscnt 0x0
	v_mul_f64_e32 v[60:61], v[18:19], v[68:69]
	v_mul_f64_e32 v[62:63], v[16:17], v[68:69]
	s_delay_alu instid0(VALU_DEP_2) | instskip(NEXT) | instid1(VALU_DEP_2)
	v_fma_f64 v[60:61], v[16:17], v[66:67], -v[60:61]
	v_fmac_f64_e32 v[62:63], v[18:19], v[66:67]
	s_delay_alu instid0(VALU_DEP_2) | instskip(NEXT) | instid1(VALU_DEP_2)
	v_add_f64_e32 v[60:61], v[72:73], v[60:61]
	v_add_f64_e32 v[62:63], v[62:63], v[74:75]
	ds_load_b128 v[72:75], v77 offset:768
	s_wait_dscnt 0x0
	v_mul_f64_e32 v[88:89], v[18:19], v[74:75]
	s_delay_alu instid0(VALU_DEP_1) | instskip(SKIP_1) | instid1(VALU_DEP_2)
	v_fma_f64 v[88:89], v[16:17], v[72:73], -v[88:89]
	v_mul_f64_e32 v[16:17], v[16:17], v[74:75]
	v_add_f64_e32 v[2:3], v[2:3], v[88:89]
	ds_load_b128 v[88:91], v78 offset:8208
	v_fmac_f64_e32 v[16:17], v[18:19], v[72:73]
	s_wait_dscnt 0x0
	v_mul_f64_e32 v[18:19], v[90:91], v[68:69]
	v_mul_f64_e32 v[68:69], v[88:89], v[68:69]
	s_delay_alu instid0(VALU_DEP_3) | instskip(NEXT) | instid1(VALU_DEP_3)
	v_add_f64_e32 v[16:17], v[16:17], v[70:71]
	v_fma_f64 v[18:19], v[88:89], v[66:67], -v[18:19]
	s_delay_alu instid0(VALU_DEP_3) | instskip(SKIP_1) | instid1(VALU_DEP_3)
	v_fmac_f64_e32 v[68:69], v[90:91], v[66:67]
	v_mul_f64_e32 v[66:67], v[88:89], v[74:75]
	v_add_f64_e32 v[18:19], v[54:55], v[18:19]
	s_delay_alu instid0(VALU_DEP_3) | instskip(SKIP_1) | instid1(VALU_DEP_4)
	v_add_f64_e32 v[54:55], v[68:69], v[64:65]
	v_mul_f64_e32 v[64:65], v[90:91], v[74:75]
	v_fmac_f64_e32 v[66:67], v[90:91], v[72:73]
	s_delay_alu instid0(VALU_DEP_2) | instskip(NEXT) | instid1(VALU_DEP_2)
	v_fma_f64 v[64:65], v[88:89], v[72:73], -v[64:65]
	v_add_f64_e32 v[58:59], v[66:67], v[58:59]
	s_delay_alu instid0(VALU_DEP_2) | instskip(SKIP_4) | instid1(VALU_DEP_2)
	v_add_f64_e32 v[56:57], v[56:57], v[64:65]
	ds_load_b128 v[64:67], v77 offset:1024
	s_wait_dscnt 0x0
	v_mul_f64_e32 v[68:69], v[14:15], v[66:67]
	v_mul_f64_e32 v[70:71], v[12:13], v[66:67]
	v_fma_f64 v[68:69], v[12:13], v[64:65], -v[68:69]
	s_delay_alu instid0(VALU_DEP_2) | instskip(NEXT) | instid1(VALU_DEP_2)
	v_fmac_f64_e32 v[70:71], v[14:15], v[64:65]
	v_add_f64_e32 v[72:73], v[60:61], v[68:69]
	s_delay_alu instid0(VALU_DEP_2) | instskip(SKIP_3) | instid1(VALU_DEP_1)
	v_add_f64_e32 v[74:75], v[70:71], v[62:63]
	ds_load_b128 v[68:71], v77 offset:1280
	s_wait_dscnt 0x0
	v_mul_f64_e32 v[60:61], v[14:15], v[70:71]
	v_fma_f64 v[60:61], v[12:13], v[68:69], -v[60:61]
	v_mul_f64_e32 v[12:13], v[12:13], v[70:71]
	s_delay_alu instid0(VALU_DEP_2) | instskip(NEXT) | instid1(VALU_DEP_2)
	v_add_f64_e32 v[2:3], v[2:3], v[60:61]
	v_fmac_f64_e32 v[12:13], v[14:15], v[68:69]
	s_delay_alu instid0(VALU_DEP_1) | instskip(SKIP_4) | instid1(VALU_DEP_2)
	v_add_f64_e32 v[88:89], v[12:13], v[16:17]
	ds_load_b128 v[12:15], v78 offset:8224
	s_wait_dscnt 0x0
	v_mul_f64_e32 v[16:17], v[14:15], v[66:67]
	v_mul_f64_e32 v[60:61], v[12:13], v[66:67]
	v_fma_f64 v[16:17], v[12:13], v[64:65], -v[16:17]
	s_delay_alu instid0(VALU_DEP_2) | instskip(NEXT) | instid1(VALU_DEP_2)
	v_fmac_f64_e32 v[60:61], v[14:15], v[64:65]
	v_add_f64_e32 v[62:63], v[18:19], v[16:17]
	v_mul_f64_e32 v[16:17], v[14:15], v[70:71]
	s_delay_alu instid0(VALU_DEP_3) | instskip(NEXT) | instid1(VALU_DEP_2)
	v_add_f64_e32 v[64:65], v[60:61], v[54:55]
	v_fma_f64 v[16:17], v[12:13], v[68:69], -v[16:17]
	v_mul_f64_e32 v[12:13], v[12:13], v[70:71]
	s_delay_alu instid0(VALU_DEP_2) | instskip(NEXT) | instid1(VALU_DEP_2)
	v_add_f64_e32 v[60:61], v[56:57], v[16:17]
	v_fmac_f64_e32 v[12:13], v[14:15], v[68:69]
	ds_load_b128 v[16:19], v77 offset:1536
	s_wait_dscnt 0x0
	v_mul_f64_e32 v[14:15], v[8:9], v[18:19]
	v_add_f64_e32 v[58:59], v[12:13], v[58:59]
	v_mul_f64_e32 v[12:13], v[10:11], v[18:19]
	s_delay_alu instid0(VALU_DEP_3) | instskip(NEXT) | instid1(VALU_DEP_2)
	v_fmac_f64_e32 v[14:15], v[10:11], v[16:17]
	v_fma_f64 v[12:13], v[8:9], v[16:17], -v[12:13]
	s_delay_alu instid0(VALU_DEP_2) | instskip(NEXT) | instid1(VALU_DEP_2)
	v_add_f64_e32 v[56:57], v[14:15], v[74:75]
	v_add_f64_e32 v[54:55], v[72:73], v[12:13]
	ds_load_b128 v[12:15], v77 offset:1792
	s_wait_dscnt 0x0
	v_mul_f64_e32 v[66:67], v[10:11], v[14:15]
	s_delay_alu instid0(VALU_DEP_1) | instskip(SKIP_1) | instid1(VALU_DEP_2)
	v_fma_f64 v[66:67], v[8:9], v[12:13], -v[66:67]
	v_mul_f64_e32 v[8:9], v[8:9], v[14:15]
	v_add_f64_e32 v[2:3], v[2:3], v[66:67]
	ds_load_b128 v[66:69], v78 offset:8240
	v_fmac_f64_e32 v[8:9], v[10:11], v[12:13]
	s_wait_dscnt 0x0
	v_mul_f64_e32 v[10:11], v[68:69], v[18:19]
	v_mul_f64_e32 v[18:19], v[66:67], v[18:19]
	s_delay_alu instid0(VALU_DEP_3) | instskip(NEXT) | instid1(VALU_DEP_3)
	v_add_f64_e32 v[8:9], v[8:9], v[88:89]
	v_fma_f64 v[10:11], v[66:67], v[16:17], -v[10:11]
	s_delay_alu instid0(VALU_DEP_3) | instskip(NEXT) | instid1(VALU_DEP_2)
	v_fmac_f64_e32 v[18:19], v[68:69], v[16:17]
	v_add_f64_e32 v[16:17], v[62:63], v[10:11]
	v_mul_f64_e32 v[10:11], v[68:69], v[14:15]
	s_delay_alu instid0(VALU_DEP_3) | instskip(SKIP_1) | instid1(VALU_DEP_3)
	v_add_f64_e32 v[62:63], v[18:19], v[64:65]
	v_mul_f64_e32 v[18:19], v[66:67], v[14:15]
	v_fma_f64 v[10:11], v[66:67], v[12:13], -v[10:11]
	s_delay_alu instid0(VALU_DEP_2)
	v_fmac_f64_e32 v[18:19], v[68:69], v[12:13]
	ds_load_b128 v[64:67], v78 offset:64
	ds_load_b128 v[68:71], v77 offset:2048
	;; [unrolled: 1-line block ×3, first 2 shown]
	s_wait_dscnt 0x1
	v_mul_f64_e32 v[12:13], v[64:65], v[70:71]
	v_add_f64_e32 v[14:15], v[60:61], v[10:11]
	v_mul_f64_e32 v[10:11], v[66:67], v[70:71]
	v_add_f64_e32 v[58:59], v[18:19], v[58:59]
	s_wait_dscnt 0x0
	v_mul_f64_e32 v[18:19], v[66:67], v[74:75]
	v_fmac_f64_e32 v[12:13], v[66:67], v[68:69]
	s_delay_alu instid0(VALU_DEP_4) | instskip(NEXT) | instid1(VALU_DEP_3)
	v_fma_f64 v[10:11], v[64:65], v[68:69], -v[10:11]
	v_fma_f64 v[18:19], v[64:65], v[72:73], -v[18:19]
	s_delay_alu instid0(VALU_DEP_3) | instskip(NEXT) | instid1(VALU_DEP_3)
	v_add_f64_e32 v[12:13], v[12:13], v[56:57]
	v_add_f64_e32 v[10:11], v[54:55], v[10:11]
	v_mul_f64_e32 v[54:55], v[64:65], v[74:75]
	s_delay_alu instid0(VALU_DEP_4) | instskip(NEXT) | instid1(VALU_DEP_2)
	v_add_f64_e32 v[2:3], v[2:3], v[18:19]
	v_fmac_f64_e32 v[54:55], v[66:67], v[72:73]
	ds_load_b128 v[64:67], v78 offset:8256
	v_add_f64_e32 v[60:61], v[54:55], v[8:9]
	s_wait_dscnt 0x0
	v_mul_f64_e32 v[8:9], v[66:67], v[70:71]
	v_mul_f64_e32 v[54:55], v[64:65], v[70:71]
	s_delay_alu instid0(VALU_DEP_2) | instskip(NEXT) | instid1(VALU_DEP_2)
	v_fma_f64 v[8:9], v[64:65], v[68:69], -v[8:9]
	v_fmac_f64_e32 v[54:55], v[66:67], v[68:69]
	s_delay_alu instid0(VALU_DEP_2) | instskip(SKIP_2) | instid1(VALU_DEP_4)
	v_add_f64_e32 v[18:19], v[16:17], v[8:9]
	v_mul_f64_e32 v[8:9], v[66:67], v[74:75]
	v_mul_f64_e32 v[16:17], v[64:65], v[74:75]
	v_add_f64_e32 v[54:55], v[54:55], v[62:63]
	s_delay_alu instid0(VALU_DEP_3) | instskip(NEXT) | instid1(VALU_DEP_3)
	v_fma_f64 v[8:9], v[64:65], v[72:73], -v[8:9]
	v_fmac_f64_e32 v[16:17], v[66:67], v[72:73]
	ds_load_b128 v[62:65], v78 offset:80
	ds_load_b128 v[66:69], v77 offset:2560
	v_add_f64_e32 v[14:15], v[14:15], v[8:9]
	s_wait_dscnt 0x0
	v_mul_f64_e32 v[8:9], v[64:65], v[68:69]
	v_add_f64_e32 v[16:17], v[16:17], v[58:59]
	v_mul_f64_e32 v[58:59], v[62:63], v[68:69]
	s_delay_alu instid0(VALU_DEP_3) | instskip(NEXT) | instid1(VALU_DEP_2)
	v_fma_f64 v[8:9], v[62:63], v[66:67], -v[8:9]
	v_fmac_f64_e32 v[58:59], v[64:65], v[66:67]
	s_delay_alu instid0(VALU_DEP_2) | instskip(SKIP_4) | instid1(VALU_DEP_1)
	v_add_f64_e32 v[56:57], v[10:11], v[8:9]
	ds_load_b128 v[8:11], v77 offset:2816
	v_add_f64_e32 v[58:59], v[58:59], v[12:13]
	s_wait_dscnt 0x0
	v_mul_f64_e32 v[12:13], v[64:65], v[10:11]
	v_fma_f64 v[12:13], v[62:63], v[8:9], -v[12:13]
	v_mul_f64_e32 v[62:63], v[62:63], v[10:11]
	s_delay_alu instid0(VALU_DEP_2) | instskip(NEXT) | instid1(VALU_DEP_2)
	v_add_f64_e32 v[2:3], v[2:3], v[12:13]
	v_fmac_f64_e32 v[62:63], v[64:65], v[8:9]
	s_delay_alu instid0(VALU_DEP_1) | instskip(SKIP_4) | instid1(VALU_DEP_2)
	v_add_f64_e32 v[12:13], v[62:63], v[60:61]
	ds_load_b128 v[60:63], v78 offset:8272
	s_wait_dscnt 0x0
	v_mul_f64_e32 v[64:65], v[62:63], v[68:69]
	v_mul_f64_e32 v[68:69], v[60:61], v[68:69]
	v_fma_f64 v[64:65], v[60:61], v[66:67], -v[64:65]
	s_delay_alu instid0(VALU_DEP_2) | instskip(NEXT) | instid1(VALU_DEP_2)
	v_fmac_f64_e32 v[68:69], v[62:63], v[66:67]
	v_add_f64_e32 v[18:19], v[18:19], v[64:65]
	v_mul_f64_e32 v[64:65], v[62:63], v[10:11]
	v_mul_f64_e32 v[10:11], v[60:61], v[10:11]
	s_delay_alu instid0(VALU_DEP_4) | instskip(NEXT) | instid1(VALU_DEP_3)
	v_add_f64_e32 v[54:55], v[68:69], v[54:55]
	v_fma_f64 v[64:65], v[60:61], v[8:9], -v[64:65]
	s_delay_alu instid0(VALU_DEP_3) | instskip(NEXT) | instid1(VALU_DEP_2)
	v_fmac_f64_e32 v[10:11], v[62:63], v[8:9]
	v_add_f64_e32 v[14:15], v[14:15], v[64:65]
	ds_load_b128 v[60:63], v78 offset:96
	ds_load_b128 v[64:67], v77 offset:3072
	v_add_f64_e32 v[16:17], v[10:11], v[16:17]
	s_wait_dscnt 0x0
	v_mul_f64_e32 v[8:9], v[62:63], v[66:67]
	v_mul_f64_e32 v[10:11], v[60:61], v[66:67]
	s_delay_alu instid0(VALU_DEP_2) | instskip(NEXT) | instid1(VALU_DEP_2)
	v_fma_f64 v[8:9], v[60:61], v[64:65], -v[8:9]
	v_fmac_f64_e32 v[10:11], v[62:63], v[64:65]
	s_delay_alu instid0(VALU_DEP_2) | instskip(NEXT) | instid1(VALU_DEP_2)
	v_add_f64_e32 v[8:9], v[56:57], v[8:9]
	v_add_f64_e32 v[10:11], v[10:11], v[58:59]
	ds_load_b128 v[56:59], v77 offset:3328
	s_wait_dscnt 0x0
	v_mul_f64_e32 v[68:69], v[62:63], v[58:59]
	s_delay_alu instid0(VALU_DEP_1) | instskip(SKIP_1) | instid1(VALU_DEP_2)
	v_fma_f64 v[68:69], v[60:61], v[56:57], -v[68:69]
	v_mul_f64_e32 v[60:61], v[60:61], v[58:59]
	v_add_f64_e32 v[2:3], v[2:3], v[68:69]
	s_delay_alu instid0(VALU_DEP_2) | instskip(NEXT) | instid1(VALU_DEP_1)
	v_fmac_f64_e32 v[60:61], v[62:63], v[56:57]
	v_add_f64_e32 v[12:13], v[60:61], v[12:13]
	ds_load_b128 v[60:63], v78 offset:8288
	s_wait_dscnt 0x0
	v_mul_f64_e32 v[68:69], v[62:63], v[66:67]
	v_mul_f64_e32 v[66:67], v[60:61], v[66:67]
	s_delay_alu instid0(VALU_DEP_2) | instskip(NEXT) | instid1(VALU_DEP_2)
	v_fma_f64 v[68:69], v[60:61], v[64:65], -v[68:69]
	v_fmac_f64_e32 v[66:67], v[62:63], v[64:65]
	v_mul_f64_e32 v[64:65], v[62:63], v[58:59]
	v_mul_f64_e32 v[58:59], v[60:61], v[58:59]
	s_delay_alu instid0(VALU_DEP_4) | instskip(NEXT) | instid1(VALU_DEP_4)
	v_add_f64_e32 v[18:19], v[18:19], v[68:69]
	v_add_f64_e32 v[54:55], v[66:67], v[54:55]
	s_delay_alu instid0(VALU_DEP_4) | instskip(NEXT) | instid1(VALU_DEP_4)
	v_fma_f64 v[64:65], v[60:61], v[56:57], -v[64:65]
	v_fmac_f64_e32 v[58:59], v[62:63], v[56:57]
	s_delay_alu instid0(VALU_DEP_2)
	v_add_f64_e32 v[14:15], v[14:15], v[64:65]
	ds_load_b128 v[60:63], v78 offset:112
	ds_load_b128 v[64:67], v77 offset:3584
	v_add_f64_e32 v[16:17], v[58:59], v[16:17]
	s_wait_dscnt 0x0
	v_mul_f64_e32 v[56:57], v[62:63], v[66:67]
	v_mul_f64_e32 v[58:59], v[60:61], v[66:67]
	s_delay_alu instid0(VALU_DEP_2) | instskip(NEXT) | instid1(VALU_DEP_2)
	v_fma_f64 v[56:57], v[60:61], v[64:65], -v[56:57]
	v_fmac_f64_e32 v[58:59], v[62:63], v[64:65]
	s_delay_alu instid0(VALU_DEP_2) | instskip(NEXT) | instid1(VALU_DEP_2)
	v_add_f64_e32 v[56:57], v[8:9], v[56:57]
	v_add_f64_e32 v[58:59], v[58:59], v[10:11]
	ds_load_b128 v[8:11], v77 offset:3840
	s_wait_dscnt 0x0
	v_mul_f64_e32 v[68:69], v[62:63], v[10:11]
	s_delay_alu instid0(VALU_DEP_1) | instskip(SKIP_1) | instid1(VALU_DEP_2)
	v_fma_f64 v[68:69], v[60:61], v[8:9], -v[68:69]
	v_mul_f64_e32 v[60:61], v[60:61], v[10:11]
	v_add_f64_e32 v[2:3], v[2:3], v[68:69]
	s_delay_alu instid0(VALU_DEP_2) | instskip(NEXT) | instid1(VALU_DEP_1)
	v_fmac_f64_e32 v[60:61], v[62:63], v[8:9]
	v_add_f64_e32 v[12:13], v[60:61], v[12:13]
	ds_load_b128 v[60:63], v78 offset:8304
	s_wait_dscnt 0x0
	v_mul_f64_e32 v[68:69], v[62:63], v[66:67]
	v_mul_f64_e32 v[66:67], v[60:61], v[66:67]
	s_delay_alu instid0(VALU_DEP_2) | instskip(NEXT) | instid1(VALU_DEP_2)
	v_fma_f64 v[68:69], v[60:61], v[64:65], -v[68:69]
	v_fmac_f64_e32 v[66:67], v[62:63], v[64:65]
	v_mul_f64_e32 v[64:65], v[62:63], v[10:11]
	v_mul_f64_e32 v[10:11], v[60:61], v[10:11]
	s_delay_alu instid0(VALU_DEP_4) | instskip(NEXT) | instid1(VALU_DEP_4)
	v_add_f64_e32 v[18:19], v[18:19], v[68:69]
	v_add_f64_e32 v[54:55], v[66:67], v[54:55]
	s_delay_alu instid0(VALU_DEP_4) | instskip(NEXT) | instid1(VALU_DEP_4)
	v_fma_f64 v[64:65], v[60:61], v[8:9], -v[64:65]
	v_fmac_f64_e32 v[10:11], v[62:63], v[8:9]
	s_delay_alu instid0(VALU_DEP_2)
	;; [unrolled: 39-line block ×21, first 2 shown]
	v_add_f64_e32 v[14:15], v[14:15], v[64:65]
	ds_load_b128 v[60:63], v78 offset:432
	ds_load_b128 v[64:67], v77 offset:13824
	v_add_f64_e32 v[16:17], v[58:59], v[16:17]
	s_wait_dscnt 0x0
	v_mul_f64_e32 v[56:57], v[62:63], v[66:67]
	v_mul_f64_e32 v[58:59], v[60:61], v[66:67]
	s_delay_alu instid0(VALU_DEP_2) | instskip(NEXT) | instid1(VALU_DEP_2)
	v_fma_f64 v[56:57], v[60:61], v[64:65], -v[56:57]
	v_fmac_f64_e32 v[58:59], v[62:63], v[64:65]
	s_delay_alu instid0(VALU_DEP_2) | instskip(NEXT) | instid1(VALU_DEP_2)
	v_add_f64_e32 v[56:57], v[8:9], v[56:57]
	v_add_f64_e32 v[58:59], v[58:59], v[10:11]
	ds_load_b128 v[8:11], v77 offset:14080
	s_wait_dscnt 0x0
	v_mul_f64_e32 v[68:69], v[62:63], v[10:11]
	s_delay_alu instid0(VALU_DEP_1) | instskip(SKIP_1) | instid1(VALU_DEP_2)
	v_fma_f64 v[68:69], v[60:61], v[8:9], -v[68:69]
	v_mul_f64_e32 v[60:61], v[60:61], v[10:11]
	v_add_f64_e32 v[2:3], v[2:3], v[68:69]
	s_delay_alu instid0(VALU_DEP_2) | instskip(NEXT) | instid1(VALU_DEP_1)
	v_fmac_f64_e32 v[60:61], v[62:63], v[8:9]
	v_add_f64_e32 v[12:13], v[60:61], v[12:13]
	ds_load_b128 v[60:63], v78 offset:8624
	s_wait_dscnt 0x0
	v_mul_f64_e32 v[68:69], v[62:63], v[66:67]
	v_mul_f64_e32 v[66:67], v[60:61], v[66:67]
	s_delay_alu instid0(VALU_DEP_2) | instskip(NEXT) | instid1(VALU_DEP_2)
	v_fma_f64 v[68:69], v[60:61], v[64:65], -v[68:69]
	v_fmac_f64_e32 v[66:67], v[62:63], v[64:65]
	v_mul_f64_e32 v[64:65], v[62:63], v[10:11]
	v_mul_f64_e32 v[10:11], v[60:61], v[10:11]
	s_delay_alu instid0(VALU_DEP_4) | instskip(NEXT) | instid1(VALU_DEP_4)
	v_add_f64_e32 v[18:19], v[18:19], v[68:69]
	v_add_f64_e32 v[54:55], v[66:67], v[54:55]
	s_delay_alu instid0(VALU_DEP_4) | instskip(NEXT) | instid1(VALU_DEP_4)
	v_fma_f64 v[64:65], v[60:61], v[8:9], -v[64:65]
	v_fmac_f64_e32 v[10:11], v[62:63], v[8:9]
	ds_load_b128 v[60:63], v78 offset:448
	ds_load_b128 v[66:69], v77 offset:14336
	;; [unrolled: 1-line block ×3, first 2 shown]
	s_wait_dscnt 0x1
	v_mul_f64_e32 v[8:9], v[62:63], v[68:69]
	v_add_f64_e32 v[14:15], v[14:15], v[64:65]
	v_add_f64_e32 v[16:17], v[10:11], v[16:17]
	v_mul_f64_e32 v[10:11], v[60:61], v[68:69]
	s_delay_alu instid0(VALU_DEP_4) | instskip(NEXT) | instid1(VALU_DEP_2)
	v_fma_f64 v[8:9], v[60:61], v[66:67], -v[8:9]
	v_fmac_f64_e32 v[10:11], v[62:63], v[66:67]
	s_delay_alu instid0(VALU_DEP_2) | instskip(SKIP_2) | instid1(VALU_DEP_3)
	v_add_f64_e32 v[8:9], v[56:57], v[8:9]
	s_wait_dscnt 0x0
	v_mul_f64_e32 v[56:57], v[62:63], v[72:73]
	v_add_f64_e32 v[10:11], v[10:11], v[58:59]
	v_mul_f64_e32 v[58:59], v[60:61], v[72:73]
	s_delay_alu instid0(VALU_DEP_3) | instskip(NEXT) | instid1(VALU_DEP_2)
	v_fma_f64 v[56:57], v[60:61], v[70:71], -v[56:57]
	v_fmac_f64_e32 v[58:59], v[62:63], v[70:71]
	ds_load_b128 v[60:63], v78 offset:8640
	v_add_f64_e32 v[2:3], v[2:3], v[56:57]
	v_add_f64_e32 v[64:65], v[58:59], v[12:13]
	s_wait_dscnt 0x0
	v_mul_f64_e32 v[12:13], v[62:63], v[68:69]
	v_mul_f64_e32 v[58:59], v[60:61], v[68:69]
	s_delay_alu instid0(VALU_DEP_2) | instskip(NEXT) | instid1(VALU_DEP_2)
	v_fma_f64 v[12:13], v[60:61], v[66:67], -v[12:13]
	v_fmac_f64_e32 v[58:59], v[62:63], v[66:67]
	s_delay_alu instid0(VALU_DEP_2) | instskip(SKIP_1) | instid1(VALU_DEP_3)
	v_add_f64_e32 v[56:57], v[18:19], v[12:13]
	v_mul_f64_e32 v[12:13], v[62:63], v[72:73]
	v_add_f64_e32 v[58:59], v[58:59], v[54:55]
	v_mul_f64_e32 v[54:55], v[60:61], v[72:73]
	s_delay_alu instid0(VALU_DEP_3) | instskip(NEXT) | instid1(VALU_DEP_2)
	v_fma_f64 v[12:13], v[60:61], v[70:71], -v[12:13]
	v_fmac_f64_e32 v[54:55], v[62:63], v[70:71]
	s_delay_alu instid0(VALU_DEP_2)
	v_add_f64_e32 v[18:19], v[14:15], v[12:13]
	ds_load_b128 v[66:69], v78 offset:464
	ds_load_b128 v[12:15], v77 offset:14848
	v_add_f64_e32 v[54:55], v[54:55], v[16:17]
	s_wait_dscnt 0x0
	v_mul_f64_e32 v[16:17], v[68:69], v[14:15]
	v_mul_f64_e32 v[62:63], v[66:67], v[14:15]
	s_delay_alu instid0(VALU_DEP_2) | instskip(NEXT) | instid1(VALU_DEP_2)
	v_fma_f64 v[16:17], v[66:67], v[12:13], -v[16:17]
	v_fmac_f64_e32 v[62:63], v[68:69], v[12:13]
	s_delay_alu instid0(VALU_DEP_2) | instskip(NEXT) | instid1(VALU_DEP_2)
	v_add_f64_e32 v[60:61], v[8:9], v[16:17]
	v_add_f64_e32 v[62:63], v[62:63], v[10:11]
	ds_load_b128 v[8:11], v77 offset:15104
	s_wait_dscnt 0x0
	v_mul_f64_e32 v[16:17], v[68:69], v[10:11]
	s_delay_alu instid0(VALU_DEP_1) | instskip(SKIP_1) | instid1(VALU_DEP_2)
	v_fma_f64 v[16:17], v[66:67], v[8:9], -v[16:17]
	v_mul_f64_e32 v[66:67], v[66:67], v[10:11]
	v_add_f64_e32 v[2:3], v[2:3], v[16:17]
	s_delay_alu instid0(VALU_DEP_2) | instskip(NEXT) | instid1(VALU_DEP_1)
	v_fmac_f64_e32 v[66:67], v[68:69], v[8:9]
	v_add_f64_e32 v[16:17], v[66:67], v[64:65]
	ds_load_b128 v[64:67], v78 offset:8656
	s_wait_dscnt 0x0
	v_mul_f64_e32 v[68:69], v[66:67], v[14:15]
	v_mul_f64_e32 v[14:15], v[64:65], v[14:15]
	s_delay_alu instid0(VALU_DEP_2) | instskip(NEXT) | instid1(VALU_DEP_2)
	v_fma_f64 v[68:69], v[64:65], v[12:13], -v[68:69]
	v_fmac_f64_e32 v[14:15], v[66:67], v[12:13]
	s_delay_alu instid0(VALU_DEP_2) | instskip(SKIP_2) | instid1(VALU_DEP_4)
	v_add_f64_e32 v[12:13], v[56:57], v[68:69]
	v_mul_f64_e32 v[56:57], v[66:67], v[10:11]
	v_mul_f64_e32 v[10:11], v[64:65], v[10:11]
	v_add_f64_e32 v[14:15], v[14:15], v[58:59]
	s_delay_alu instid0(VALU_DEP_3) | instskip(NEXT) | instid1(VALU_DEP_3)
	v_fma_f64 v[56:57], v[64:65], v[8:9], -v[56:57]
	v_fmac_f64_e32 v[10:11], v[66:67], v[8:9]
	s_delay_alu instid0(VALU_DEP_2)
	v_add_f64_e32 v[18:19], v[18:19], v[56:57]
	ds_load_b128 v[56:59], v78 offset:480
	ds_load_b128 v[64:67], v77 offset:15360
	v_add_f64_e32 v[54:55], v[10:11], v[54:55]
	s_wait_dscnt 0x0
	v_mul_f64_e32 v[8:9], v[58:59], v[66:67]
	v_mul_f64_e32 v[10:11], v[56:57], v[66:67]
	s_delay_alu instid0(VALU_DEP_2) | instskip(NEXT) | instid1(VALU_DEP_2)
	v_fma_f64 v[8:9], v[56:57], v[64:65], -v[8:9]
	v_fmac_f64_e32 v[10:11], v[58:59], v[64:65]
	s_delay_alu instid0(VALU_DEP_2) | instskip(NEXT) | instid1(VALU_DEP_2)
	v_add_f64_e32 v[8:9], v[60:61], v[8:9]
	v_add_f64_e32 v[10:11], v[10:11], v[62:63]
	ds_load_b128 v[60:63], v77 offset:15616
	s_wait_dscnt 0x0
	v_mul_f64_e32 v[68:69], v[58:59], v[62:63]
	v_mul_f64_e32 v[70:71], v[56:57], v[62:63]
	s_delay_alu instid0(VALU_DEP_2) | instskip(NEXT) | instid1(VALU_DEP_2)
	v_fma_f64 v[68:69], v[56:57], v[60:61], -v[68:69]
	v_fmac_f64_e32 v[70:71], v[58:59], v[60:61]
	s_delay_alu instid0(VALU_DEP_2) | instskip(NEXT) | instid1(VALU_DEP_2)
	v_add_f64_e32 v[56:57], v[2:3], v[68:69]
	v_add_f64_e32 v[16:17], v[70:71], v[16:17]
	ds_load_b128 v[68:71], v78 offset:8672
	s_wait_dscnt 0x0
	v_mul_f64_e32 v[2:3], v[70:71], v[66:67]
	v_mul_f64_e32 v[58:59], v[68:69], v[66:67]
	s_delay_alu instid0(VALU_DEP_2) | instskip(NEXT) | instid1(VALU_DEP_2)
	v_fma_f64 v[2:3], v[68:69], v[64:65], -v[2:3]
	v_fmac_f64_e32 v[58:59], v[70:71], v[64:65]
	s_delay_alu instid0(VALU_DEP_2) | instskip(SKIP_2) | instid1(VALU_DEP_4)
	v_add_f64_e32 v[64:65], v[12:13], v[2:3]
	v_mul_f64_e32 v[12:13], v[68:69], v[62:63]
	v_mul_f64_e32 v[2:3], v[70:71], v[62:63]
	v_add_f64_e32 v[66:67], v[58:59], v[14:15]
	s_delay_alu instid0(VALU_DEP_3) | instskip(NEXT) | instid1(VALU_DEP_3)
	v_fmac_f64_e32 v[12:13], v[70:71], v[60:61]
	v_fma_f64 v[2:3], v[68:69], v[60:61], -v[2:3]
	s_delay_alu instid0(VALU_DEP_2)
	v_add_f64_e32 v[62:63], v[12:13], v[54:55]
	ds_load_b128 v[68:71], v78 offset:496
	ds_load_b128 v[12:15], v77 offset:15872
	v_add_f64_e32 v[2:3], v[18:19], v[2:3]
	s_wait_dscnt 0x0
	v_mul_f64_e32 v[18:19], v[70:71], v[14:15]
	v_mul_f64_e32 v[54:55], v[68:69], v[14:15]
	s_delay_alu instid0(VALU_DEP_2) | instskip(NEXT) | instid1(VALU_DEP_2)
	v_fma_f64 v[18:19], v[68:69], v[12:13], -v[18:19]
	v_fmac_f64_e32 v[54:55], v[70:71], v[12:13]
	s_delay_alu instid0(VALU_DEP_2) | instskip(NEXT) | instid1(VALU_DEP_2)
	v_add_f64_e32 v[58:59], v[8:9], v[18:19]
	v_add_f64_e32 v[60:61], v[54:55], v[10:11]
	ds_load_b128 v[8:11], v77 offset:16128
	s_wait_dscnt 0x0
	v_mul_f64_e32 v[18:19], v[70:71], v[10:11]
	s_delay_alu instid0(VALU_DEP_1) | instskip(SKIP_1) | instid1(VALU_DEP_2)
	v_fma_f64 v[18:19], v[68:69], v[8:9], -v[18:19]
	v_mul_f64_e32 v[68:69], v[68:69], v[10:11]
	v_add_f64_e32 v[54:55], v[56:57], v[18:19]
	s_delay_alu instid0(VALU_DEP_2) | instskip(NEXT) | instid1(VALU_DEP_1)
	v_fmac_f64_e32 v[68:69], v[70:71], v[8:9]
	v_add_f64_e32 v[56:57], v[68:69], v[16:17]
	ds_load_b128 v[16:19], v78 offset:8688
	s_wait_dscnt 0x0
	s_barrier_signal -1
	s_barrier_wait -1
	v_mul_f64_e32 v[68:69], v[18:19], v[14:15]
	v_mul_f64_e32 v[14:15], v[16:17], v[14:15]
	s_delay_alu instid0(VALU_DEP_2) | instskip(NEXT) | instid1(VALU_DEP_2)
	v_fma_f64 v[68:69], v[16:17], v[12:13], -v[68:69]
	v_fmac_f64_e32 v[14:15], v[18:19], v[12:13]
	v_mul_f64_e32 v[12:13], v[18:19], v[10:11]
	v_mul_f64_e32 v[10:11], v[16:17], v[10:11]
	s_delay_alu instid0(VALU_DEP_4) | instskip(NEXT) | instid1(VALU_DEP_4)
	v_add_f64_e32 v[68:69], v[64:65], v[68:69]
	v_add_f64_e32 v[64:65], v[14:15], v[66:67]
	s_delay_alu instid0(VALU_DEP_4) | instskip(NEXT) | instid1(VALU_DEP_4)
	v_fma_f64 v[12:13], v[16:17], v[8:9], -v[12:13]
	v_fmac_f64_e32 v[10:11], v[18:19], v[8:9]
	s_delay_alu instid0(VALU_DEP_2) | instskip(NEXT) | instid1(VALU_DEP_2)
	v_add_f64_e32 v[66:67], v[2:3], v[12:13]
	v_add_f64_e32 v[62:63], v[10:11], v[62:63]
	s_cbranch_scc1 .LBB112_60
.LBB112_11:                             ;   Parent Loop BB112_4 Depth=1
                                        ;     Parent Loop BB112_8 Depth=2
                                        ; =>    This Inner Loop Header: Depth=3
	v_add_nc_u64_e32 v[10:11], s[46:47], v[22:23]
	v_cmp_eq_u64_e64 s7, s[46:47], v[28:29]
	v_add_nc_u64_e32 v[8:9], s[38:39], v[42:43]
	s_delay_alu instid0(VALU_DEP_3) | instskip(SKIP_3) | instid1(SALU_CYCLE_1)
	v_cmp_le_i64_e64 s6, s[42:43], v[10:11]
	v_cmp_lt_i64_e64 s5, v[10:11], v[20:21]
	s_and_b32 s56, s52, s7
	s_or_b32 s7, s6, s5
	s_or_b32 s7, s7, s56
	s_delay_alu instid0(SALU_CYCLE_1) | instskip(NEXT) | instid1(SALU_CYCLE_1)
	s_nor_b32 s7, s0, s7
	s_and_saveexec_b32 s8, s7
	s_delay_alu instid0(SALU_CYCLE_1)
	s_xor_b32 s7, exec_lo, s8
	s_cbranch_execz .LBB112_13
; %bb.12:                               ;   in Loop: Header=BB112_11 Depth=3
	global_load_b128 v[12:15], v[8:9], off offset:-256
	s_wait_loadcnt 0x0
	ds_store_2addr_b64 v79, v[12:13], v[14:15] offset1:1
.LBB112_13:                             ;   in Loop: Header=BB112_11 Depth=3
	s_wait_xcnt 0x0
	s_or_saveexec_b32 s7, s7
	s_xor_b32 s55, s56, -1
	s_xor_b32 exec_lo, exec_lo, s7
	s_cbranch_execz .LBB112_19
; %bb.14:                               ;   in Loop: Header=BB112_11 Depth=3
	s_and_saveexec_b32 s8, s55
	s_delay_alu instid0(SALU_CYCLE_1)
	s_xor_b32 s8, exec_lo, s8
; %bb.15:                               ;   in Loop: Header=BB112_11 Depth=3
	v_dual_mov_b32 v12, v0 :: v_dual_mov_b32 v13, v0
	v_dual_mov_b32 v14, v0 :: v_dual_mov_b32 v15, v0
	ds_store_b128 v79, v[12:15]
; %bb.16:                               ;   in Loop: Header=BB112_11 Depth=3
	s_and_not1_saveexec_b32 s8, s8
; %bb.17:                               ;   in Loop: Header=BB112_11 Depth=3
	v_dual_mov_b32 v2, v0 :: v_dual_mov_b32 v3, v0
	ds_store_b128 v79, v[0:3]
; %bb.18:                               ;   in Loop: Header=BB112_11 Depth=3
	s_or_b32 exec_lo, exec_lo, s8
.LBB112_19:                             ;   in Loop: Header=BB112_11 Depth=3
	s_delay_alu instid0(SALU_CYCLE_1)
	s_or_b32 exec_lo, exec_lo, s7
	v_cmp_eq_u64_e64 s7, s[46:47], v[30:31]
	v_cmp_gt_i64_e64 s8, v[26:27], v[10:11]
	v_add_nc_u64_e32 v[12:13], s[38:39], v[44:45]
	s_and_b32 s7, s52, s7
	s_or_b32 s6, s6, s8
	s_delay_alu instid0(SALU_CYCLE_1) | instskip(NEXT) | instid1(SALU_CYCLE_1)
	s_or_b32 s6, s6, s7
	s_nor_b32 s6, s3, s6
	s_delay_alu instid0(SALU_CYCLE_1) | instskip(NEXT) | instid1(SALU_CYCLE_1)
	s_and_saveexec_b32 s8, s6
	s_xor_b32 s6, exec_lo, s8
	s_cbranch_execz .LBB112_21
; %bb.20:                               ;   in Loop: Header=BB112_11 Depth=3
	global_load_b128 v[14:17], v[12:13], off
	v_add_nc_u32_e32 v2, 0x100, v79
	s_wait_loadcnt 0x0
	ds_store_2addr_b64 v2, v[14:15], v[16:17] offset1:1
.LBB112_21:                             ;   in Loop: Header=BB112_11 Depth=3
	s_wait_xcnt 0x0
	s_and_not1_saveexec_b32 s6, s6
	s_cbranch_execz .LBB112_27
; %bb.22:                               ;   in Loop: Header=BB112_11 Depth=3
	s_xor_b32 s7, s7, -1
	s_delay_alu instid0(SALU_CYCLE_1) | instskip(NEXT) | instid1(SALU_CYCLE_1)
	s_and_saveexec_b32 s8, s7
	s_xor_b32 s7, exec_lo, s8
; %bb.23:                               ;   in Loop: Header=BB112_11 Depth=3
	v_dual_mov_b32 v14, v0 :: v_dual_mov_b32 v15, v0
	v_dual_mov_b32 v16, v0 :: v_dual_mov_b32 v17, v0
	ds_store_b128 v79, v[14:17] offset:256
; %bb.24:                               ;   in Loop: Header=BB112_11 Depth=3
	s_and_not1_saveexec_b32 s7, s7
; %bb.25:                               ;   in Loop: Header=BB112_11 Depth=3
	v_dual_mov_b32 v2, v0 :: v_dual_mov_b32 v3, v0
	ds_store_b128 v79, v[0:3] offset:256
; %bb.26:                               ;   in Loop: Header=BB112_11 Depth=3
	s_or_b32 exec_lo, exec_lo, s7
.LBB112_27:                             ;   in Loop: Header=BB112_11 Depth=3
	s_delay_alu instid0(SALU_CYCLE_1) | instskip(SKIP_2) | instid1(VALU_DEP_2)
	s_or_b32 exec_lo, exec_lo, s6
	v_add_nc_u64_e32 v[2:3], 16, v[10:11]
	v_cmp_eq_u64_e64 s7, s[46:47], v[32:33]
	v_cmp_le_i64_e64 s6, s[42:43], v[2:3]
	v_cmp_lt_i64_e64 s8, v[2:3], v[20:21]
	s_and_b32 s57, s52, s7
	s_or_b32 s7, s6, s8
	s_delay_alu instid0(SALU_CYCLE_1) | instskip(NEXT) | instid1(SALU_CYCLE_1)
	s_or_b32 s7, s7, s57
	s_nor_b32 s7, s0, s7
	s_delay_alu instid0(SALU_CYCLE_1) | instskip(NEXT) | instid1(SALU_CYCLE_1)
	s_and_saveexec_b32 s8, s7
	s_xor_b32 s7, exec_lo, s8
	s_cbranch_execz .LBB112_29
; %bb.28:                               ;   in Loop: Header=BB112_11 Depth=3
	global_load_b128 v[8:11], v[8:9], off
	s_wait_loadcnt 0x0
	ds_store_2addr_b64 v81, v[8:9], v[10:11] offset1:1
.LBB112_29:                             ;   in Loop: Header=BB112_11 Depth=3
	s_wait_xcnt 0x0
	s_and_not1_saveexec_b32 s7, s7
	s_cbranch_execz .LBB112_35
; %bb.30:                               ;   in Loop: Header=BB112_11 Depth=3
	s_xor_b32 s8, s57, -1
	s_delay_alu instid0(SALU_CYCLE_1) | instskip(NEXT) | instid1(SALU_CYCLE_1)
	s_and_saveexec_b32 s57, s8
	s_xor_b32 s8, exec_lo, s57
; %bb.31:                               ;   in Loop: Header=BB112_11 Depth=3
	v_dual_mov_b32 v8, v0 :: v_dual_mov_b32 v9, v0
	v_dual_mov_b32 v10, v0 :: v_dual_mov_b32 v11, v0
	ds_store_b128 v79, v[8:11] offset:8192
; %bb.32:                               ;   in Loop: Header=BB112_11 Depth=3
	s_and_not1_saveexec_b32 s8, s8
; %bb.33:                               ;   in Loop: Header=BB112_11 Depth=3
	v_dual_mov_b32 v2, v0 :: v_dual_mov_b32 v3, v0
	ds_store_b128 v79, v[0:3] offset:8192
; %bb.34:                               ;   in Loop: Header=BB112_11 Depth=3
	s_or_b32 exec_lo, exec_lo, s8
.LBB112_35:                             ;   in Loop: Header=BB112_11 Depth=3
	s_delay_alu instid0(SALU_CYCLE_1) | instskip(SKIP_1) | instid1(SALU_CYCLE_1)
	s_or_b32 exec_lo, exec_lo, s7
	s_or_b32 s5, s6, s5
	s_or_b32 s5, s5, s56
	s_delay_alu instid0(SALU_CYCLE_1) | instskip(NEXT) | instid1(SALU_CYCLE_1)
	s_nor_b32 s5, s3, s5
	s_and_saveexec_b32 s6, s5
	s_delay_alu instid0(SALU_CYCLE_1)
	s_xor_b32 s5, exec_lo, s6
	s_cbranch_execz .LBB112_37
; %bb.36:                               ;   in Loop: Header=BB112_11 Depth=3
	global_load_b128 v[8:11], v[12:13], off offset:256
	s_wait_loadcnt 0x0
	ds_store_2addr_b64 v82, v[8:9], v[10:11] offset1:1
.LBB112_37:                             ;   in Loop: Header=BB112_11 Depth=3
	s_wait_xcnt 0x0
	s_and_not1_saveexec_b32 s5, s5
	s_cbranch_execz .LBB112_43
; %bb.38:                               ;   in Loop: Header=BB112_11 Depth=3
	s_and_saveexec_b32 s6, s55
	s_delay_alu instid0(SALU_CYCLE_1)
	s_xor_b32 s6, exec_lo, s6
; %bb.39:                               ;   in Loop: Header=BB112_11 Depth=3
	v_dual_mov_b32 v8, v0 :: v_dual_mov_b32 v9, v0
	v_dual_mov_b32 v10, v0 :: v_dual_mov_b32 v11, v0
	ds_store_b128 v79, v[8:11] offset:8448
; %bb.40:                               ;   in Loop: Header=BB112_11 Depth=3
	s_and_not1_saveexec_b32 s6, s6
; %bb.41:                               ;   in Loop: Header=BB112_11 Depth=3
	v_dual_mov_b32 v2, v0 :: v_dual_mov_b32 v3, v0
	ds_store_b128 v79, v[0:3] offset:8448
; %bb.42:                               ;   in Loop: Header=BB112_11 Depth=3
	s_or_b32 exec_lo, exec_lo, s6
.LBB112_43:                             ;   in Loop: Header=BB112_11 Depth=3
	s_delay_alu instid0(SALU_CYCLE_1) | instskip(SKIP_1) | instid1(VALU_DEP_1)
	s_or_b32 exec_lo, exec_lo, s5
	v_add_nc_u64_e32 v[2:3], s[46:47], v[20:21]
	v_cmp_gt_i64_e64 s5, s[42:43], v[2:3]
	s_and_b32 s6, vcc_lo, s5
	s_delay_alu instid0(SALU_CYCLE_1) | instskip(NEXT) | instid1(SALU_CYCLE_1)
	s_xor_b32 s6, s6, -1
	s_and_saveexec_b32 s7, s6
	s_delay_alu instid0(SALU_CYCLE_1)
	s_xor_b32 s6, exec_lo, s7
; %bb.44:                               ;   in Loop: Header=BB112_11 Depth=3
	v_dual_mov_b32 v8, v0 :: v_dual_mov_b32 v9, v0
	v_dual_mov_b32 v10, v0 :: v_dual_mov_b32 v11, v0
	ds_store_b128 v80, v[8:11]
; %bb.45:                               ;   in Loop: Header=BB112_11 Depth=3
	s_or_saveexec_b32 s6, s6
	v_add_nc_u64_e32 v[8:9], s[38:39], v[50:51]
	s_xor_b32 exec_lo, exec_lo, s6
	s_cbranch_execz .LBB112_47
; %bb.46:                               ;   in Loop: Header=BB112_11 Depth=3
	global_load_b128 v[10:13], v[8:9], off offset:-256
	s_wait_loadcnt 0x0
	ds_store_2addr_b64 v80, v[10:11], v[12:13] offset1:1
.LBB112_47:                             ;   in Loop: Header=BB112_11 Depth=3
	s_wait_xcnt 0x0
	s_or_b32 exec_lo, exec_lo, s6
	v_cmp_gt_i64_e64 s6, s[20:21], v[2:3]
	s_and_b32 s7, vcc_lo, s6
	s_delay_alu instid0(SALU_CYCLE_1) | instskip(NEXT) | instid1(SALU_CYCLE_1)
	s_xor_b32 s7, s7, -1
	s_and_saveexec_b32 s8, s7
	s_delay_alu instid0(SALU_CYCLE_1)
	s_xor_b32 s7, exec_lo, s8
; %bb.48:                               ;   in Loop: Header=BB112_11 Depth=3
	v_dual_mov_b32 v8, v0 :: v_dual_mov_b32 v9, v0
	v_dual_mov_b32 v10, v0 :: v_dual_mov_b32 v11, v0
	ds_store_b128 v80, v[8:11] offset:256
                                        ; implicit-def: $vgpr8_vgpr9
; %bb.49:                               ;   in Loop: Header=BB112_11 Depth=3
	s_and_not1_saveexec_b32 s7, s7
	s_cbranch_execz .LBB112_51
; %bb.50:                               ;   in Loop: Header=BB112_11 Depth=3
	global_load_b128 v[8:11], v[8:9], off
	s_wait_loadcnt 0x0
	ds_store_2addr_b64 v83, v[8:9], v[10:11] offset1:1
.LBB112_51:                             ;   in Loop: Header=BB112_11 Depth=3
	s_wait_xcnt 0x0
	s_or_b32 exec_lo, exec_lo, s7
	s_and_b32 s5, s4, s5
	s_delay_alu instid0(SALU_CYCLE_1) | instskip(NEXT) | instid1(SALU_CYCLE_1)
	s_xor_b32 s5, s5, -1
	s_and_saveexec_b32 s7, s5
	s_delay_alu instid0(SALU_CYCLE_1)
	s_xor_b32 s5, exec_lo, s7
; %bb.52:                               ;   in Loop: Header=BB112_11 Depth=3
	v_dual_mov_b32 v8, v0 :: v_dual_mov_b32 v9, v0
	v_dual_mov_b32 v10, v0 :: v_dual_mov_b32 v11, v0
	ds_store_b128 v80, v[8:11] offset:8192
; %bb.53:                               ;   in Loop: Header=BB112_11 Depth=3
	s_or_saveexec_b32 s5, s5
	v_add_nc_u64_e32 v[2:3], s[38:39], v[52:53]
	s_xor_b32 exec_lo, exec_lo, s5
	s_cbranch_execz .LBB112_55
; %bb.54:                               ;   in Loop: Header=BB112_11 Depth=3
	global_load_b128 v[8:11], v[2:3], off offset:-256
	s_wait_loadcnt 0x0
	ds_store_2addr_b64 v84, v[8:9], v[10:11] offset1:1
.LBB112_55:                             ;   in Loop: Header=BB112_11 Depth=3
	s_wait_xcnt 0x0
	s_or_b32 exec_lo, exec_lo, s5
	s_and_b32 s5, s4, s6
	s_delay_alu instid0(SALU_CYCLE_1) | instskip(NEXT) | instid1(SALU_CYCLE_1)
	s_xor_b32 s5, s5, -1
	s_and_saveexec_b32 s6, s5
	s_delay_alu instid0(SALU_CYCLE_1)
	s_xor_b32 s5, exec_lo, s6
; %bb.56:                               ;   in Loop: Header=BB112_11 Depth=3
	v_dual_mov_b32 v8, v0 :: v_dual_mov_b32 v9, v0
	v_dual_mov_b32 v10, v0 :: v_dual_mov_b32 v11, v0
                                        ; implicit-def: $vgpr2_vgpr3
	ds_store_b128 v80, v[8:11] offset:8448
; %bb.57:                               ;   in Loop: Header=BB112_11 Depth=3
	s_and_not1_saveexec_b32 s5, s5
	s_cbranch_execz .LBB112_10
; %bb.58:                               ;   in Loop: Header=BB112_11 Depth=3
	global_load_b128 v[8:11], v[2:3], off
	s_wait_loadcnt 0x0
	ds_store_2addr_b64 v85, v[8:9], v[10:11] offset1:1
	s_branch .LBB112_10
.LBB112_59:                             ;   in Loop: Header=BB112_8 Depth=2
	v_mov_b64_e32 v[58:59], 0
	v_mov_b64_e32 v[60:61], 0
	;; [unrolled: 1-line block ×8, first 2 shown]
.LBB112_60:                             ;   in Loop: Header=BB112_8 Depth=2
	v_mul_u64_e32 v[2:3], s[28:29], v[48:49]
	v_cmp_gt_i32_e32 vcc_lo, s10, v48
	s_and_b32 s5, s1, vcc_lo
	s_delay_alu instid0(VALU_DEP_2)
	v_lshl_add_u64 v[2:3], v[2:3], 4, s[26:27]
	s_and_saveexec_b32 s4, s5
	s_cbranch_execz .LBB112_62
; %bb.61:                               ;   in Loop: Header=BB112_8 Depth=2
	s_delay_alu instid0(VALU_DEP_1)
	v_lshl_add_u64 v[12:13], v[20:21], 4, v[2:3]
	v_mul_f64_e32 v[14:15], v[6:7], v[60:61]
	v_mul_f64_e32 v[16:17], v[4:5], v[60:61]
	global_load_b128 v[8:11], v[12:13], off
	v_fma_f64 v[14:15], v[4:5], v[58:59], -v[14:15]
	v_fmac_f64_e32 v[16:17], v[6:7], v[58:59]
	s_wait_loadcnt 0x0
	s_delay_alu instid0(VALU_DEP_2) | instskip(NEXT) | instid1(VALU_DEP_2)
	v_add_f64_e32 v[8:9], v[8:9], v[14:15]
	v_add_f64_e32 v[10:11], v[16:17], v[10:11]
	global_store_b128 v[12:13], v[8:11], off
.LBB112_62:                             ;   in Loop: Header=BB112_8 Depth=2
	s_wait_xcnt 0x0
	s_or_b32 exec_lo, exec_lo, s4
	s_and_b32 s5, s2, vcc_lo
	s_delay_alu instid0(SALU_CYCLE_1)
	s_and_saveexec_b32 s4, s5
	s_cbranch_execz .LBB112_64
; %bb.63:                               ;   in Loop: Header=BB112_8 Depth=2
	v_lshl_add_u64 v[2:3], v[24:25], 4, v[2:3]
	v_mul_f64_e32 v[12:13], v[6:7], v[56:57]
	v_mul_f64_e32 v[14:15], v[4:5], v[56:57]
	global_load_b128 v[8:11], v[2:3], off
	v_fma_f64 v[12:13], v[4:5], v[54:55], -v[12:13]
	v_fmac_f64_e32 v[14:15], v[6:7], v[54:55]
	s_wait_loadcnt 0x0
	s_delay_alu instid0(VALU_DEP_2) | instskip(NEXT) | instid1(VALU_DEP_2)
	v_add_f64_e32 v[8:9], v[8:9], v[12:13]
	v_add_f64_e32 v[10:11], v[14:15], v[10:11]
	global_store_b128 v[2:3], v[8:11], off
.LBB112_64:                             ;   in Loop: Header=BB112_8 Depth=2
	s_wait_xcnt 0x0
	s_or_b32 exec_lo, exec_lo, s4
	v_add_nc_u32_e32 v2, 16, v48
	s_delay_alu instid0(VALU_DEP_1) | instskip(SKIP_1) | instid1(VALU_DEP_2)
	v_ashrrev_i32_e32 v3, 31, v2
	v_cmp_gt_i32_e32 vcc_lo, s10, v2
	v_mul_u64_e32 v[8:9], s[28:29], v[2:3]
	s_and_b32 s5, s1, vcc_lo
	s_delay_alu instid0(VALU_DEP_1)
	v_lshl_add_u64 v[2:3], v[8:9], 4, s[26:27]
	s_and_saveexec_b32 s4, s5
	s_cbranch_execz .LBB112_66
; %bb.65:                               ;   in Loop: Header=BB112_8 Depth=2
	s_delay_alu instid0(VALU_DEP_1)
	v_lshl_add_u64 v[12:13], v[20:21], 4, v[2:3]
	v_mul_f64_e32 v[14:15], v[6:7], v[64:65]
	v_mul_f64_e32 v[16:17], v[4:5], v[64:65]
	global_load_b128 v[8:11], v[12:13], off
	v_fma_f64 v[14:15], v[4:5], v[68:69], -v[14:15]
	v_fmac_f64_e32 v[16:17], v[6:7], v[68:69]
	s_wait_loadcnt 0x0
	s_delay_alu instid0(VALU_DEP_2) | instskip(NEXT) | instid1(VALU_DEP_2)
	v_add_f64_e32 v[8:9], v[8:9], v[14:15]
	v_add_f64_e32 v[10:11], v[16:17], v[10:11]
	global_store_b128 v[12:13], v[8:11], off
.LBB112_66:                             ;   in Loop: Header=BB112_8 Depth=2
	s_wait_xcnt 0x0
	s_or_b32 exec_lo, exec_lo, s4
	s_and_b32 s5, s2, vcc_lo
	s_delay_alu instid0(SALU_CYCLE_1)
	s_and_saveexec_b32 s4, s5
	s_cbranch_execz .LBB112_7
; %bb.67:                               ;   in Loop: Header=BB112_8 Depth=2
	v_lshl_add_u64 v[2:3], v[24:25], 4, v[2:3]
	v_mul_f64_e32 v[12:13], v[6:7], v[62:63]
	v_mul_f64_e32 v[14:15], v[4:5], v[62:63]
	global_load_b128 v[8:11], v[2:3], off
	v_fma_f64 v[12:13], v[4:5], v[66:67], -v[12:13]
	v_fmac_f64_e32 v[14:15], v[6:7], v[66:67]
	s_wait_loadcnt 0x0
	s_delay_alu instid0(VALU_DEP_2) | instskip(NEXT) | instid1(VALU_DEP_2)
	v_add_f64_e32 v[8:9], v[8:9], v[12:13]
	v_add_f64_e32 v[10:11], v[14:15], v[10:11]
	global_store_b128 v[2:3], v[8:11], off
	s_branch .LBB112_7
.LBB112_68:
	s_sendmsg sendmsg(MSG_DEALLOC_VGPRS)
	s_endpgm
	.section	.rodata,"a",@progbits
	.p2align	6, 0x0
	.amdhsa_kernel _ZL30rocblas_trmm_outofplace_kernelI19rocblas_complex_numIdELi32ELi2ELb1ELb0ELb1ELb0EPKS1_S2_S1_Ev17rocblas_diagonal_iiT6_lPT7_lllS7_lllPT8_llli
		.amdhsa_group_segment_fixed_size 32768
		.amdhsa_private_segment_fixed_size 0
		.amdhsa_kernarg_size 392
		.amdhsa_user_sgpr_count 2
		.amdhsa_user_sgpr_dispatch_ptr 0
		.amdhsa_user_sgpr_queue_ptr 0
		.amdhsa_user_sgpr_kernarg_segment_ptr 1
		.amdhsa_user_sgpr_dispatch_id 0
		.amdhsa_user_sgpr_kernarg_preload_length 0
		.amdhsa_user_sgpr_kernarg_preload_offset 0
		.amdhsa_user_sgpr_private_segment_size 0
		.amdhsa_wavefront_size32 1
		.amdhsa_uses_dynamic_stack 0
		.amdhsa_enable_private_segment 0
		.amdhsa_system_sgpr_workgroup_id_x 1
		.amdhsa_system_sgpr_workgroup_id_y 1
		.amdhsa_system_sgpr_workgroup_id_z 1
		.amdhsa_system_sgpr_workgroup_info 0
		.amdhsa_system_vgpr_workitem_id 1
		.amdhsa_next_free_vgpr 96
		.amdhsa_next_free_sgpr 58
		.amdhsa_named_barrier_count 0
		.amdhsa_reserve_vcc 1
		.amdhsa_float_round_mode_32 0
		.amdhsa_float_round_mode_16_64 0
		.amdhsa_float_denorm_mode_32 3
		.amdhsa_float_denorm_mode_16_64 3
		.amdhsa_fp16_overflow 0
		.amdhsa_memory_ordered 1
		.amdhsa_forward_progress 1
		.amdhsa_inst_pref_size 67
		.amdhsa_round_robin_scheduling 0
		.amdhsa_exception_fp_ieee_invalid_op 0
		.amdhsa_exception_fp_denorm_src 0
		.amdhsa_exception_fp_ieee_div_zero 0
		.amdhsa_exception_fp_ieee_overflow 0
		.amdhsa_exception_fp_ieee_underflow 0
		.amdhsa_exception_fp_ieee_inexact 0
		.amdhsa_exception_int_div_zero 0
	.end_amdhsa_kernel
	.section	.text._ZL30rocblas_trmm_outofplace_kernelI19rocblas_complex_numIdELi32ELi2ELb1ELb0ELb1ELb0EPKS1_S2_S1_Ev17rocblas_diagonal_iiT6_lPT7_lllS7_lllPT8_llli,"axG",@progbits,_ZL30rocblas_trmm_outofplace_kernelI19rocblas_complex_numIdELi32ELi2ELb1ELb0ELb1ELb0EPKS1_S2_S1_Ev17rocblas_diagonal_iiT6_lPT7_lllS7_lllPT8_llli,comdat
.Lfunc_end112:
	.size	_ZL30rocblas_trmm_outofplace_kernelI19rocblas_complex_numIdELi32ELi2ELb1ELb0ELb1ELb0EPKS1_S2_S1_Ev17rocblas_diagonal_iiT6_lPT7_lllS7_lllPT8_llli, .Lfunc_end112-_ZL30rocblas_trmm_outofplace_kernelI19rocblas_complex_numIdELi32ELi2ELb1ELb0ELb1ELb0EPKS1_S2_S1_Ev17rocblas_diagonal_iiT6_lPT7_lllS7_lllPT8_llli
                                        ; -- End function
	.set _ZL30rocblas_trmm_outofplace_kernelI19rocblas_complex_numIdELi32ELi2ELb1ELb0ELb1ELb0EPKS1_S2_S1_Ev17rocblas_diagonal_iiT6_lPT7_lllS7_lllPT8_llli.num_vgpr, 96
	.set _ZL30rocblas_trmm_outofplace_kernelI19rocblas_complex_numIdELi32ELi2ELb1ELb0ELb1ELb0EPKS1_S2_S1_Ev17rocblas_diagonal_iiT6_lPT7_lllS7_lllPT8_llli.num_agpr, 0
	.set _ZL30rocblas_trmm_outofplace_kernelI19rocblas_complex_numIdELi32ELi2ELb1ELb0ELb1ELb0EPKS1_S2_S1_Ev17rocblas_diagonal_iiT6_lPT7_lllS7_lllPT8_llli.numbered_sgpr, 58
	.set _ZL30rocblas_trmm_outofplace_kernelI19rocblas_complex_numIdELi32ELi2ELb1ELb0ELb1ELb0EPKS1_S2_S1_Ev17rocblas_diagonal_iiT6_lPT7_lllS7_lllPT8_llli.num_named_barrier, 0
	.set _ZL30rocblas_trmm_outofplace_kernelI19rocblas_complex_numIdELi32ELi2ELb1ELb0ELb1ELb0EPKS1_S2_S1_Ev17rocblas_diagonal_iiT6_lPT7_lllS7_lllPT8_llli.private_seg_size, 0
	.set _ZL30rocblas_trmm_outofplace_kernelI19rocblas_complex_numIdELi32ELi2ELb1ELb0ELb1ELb0EPKS1_S2_S1_Ev17rocblas_diagonal_iiT6_lPT7_lllS7_lllPT8_llli.uses_vcc, 1
	.set _ZL30rocblas_trmm_outofplace_kernelI19rocblas_complex_numIdELi32ELi2ELb1ELb0ELb1ELb0EPKS1_S2_S1_Ev17rocblas_diagonal_iiT6_lPT7_lllS7_lllPT8_llli.uses_flat_scratch, 0
	.set _ZL30rocblas_trmm_outofplace_kernelI19rocblas_complex_numIdELi32ELi2ELb1ELb0ELb1ELb0EPKS1_S2_S1_Ev17rocblas_diagonal_iiT6_lPT7_lllS7_lllPT8_llli.has_dyn_sized_stack, 0
	.set _ZL30rocblas_trmm_outofplace_kernelI19rocblas_complex_numIdELi32ELi2ELb1ELb0ELb1ELb0EPKS1_S2_S1_Ev17rocblas_diagonal_iiT6_lPT7_lllS7_lllPT8_llli.has_recursion, 0
	.set _ZL30rocblas_trmm_outofplace_kernelI19rocblas_complex_numIdELi32ELi2ELb1ELb0ELb1ELb0EPKS1_S2_S1_Ev17rocblas_diagonal_iiT6_lPT7_lllS7_lllPT8_llli.has_indirect_call, 0
	.section	.AMDGPU.csdata,"",@progbits
; Kernel info:
; codeLenInByte = 8520
; TotalNumSgprs: 60
; NumVgprs: 96
; ScratchSize: 0
; MemoryBound: 0
; FloatMode: 240
; IeeeMode: 1
; LDSByteSize: 32768 bytes/workgroup (compile time only)
; SGPRBlocks: 0
; VGPRBlocks: 5
; NumSGPRsForWavesPerEU: 60
; NumVGPRsForWavesPerEU: 96
; NamedBarCnt: 0
; Occupancy: 10
; WaveLimiterHint : 0
; COMPUTE_PGM_RSRC2:SCRATCH_EN: 0
; COMPUTE_PGM_RSRC2:USER_SGPR: 2
; COMPUTE_PGM_RSRC2:TRAP_HANDLER: 0
; COMPUTE_PGM_RSRC2:TGID_X_EN: 1
; COMPUTE_PGM_RSRC2:TGID_Y_EN: 1
; COMPUTE_PGM_RSRC2:TGID_Z_EN: 1
; COMPUTE_PGM_RSRC2:TIDIG_COMP_CNT: 1
	.section	.text._ZL30rocblas_trmm_outofplace_kernelI19rocblas_complex_numIdELi32ELi2ELb1ELb0ELb1ELb0ES1_KS1_S1_Ev17rocblas_diagonal_iiT6_lPT7_lllS6_lllPT8_llli,"axG",@progbits,_ZL30rocblas_trmm_outofplace_kernelI19rocblas_complex_numIdELi32ELi2ELb1ELb0ELb1ELb0ES1_KS1_S1_Ev17rocblas_diagonal_iiT6_lPT7_lllS6_lllPT8_llli,comdat
	.globl	_ZL30rocblas_trmm_outofplace_kernelI19rocblas_complex_numIdELi32ELi2ELb1ELb0ELb1ELb0ES1_KS1_S1_Ev17rocblas_diagonal_iiT6_lPT7_lllS6_lllPT8_llli ; -- Begin function _ZL30rocblas_trmm_outofplace_kernelI19rocblas_complex_numIdELi32ELi2ELb1ELb0ELb1ELb0ES1_KS1_S1_Ev17rocblas_diagonal_iiT6_lPT7_lllS6_lllPT8_llli
	.p2align	8
	.type	_ZL30rocblas_trmm_outofplace_kernelI19rocblas_complex_numIdELi32ELi2ELb1ELb0ELb1ELb0ES1_KS1_S1_Ev17rocblas_diagonal_iiT6_lPT7_lllS6_lllPT8_llli,@function
_ZL30rocblas_trmm_outofplace_kernelI19rocblas_complex_numIdELi32ELi2ELb1ELb0ELb1ELb0ES1_KS1_S1_Ev17rocblas_diagonal_iiT6_lPT7_lllS6_lllPT8_llli: ; @_ZL30rocblas_trmm_outofplace_kernelI19rocblas_complex_numIdELi32ELi2ELb1ELb0ELb1ELb0ES1_KS1_S1_Ev17rocblas_diagonal_iiT6_lPT7_lllS6_lllPT8_llli
; %bb.0:
	s_load_b32 s33, s[0:1], 0x88
	s_bfe_u32 s2, ttmp6, 0x40014
	s_lshr_b32 s3, ttmp7, 16
	s_add_co_i32 s2, s2, 1
	s_bfe_u32 s5, ttmp6, 0x40008
	s_mul_i32 s4, s3, s2
	s_getreg_b32 s2, hwreg(HW_REG_IB_STS2, 6, 4)
	s_add_co_i32 s5, s5, s4
	s_cmp_eq_u32 s2, 0
	s_cselect_b32 s34, s3, s5
	s_wait_kmcnt 0x0
	s_cmp_ge_u32 s34, s33
	s_cbranch_scc1 .LBB113_67
; %bb.1:
	s_load_b128 s[28:31], s[0:1], 0x10
	s_wait_kmcnt 0x0
	v_cmp_eq_f64_e64 s3, s[28:29], 0
	v_cmp_eq_f64_e64 s4, s[30:31], 0
	s_and_b32 s3, s3, s4
	s_delay_alu instid0(SALU_CYCLE_1)
	s_and_b32 vcc_lo, exec_lo, s3
	s_cbranch_vccnz .LBB113_67
; %bb.2:
	s_clause 0x1
	s_load_b96 s[36:38], s[0:1], 0x0
	s_load_b512 s[4:19], s[0:1], 0x28
	s_bfe_u32 s20, ttmp6, 0x4000c
	s_bfe_u32 s22, ttmp6, 0x40010
	s_and_b32 s21, ttmp7, 0xffff
	s_add_co_i32 s20, s20, 1
	s_add_co_i32 s22, s22, 1
	s_and_b32 s3, ttmp6, 15
	s_bfe_u32 s23, ttmp6, 0x40004
	s_mul_i32 s20, ttmp9, s20
	s_mul_i32 s22, s21, s22
	s_add_co_i32 s3, s3, s20
	s_add_co_i32 s23, s23, s22
	v_and_b32_e32 v4, 0x3ff, v0
	v_bfe_u32 v66, v0, 10, 10
	s_add_nc_u64 s[40:41], s[0:1], 0x90
	s_mov_b32 s35, 0
	s_delay_alu instid0(VALU_DEP_1)
	v_dual_lshlrev_b32 v67, 4, v4 :: v_dual_lshlrev_b32 v6, 9, v66
	s_wait_kmcnt 0x0
	s_add_co_i32 s24, s38, -1
	s_mov_b32 s42, s37
	s_ashr_i32 s25, s24, 31
	s_mov_b32 s44, s38
	s_lshr_b32 s25, s25, 27
	v_add_nc_u32_e32 v68, 0x4000, v6
	s_add_co_i32 s24, s24, s25
	v_add_nc_u32_e32 v69, v67, v6
	s_ashr_i32 s39, s24, 5
	s_cmp_eq_u32 s2, 0
	v_add_nc_u32_e32 v70, v68, v67
	s_cselect_b32 s48, s21, s23
	s_cselect_b32 s2, ttmp9, s3
	s_cmp_le_i32 s48, s39
	s_load_b256 s[20:27], s[0:1], 0x68
	s_cselect_b32 s49, -1, 0
	s_lshl_b32 s43, s2, 5
	v_lshl_add_u32 v77, s48, 5, v66
	v_add_nc_u32_e32 v14, s43, v4
	s_sub_co_i32 s50, s37, s43
	v_add_nc_u32_e32 v16, s43, v66
	s_cmp_gt_i32 s50, 0
	v_add_nc_u32_e32 v71, 0x100, v69
	v_ashrrev_i32_e32 v15, 31, v14
	s_cselect_b32 s51, -1, 0
	s_cmp_eq_u32 s36, 0x84
	v_add_nc_u32_e32 v72, 0x2000, v69
	s_cselect_b32 s52, -1, 0
	v_lshlrev_b64_e32 v[0:1], 4, v[14:15]
	v_mul_u64_e32 v[2:3], s[8:9], v[14:15]
	s_lshl_b64 s[2:3], s[6:7], 4
	s_lshl_b64 s[6:7], s[14:15], 4
	v_add_nc_u64_e32 v[20:21], 16, v[14:15]
	s_add_nc_u64 s[6:7], s[12:13], s[6:7]
	s_ashr_i32 s43, s37, 31
	v_add_nc_u64_e32 v[4:5], 0x100, v[0:1]
	v_add_nc_u64_e32 v[0:1], s[6:7], v[0:1]
	v_add_nc_u32_e32 v73, 0x2100, v69
	v_add_nc_u32_e32 v74, 0x100, v70
	;; [unrolled: 1-line block ×5, first 2 shown]
	v_mad_nc_u64_u32 v[6:7], s8, v4, s[2:3]
	v_add_nc_u64_e32 v[28:29], 0x100, v[0:1]
	v_mov_b32_e32 v1, 0x3ff00000
	v_ashrrev_i32_e32 v17, 31, v16
	s_wait_xcnt 0x0
	v_cmp_le_i32_e64 s0, s37, v14
	v_cmp_gt_i32_e64 s1, s37, v14
	v_dual_mov_b32 v0, 0 :: v_dual_ashrrev_i32 v19, 31, v18
	v_lshlrev_b64_e32 v[8:9], 4, v[16:17]
	v_sub_nc_u64_e32 v[22:23], v[14:15], v[16:17]
	s_ashr_i32 s45, s38, 31
	v_mad_u32 v4, s9, v4, v7
	s_lshl_b64 s[12:13], s[18:19], 4
	s_lshl_b64 s[18:19], s[16:17], 4
	;; [unrolled: 1-line block ×3, first 2 shown]
	s_delay_alu instid0(VALU_DEP_2) | instskip(SKIP_4) | instid1(VALU_DEP_4)
	v_add_nc_u64_e32 v[24:25], 16, v[22:23]
	v_add_nc_u64_e32 v[26:27], -16, v[22:23]
	v_lshl_add_u64 v[2:3], v[2:3], 4, s[2:3]
	s_wait_kmcnt 0x0
	s_lshl_b64 s[2:3], s[22:23], 4
	v_mad_u32 v7, s8, v5, v4
	s_add_nc_u64 s[14:15], s[20:21], s[2:3]
	v_add_nc_u64_e32 v[2:3], v[2:3], v[8:9]
	v_cmp_le_i64_e64 s3, s[42:43], v[20:21]
	v_cmp_gt_i32_e64 s2, s37, v18
	s_add_nc_u64 s[20:21], s[42:43], -16
	v_add_nc_u64_e32 v[2:3], s[4:5], v[2:3]
	v_add_nc_u64_e32 v[4:5], v[6:7], v[8:9]
	s_delay_alu instid0(VALU_DEP_2) | instskip(NEXT) | instid1(VALU_DEP_2)
	v_add_nc_u64_e32 v[30:31], 0x100, v[2:3]
	v_add_nc_u64_e32 v[32:33], s[4:5], v[4:5]
	s_branch .LBB113_4
.LBB113_3:                              ;   in Loop: Header=BB113_4 Depth=1
	s_add_co_i32 s34, s34, 0x10000
	s_delay_alu instid0(SALU_CYCLE_1)
	s_cmp_ge_u32 s34, s33
	s_cbranch_scc1 .LBB113_67
.LBB113_4:                              ; =>This Loop Header: Depth=1
                                        ;     Child Loop BB113_7 Depth 2
                                        ;       Child Loop BB113_10 Depth 3
	s_and_not1_b32 vcc_lo, exec_lo, s49
	s_cbranch_vccnz .LBB113_3
; %bb.5:                                ;   in Loop: Header=BB113_4 Depth=1
	s_load_b32 s9, s[40:41], 0x4
	v_mad_nc_u64_u32 v[34:35], s12, s34, v[28:29]
	v_mad_nc_u64_u32 v[36:37], s10, s34, v[30:31]
	;; [unrolled: 1-line block ×3, first 2 shown]
	s_mul_i32 s6, s11, s34
	s_mul_u64 s[4:5], s[26:27], s[34:35]
	v_mov_b32_e32 v40, v77
	s_lshl_b64 s[4:5], s[4:5], 4
	s_mov_b32 s54, s48
	s_add_nc_u64 s[22:23], s[14:15], s[4:5]
	s_delay_alu instid0(VALU_DEP_4) | instskip(NEXT) | instid1(VALU_DEP_3)
	v_mad_u32 v35, s13, s34, v35
	v_dual_add_nc_u32 v37, s6, v37 :: v_dual_add_nc_u32 v39, s6, v39
	s_wait_kmcnt 0x0
	s_lshl_b32 s53, s9, 5
	s_branch .LBB113_7
.LBB113_6:                              ;   in Loop: Header=BB113_7 Depth=2
	s_wait_xcnt 0x0
	s_or_b32 exec_lo, exec_lo, s4
	v_add_nc_u32_e32 v40, s53, v40
	s_add_co_i32 s54, s9, s54
	s_delay_alu instid0(SALU_CYCLE_1)
	s_cmp_gt_i32 s54, s39
	s_cbranch_scc1 .LBB113_3
.LBB113_7:                              ;   Parent Loop BB113_4 Depth=1
                                        ; =>  This Loop Header: Depth=2
                                        ;       Child Loop BB113_10 Depth 3
	v_lshl_add_u32 v42, s54, 5, v66
	s_and_not1_b32 vcc_lo, exec_lo, s51
	s_delay_alu instid0(VALU_DEP_1)
	v_ashrrev_i32_e32 v43, 31, v42
	s_cbranch_vccnz .LBB113_58
; %bb.8:                                ;   in Loop: Header=BB113_7 Depth=2
	v_ashrrev_i32_e32 v41, 31, v40
	v_mad_nc_u64_u32 v[44:45], s18, v40, v[34:35]
	s_delay_alu instid0(VALU_DEP_3)
	v_sub_nc_u64_e32 v[4:5], s[44:45], v[42:43]
	v_mov_b64_e32 v[56:57], 0
	v_mov_b64_e32 v[64:65], 0
	v_lshl_add_u64 v[2:3], v[40:41], 4, 0x100
	v_mov_b64_e32 v[60:61], 0
	v_mov_b64_e32 v[62:63], 0
	;; [unrolled: 1-line block ×3, first 2 shown]
	v_cmp_lt_i64_e64 s4, 16, v[4:5]
	v_mad_nc_u64_u32 v[46:47], s16, v2, v[34:35]
	v_mov_b64_e32 v[48:49], 0
	v_mad_u32 v6, s19, v40, v45
	v_mov_b64_e32 v[54:55], 0
	v_mov_b64_e32 v[52:53], 0
	s_mov_b64 s[36:37], 0
	s_mov_b64 s[46:47], 0
	v_cmp_lt_i64_e32 vcc_lo, 0, v[4:5]
	v_mad_u32 v2, s17, v2, v47
	v_mad_u32 v45, s18, v41, v6
	s_delay_alu instid0(VALU_DEP_2)
	v_mad_u32 v47, s16, v3, v2
	s_branch .LBB113_10
.LBB113_9:                              ;   in Loop: Header=BB113_10 Depth=3
	s_wait_xcnt 0x0
	s_or_b32 exec_lo, exec_lo, s5
	s_wait_dscnt 0x0
	s_barrier_signal -1
	s_barrier_wait -1
	ds_load_b128 v[78:81], v68
	ds_load_b128 v[10:13], v68 offset:16
	ds_load_b128 v[6:9], v68 offset:32
	ds_load_b128 v[2:5], v68 offset:48
	ds_load_b128 v[82:85], v67
	s_add_nc_u64 s[46:47], s[46:47], 32
	s_add_nc_u64 s[36:37], s[36:37], 0x200
	s_cmp_ge_i32 s46, s50
	s_wait_dscnt 0x0
	v_mul_f64_e32 v[58:59], v[80:81], v[84:85]
	v_mul_f64_e32 v[86:87], v[78:79], v[84:85]
	s_delay_alu instid0(VALU_DEP_2) | instskip(NEXT) | instid1(VALU_DEP_2)
	v_fma_f64 v[58:59], v[78:79], v[82:83], -v[58:59]
	v_fmac_f64_e32 v[86:87], v[80:81], v[82:83]
	s_delay_alu instid0(VALU_DEP_2) | instskip(NEXT) | instid1(VALU_DEP_2)
	v_add_f64_e32 v[58:59], v[52:53], v[58:59]
	v_add_f64_e32 v[86:87], v[86:87], v[54:55]
	ds_load_b128 v[52:55], v67 offset:256
	s_wait_dscnt 0x0
	v_mul_f64_e32 v[88:89], v[80:81], v[54:55]
	s_delay_alu instid0(VALU_DEP_1) | instskip(SKIP_1) | instid1(VALU_DEP_2)
	v_fma_f64 v[88:89], v[78:79], v[52:53], -v[88:89]
	v_mul_f64_e32 v[78:79], v[78:79], v[54:55]
	v_add_f64_e32 v[88:89], v[48:49], v[88:89]
	s_delay_alu instid0(VALU_DEP_2) | instskip(NEXT) | instid1(VALU_DEP_1)
	v_fmac_f64_e32 v[78:79], v[80:81], v[52:53]
	v_add_f64_e32 v[90:91], v[78:79], v[50:51]
	ds_load_b128 v[78:81], v68 offset:8192
	s_wait_dscnt 0x0
	v_mul_f64_e32 v[50:51], v[78:79], v[84:85]
	v_mul_f64_e32 v[48:49], v[80:81], v[84:85]
	s_delay_alu instid0(VALU_DEP_2) | instskip(NEXT) | instid1(VALU_DEP_2)
	v_fmac_f64_e32 v[50:51], v[80:81], v[82:83]
	v_fma_f64 v[48:49], v[78:79], v[82:83], -v[48:49]
	s_delay_alu instid0(VALU_DEP_2) | instskip(SKIP_2) | instid1(VALU_DEP_4)
	v_add_f64_e32 v[50:51], v[50:51], v[60:61]
	v_mul_f64_e32 v[60:61], v[80:81], v[54:55]
	v_mul_f64_e32 v[54:55], v[78:79], v[54:55]
	v_add_f64_e32 v[48:49], v[62:63], v[48:49]
	s_delay_alu instid0(VALU_DEP_3) | instskip(NEXT) | instid1(VALU_DEP_3)
	v_fma_f64 v[60:61], v[78:79], v[52:53], -v[60:61]
	v_fmac_f64_e32 v[54:55], v[80:81], v[52:53]
	ds_load_b128 v[78:81], v67 offset:768
	s_wait_dscnt 0x0
	v_mul_f64_e32 v[82:83], v[10:11], v[80:81]
	v_add_f64_e32 v[52:53], v[64:65], v[60:61]
	ds_load_b128 v[60:63], v67 offset:512
	v_add_f64_e32 v[54:55], v[54:55], v[56:57]
	s_wait_dscnt 0x0
	v_mul_f64_e32 v[56:57], v[12:13], v[62:63]
	v_mul_f64_e32 v[64:65], v[10:11], v[62:63]
	v_fmac_f64_e32 v[82:83], v[12:13], v[78:79]
	s_delay_alu instid0(VALU_DEP_3) | instskip(NEXT) | instid1(VALU_DEP_3)
	v_fma_f64 v[56:57], v[10:11], v[60:61], -v[56:57]
	v_fmac_f64_e32 v[64:65], v[12:13], v[60:61]
	s_delay_alu instid0(VALU_DEP_2) | instskip(NEXT) | instid1(VALU_DEP_2)
	v_add_f64_e32 v[56:57], v[58:59], v[56:57]
	v_add_f64_e32 v[58:59], v[64:65], v[86:87]
	v_mul_f64_e32 v[64:65], v[12:13], v[80:81]
	v_add_f64_e32 v[12:13], v[82:83], v[90:91]
	ds_load_b128 v[82:85], v68 offset:8208
	v_fma_f64 v[64:65], v[10:11], v[78:79], -v[64:65]
	s_delay_alu instid0(VALU_DEP_1) | instskip(SKIP_3) | instid1(VALU_DEP_2)
	v_add_f64_e32 v[10:11], v[88:89], v[64:65]
	s_wait_dscnt 0x0
	v_mul_f64_e32 v[64:65], v[84:85], v[62:63]
	v_mul_f64_e32 v[62:63], v[82:83], v[62:63]
	v_fma_f64 v[64:65], v[82:83], v[60:61], -v[64:65]
	s_delay_alu instid0(VALU_DEP_2) | instskip(SKIP_1) | instid1(VALU_DEP_3)
	v_fmac_f64_e32 v[62:63], v[84:85], v[60:61]
	v_mul_f64_e32 v[60:61], v[84:85], v[80:81]
	v_add_f64_e32 v[48:49], v[48:49], v[64:65]
	s_delay_alu instid0(VALU_DEP_3) | instskip(SKIP_1) | instid1(VALU_DEP_4)
	v_add_f64_e32 v[50:51], v[62:63], v[50:51]
	v_mul_f64_e32 v[62:63], v[82:83], v[80:81]
	v_fma_f64 v[60:61], v[82:83], v[78:79], -v[60:61]
	s_delay_alu instid0(VALU_DEP_2) | instskip(NEXT) | instid1(VALU_DEP_2)
	v_fmac_f64_e32 v[62:63], v[84:85], v[78:79]
	v_add_f64_e32 v[52:53], v[52:53], v[60:61]
	s_delay_alu instid0(VALU_DEP_2) | instskip(SKIP_4) | instid1(VALU_DEP_2)
	v_add_f64_e32 v[54:55], v[62:63], v[54:55]
	ds_load_b128 v[60:63], v67 offset:1024
	s_wait_dscnt 0x0
	v_mul_f64_e32 v[64:65], v[8:9], v[62:63]
	v_mul_f64_e32 v[78:79], v[6:7], v[62:63]
	v_fma_f64 v[64:65], v[6:7], v[60:61], -v[64:65]
	s_delay_alu instid0(VALU_DEP_2) | instskip(NEXT) | instid1(VALU_DEP_2)
	v_fmac_f64_e32 v[78:79], v[8:9], v[60:61]
	v_add_f64_e32 v[64:65], v[56:57], v[64:65]
	s_delay_alu instid0(VALU_DEP_2) | instskip(SKIP_3) | instid1(VALU_DEP_1)
	v_add_f64_e32 v[78:79], v[78:79], v[58:59]
	ds_load_b128 v[56:59], v67 offset:1280
	s_wait_dscnt 0x0
	v_mul_f64_e32 v[80:81], v[8:9], v[58:59]
	v_fma_f64 v[80:81], v[6:7], v[56:57], -v[80:81]
	v_mul_f64_e32 v[6:7], v[6:7], v[58:59]
	s_delay_alu instid0(VALU_DEP_2) | instskip(NEXT) | instid1(VALU_DEP_2)
	v_add_f64_e32 v[80:81], v[10:11], v[80:81]
	v_fmac_f64_e32 v[6:7], v[8:9], v[56:57]
	s_delay_alu instid0(VALU_DEP_1) | instskip(SKIP_4) | instid1(VALU_DEP_2)
	v_add_f64_e32 v[82:83], v[6:7], v[12:13]
	ds_load_b128 v[6:9], v68 offset:8224
	s_wait_dscnt 0x0
	v_mul_f64_e32 v[10:11], v[8:9], v[62:63]
	v_mul_f64_e32 v[12:13], v[6:7], v[62:63]
	v_fma_f64 v[10:11], v[6:7], v[60:61], -v[10:11]
	s_delay_alu instid0(VALU_DEP_2) | instskip(NEXT) | instid1(VALU_DEP_2)
	v_fmac_f64_e32 v[12:13], v[8:9], v[60:61]
	v_add_f64_e32 v[60:61], v[48:49], v[10:11]
	v_mul_f64_e32 v[10:11], v[8:9], v[58:59]
	s_delay_alu instid0(VALU_DEP_3) | instskip(SKIP_3) | instid1(VALU_DEP_1)
	v_add_f64_e32 v[62:63], v[12:13], v[50:51]
	ds_load_b128 v[48:51], v67 offset:1792
	v_fma_f64 v[10:11], v[6:7], v[56:57], -v[10:11]
	v_mul_f64_e32 v[6:7], v[6:7], v[58:59]
	v_fmac_f64_e32 v[6:7], v[8:9], v[56:57]
	s_delay_alu instid0(VALU_DEP_3)
	v_add_f64_e32 v[56:57], v[52:53], v[10:11]
	ds_load_b128 v[10:13], v67 offset:1536
	s_wait_dscnt 0x1
	v_mul_f64_e32 v[52:53], v[4:5], v[50:51]
	s_wait_dscnt 0x0
	v_mul_f64_e32 v[8:9], v[2:3], v[12:13]
	v_add_f64_e32 v[58:59], v[6:7], v[54:55]
	v_mul_f64_e32 v[54:55], v[2:3], v[50:51]
	v_mul_f64_e32 v[6:7], v[4:5], v[12:13]
	v_fma_f64 v[52:53], v[2:3], v[48:49], -v[52:53]
	v_fmac_f64_e32 v[8:9], v[4:5], v[10:11]
	s_delay_alu instid0(VALU_DEP_4) | instskip(NEXT) | instid1(VALU_DEP_4)
	v_fmac_f64_e32 v[54:55], v[4:5], v[48:49]
	v_fma_f64 v[6:7], v[2:3], v[10:11], -v[6:7]
	s_delay_alu instid0(VALU_DEP_4) | instskip(NEXT) | instid1(VALU_DEP_4)
	v_add_f64_e32 v[2:3], v[80:81], v[52:53]
	v_add_f64_e32 v[8:9], v[8:9], v[78:79]
	s_delay_alu instid0(VALU_DEP_4)
	v_add_f64_e32 v[4:5], v[54:55], v[82:83]
	ds_load_b128 v[52:55], v68 offset:8240
	v_add_f64_e32 v[6:7], v[64:65], v[6:7]
	s_wait_dscnt 0x0
	v_mul_f64_e32 v[64:65], v[54:55], v[12:13]
	v_mul_f64_e32 v[12:13], v[52:53], v[12:13]
	s_delay_alu instid0(VALU_DEP_2) | instskip(NEXT) | instid1(VALU_DEP_2)
	v_fma_f64 v[64:65], v[52:53], v[10:11], -v[64:65]
	v_fmac_f64_e32 v[12:13], v[54:55], v[10:11]
	s_delay_alu instid0(VALU_DEP_2) | instskip(SKIP_2) | instid1(VALU_DEP_4)
	v_add_f64_e32 v[10:11], v[60:61], v[64:65]
	v_mul_f64_e32 v[60:61], v[54:55], v[50:51]
	v_mul_f64_e32 v[50:51], v[52:53], v[50:51]
	v_add_f64_e32 v[12:13], v[12:13], v[62:63]
	s_delay_alu instid0(VALU_DEP_3) | instskip(NEXT) | instid1(VALU_DEP_3)
	v_fma_f64 v[60:61], v[52:53], v[48:49], -v[60:61]
	v_fmac_f64_e32 v[50:51], v[54:55], v[48:49]
	s_delay_alu instid0(VALU_DEP_2) | instskip(NEXT) | instid1(VALU_DEP_2)
	v_add_f64_e32 v[48:49], v[56:57], v[60:61]
	v_add_f64_e32 v[50:51], v[50:51], v[58:59]
	ds_load_b128 v[52:55], v68 offset:64
	ds_load_b128 v[56:59], v67 offset:2048
	s_wait_dscnt 0x0
	v_mul_f64_e32 v[60:61], v[54:55], v[58:59]
	v_mul_f64_e32 v[62:63], v[52:53], v[58:59]
	s_delay_alu instid0(VALU_DEP_2) | instskip(NEXT) | instid1(VALU_DEP_2)
	v_fma_f64 v[60:61], v[52:53], v[56:57], -v[60:61]
	v_fmac_f64_e32 v[62:63], v[54:55], v[56:57]
	s_delay_alu instid0(VALU_DEP_2) | instskip(NEXT) | instid1(VALU_DEP_2)
	v_add_f64_e32 v[60:61], v[6:7], v[60:61]
	v_add_f64_e32 v[62:63], v[62:63], v[8:9]
	ds_load_b128 v[6:9], v67 offset:2304
	s_wait_dscnt 0x0
	v_mul_f64_e32 v[64:65], v[54:55], v[8:9]
	s_delay_alu instid0(VALU_DEP_1) | instskip(SKIP_1) | instid1(VALU_DEP_2)
	v_fma_f64 v[64:65], v[52:53], v[6:7], -v[64:65]
	v_mul_f64_e32 v[52:53], v[52:53], v[8:9]
	v_add_f64_e32 v[64:65], v[2:3], v[64:65]
	s_delay_alu instid0(VALU_DEP_2) | instskip(NEXT) | instid1(VALU_DEP_1)
	v_fmac_f64_e32 v[52:53], v[54:55], v[6:7]
	v_add_f64_e32 v[78:79], v[52:53], v[4:5]
	ds_load_b128 v[2:5], v68 offset:8256
	s_wait_dscnt 0x0
	v_mul_f64_e32 v[52:53], v[4:5], v[58:59]
	v_mul_f64_e32 v[54:55], v[2:3], v[58:59]
	s_delay_alu instid0(VALU_DEP_2) | instskip(NEXT) | instid1(VALU_DEP_2)
	v_fma_f64 v[52:53], v[2:3], v[56:57], -v[52:53]
	v_fmac_f64_e32 v[54:55], v[4:5], v[56:57]
	s_delay_alu instid0(VALU_DEP_2) | instskip(SKIP_1) | instid1(VALU_DEP_3)
	v_add_f64_e32 v[10:11], v[10:11], v[52:53]
	v_mul_f64_e32 v[52:53], v[4:5], v[8:9]
	v_add_f64_e32 v[12:13], v[54:55], v[12:13]
	s_delay_alu instid0(VALU_DEP_2) | instskip(SKIP_1) | instid1(VALU_DEP_2)
	v_fma_f64 v[52:53], v[2:3], v[6:7], -v[52:53]
	v_mul_f64_e32 v[2:3], v[2:3], v[8:9]
	v_add_f64_e32 v[48:49], v[48:49], v[52:53]
	s_delay_alu instid0(VALU_DEP_2) | instskip(NEXT) | instid1(VALU_DEP_1)
	v_fmac_f64_e32 v[2:3], v[4:5], v[6:7]
	v_add_f64_e32 v[50:51], v[2:3], v[50:51]
	ds_load_b128 v[2:5], v68 offset:80
	ds_load_b128 v[52:55], v67 offset:2560
	;; [unrolled: 1-line block ×3, first 2 shown]
	s_wait_dscnt 0x1
	v_mul_f64_e32 v[6:7], v[4:5], v[54:55]
	v_mul_f64_e32 v[8:9], v[2:3], v[54:55]
	s_delay_alu instid0(VALU_DEP_2) | instskip(NEXT) | instid1(VALU_DEP_2)
	v_fma_f64 v[6:7], v[2:3], v[52:53], -v[6:7]
	v_fmac_f64_e32 v[8:9], v[4:5], v[52:53]
	s_delay_alu instid0(VALU_DEP_2) | instskip(NEXT) | instid1(VALU_DEP_2)
	v_add_f64_e32 v[6:7], v[60:61], v[6:7]
	v_add_f64_e32 v[8:9], v[8:9], v[62:63]
	s_wait_dscnt 0x0
	v_mul_f64_e32 v[60:61], v[4:5], v[58:59]
	v_mul_f64_e32 v[62:63], v[2:3], v[58:59]
	s_delay_alu instid0(VALU_DEP_2) | instskip(NEXT) | instid1(VALU_DEP_2)
	v_fma_f64 v[60:61], v[2:3], v[56:57], -v[60:61]
	v_fmac_f64_e32 v[62:63], v[4:5], v[56:57]
	s_delay_alu instid0(VALU_DEP_2) | instskip(NEXT) | instid1(VALU_DEP_2)
	v_add_f64_e32 v[2:3], v[64:65], v[60:61]
	v_add_f64_e32 v[4:5], v[62:63], v[78:79]
	ds_load_b128 v[60:63], v68 offset:8272
	s_wait_dscnt 0x0
	v_mul_f64_e32 v[64:65], v[62:63], v[54:55]
	v_mul_f64_e32 v[54:55], v[60:61], v[54:55]
	s_delay_alu instid0(VALU_DEP_2) | instskip(NEXT) | instid1(VALU_DEP_2)
	v_fma_f64 v[64:65], v[60:61], v[52:53], -v[64:65]
	v_fmac_f64_e32 v[54:55], v[62:63], v[52:53]
	v_mul_f64_e32 v[52:53], v[62:63], v[58:59]
	s_delay_alu instid0(VALU_DEP_3) | instskip(NEXT) | instid1(VALU_DEP_3)
	v_add_f64_e32 v[10:11], v[10:11], v[64:65]
	v_add_f64_e32 v[12:13], v[54:55], v[12:13]
	v_mul_f64_e32 v[54:55], v[60:61], v[58:59]
	s_delay_alu instid0(VALU_DEP_4) | instskip(NEXT) | instid1(VALU_DEP_2)
	v_fma_f64 v[52:53], v[60:61], v[56:57], -v[52:53]
	v_fmac_f64_e32 v[54:55], v[62:63], v[56:57]
	s_delay_alu instid0(VALU_DEP_2) | instskip(NEXT) | instid1(VALU_DEP_2)
	v_add_f64_e32 v[48:49], v[48:49], v[52:53]
	v_add_f64_e32 v[50:51], v[54:55], v[50:51]
	ds_load_b128 v[52:55], v68 offset:96
	ds_load_b128 v[56:59], v67 offset:3072
	s_wait_dscnt 0x0
	v_mul_f64_e32 v[60:61], v[54:55], v[58:59]
	v_mul_f64_e32 v[62:63], v[52:53], v[58:59]
	s_delay_alu instid0(VALU_DEP_2) | instskip(NEXT) | instid1(VALU_DEP_2)
	v_fma_f64 v[60:61], v[52:53], v[56:57], -v[60:61]
	v_fmac_f64_e32 v[62:63], v[54:55], v[56:57]
	s_delay_alu instid0(VALU_DEP_2) | instskip(NEXT) | instid1(VALU_DEP_2)
	v_add_f64_e32 v[60:61], v[6:7], v[60:61]
	v_add_f64_e32 v[62:63], v[62:63], v[8:9]
	ds_load_b128 v[6:9], v67 offset:3328
	s_wait_dscnt 0x0
	v_mul_f64_e32 v[64:65], v[54:55], v[8:9]
	s_delay_alu instid0(VALU_DEP_1) | instskip(SKIP_1) | instid1(VALU_DEP_2)
	v_fma_f64 v[64:65], v[52:53], v[6:7], -v[64:65]
	v_mul_f64_e32 v[52:53], v[52:53], v[8:9]
	v_add_f64_e32 v[64:65], v[2:3], v[64:65]
	s_delay_alu instid0(VALU_DEP_2) | instskip(NEXT) | instid1(VALU_DEP_1)
	v_fmac_f64_e32 v[52:53], v[54:55], v[6:7]
	v_add_f64_e32 v[78:79], v[52:53], v[4:5]
	ds_load_b128 v[2:5], v68 offset:8288
	s_wait_dscnt 0x0
	v_mul_f64_e32 v[52:53], v[4:5], v[58:59]
	v_mul_f64_e32 v[54:55], v[2:3], v[58:59]
	s_delay_alu instid0(VALU_DEP_2) | instskip(NEXT) | instid1(VALU_DEP_2)
	v_fma_f64 v[52:53], v[2:3], v[56:57], -v[52:53]
	v_fmac_f64_e32 v[54:55], v[4:5], v[56:57]
	s_delay_alu instid0(VALU_DEP_2) | instskip(SKIP_1) | instid1(VALU_DEP_3)
	v_add_f64_e32 v[10:11], v[10:11], v[52:53]
	v_mul_f64_e32 v[52:53], v[4:5], v[8:9]
	v_add_f64_e32 v[12:13], v[54:55], v[12:13]
	s_delay_alu instid0(VALU_DEP_2) | instskip(SKIP_1) | instid1(VALU_DEP_2)
	v_fma_f64 v[52:53], v[2:3], v[6:7], -v[52:53]
	v_mul_f64_e32 v[2:3], v[2:3], v[8:9]
	v_add_f64_e32 v[48:49], v[48:49], v[52:53]
	s_delay_alu instid0(VALU_DEP_2) | instskip(NEXT) | instid1(VALU_DEP_1)
	v_fmac_f64_e32 v[2:3], v[4:5], v[6:7]
	v_add_f64_e32 v[50:51], v[2:3], v[50:51]
	ds_load_b128 v[2:5], v68 offset:112
	ds_load_b128 v[52:55], v67 offset:3584
	;; [unrolled: 1-line block ×3, first 2 shown]
	s_wait_dscnt 0x1
	v_mul_f64_e32 v[6:7], v[4:5], v[54:55]
	v_mul_f64_e32 v[8:9], v[2:3], v[54:55]
	s_delay_alu instid0(VALU_DEP_2) | instskip(NEXT) | instid1(VALU_DEP_2)
	v_fma_f64 v[6:7], v[2:3], v[52:53], -v[6:7]
	v_fmac_f64_e32 v[8:9], v[4:5], v[52:53]
	s_delay_alu instid0(VALU_DEP_2) | instskip(NEXT) | instid1(VALU_DEP_2)
	v_add_f64_e32 v[6:7], v[60:61], v[6:7]
	v_add_f64_e32 v[8:9], v[8:9], v[62:63]
	s_wait_dscnt 0x0
	v_mul_f64_e32 v[60:61], v[4:5], v[58:59]
	v_mul_f64_e32 v[62:63], v[2:3], v[58:59]
	s_delay_alu instid0(VALU_DEP_2) | instskip(NEXT) | instid1(VALU_DEP_2)
	v_fma_f64 v[60:61], v[2:3], v[56:57], -v[60:61]
	v_fmac_f64_e32 v[62:63], v[4:5], v[56:57]
	s_delay_alu instid0(VALU_DEP_2) | instskip(NEXT) | instid1(VALU_DEP_2)
	v_add_f64_e32 v[2:3], v[64:65], v[60:61]
	v_add_f64_e32 v[4:5], v[62:63], v[78:79]
	ds_load_b128 v[60:63], v68 offset:8304
	s_wait_dscnt 0x0
	v_mul_f64_e32 v[64:65], v[62:63], v[54:55]
	v_mul_f64_e32 v[54:55], v[60:61], v[54:55]
	s_delay_alu instid0(VALU_DEP_2) | instskip(NEXT) | instid1(VALU_DEP_2)
	v_fma_f64 v[64:65], v[60:61], v[52:53], -v[64:65]
	v_fmac_f64_e32 v[54:55], v[62:63], v[52:53]
	v_mul_f64_e32 v[52:53], v[62:63], v[58:59]
	s_delay_alu instid0(VALU_DEP_3) | instskip(NEXT) | instid1(VALU_DEP_3)
	v_add_f64_e32 v[10:11], v[10:11], v[64:65]
	v_add_f64_e32 v[12:13], v[54:55], v[12:13]
	v_mul_f64_e32 v[54:55], v[60:61], v[58:59]
	s_delay_alu instid0(VALU_DEP_4) | instskip(NEXT) | instid1(VALU_DEP_2)
	v_fma_f64 v[52:53], v[60:61], v[56:57], -v[52:53]
	v_fmac_f64_e32 v[54:55], v[62:63], v[56:57]
	s_delay_alu instid0(VALU_DEP_2) | instskip(NEXT) | instid1(VALU_DEP_2)
	v_add_f64_e32 v[48:49], v[48:49], v[52:53]
	v_add_f64_e32 v[50:51], v[54:55], v[50:51]
	ds_load_b128 v[52:55], v68 offset:128
	ds_load_b128 v[56:59], v67 offset:4096
	s_wait_dscnt 0x0
	v_mul_f64_e32 v[60:61], v[54:55], v[58:59]
	v_mul_f64_e32 v[62:63], v[52:53], v[58:59]
	s_delay_alu instid0(VALU_DEP_2) | instskip(NEXT) | instid1(VALU_DEP_2)
	v_fma_f64 v[60:61], v[52:53], v[56:57], -v[60:61]
	v_fmac_f64_e32 v[62:63], v[54:55], v[56:57]
	s_delay_alu instid0(VALU_DEP_2) | instskip(NEXT) | instid1(VALU_DEP_2)
	v_add_f64_e32 v[60:61], v[6:7], v[60:61]
	v_add_f64_e32 v[62:63], v[62:63], v[8:9]
	ds_load_b128 v[6:9], v67 offset:4352
	s_wait_dscnt 0x0
	v_mul_f64_e32 v[64:65], v[54:55], v[8:9]
	s_delay_alu instid0(VALU_DEP_1) | instskip(SKIP_1) | instid1(VALU_DEP_2)
	v_fma_f64 v[64:65], v[52:53], v[6:7], -v[64:65]
	v_mul_f64_e32 v[52:53], v[52:53], v[8:9]
	v_add_f64_e32 v[64:65], v[2:3], v[64:65]
	s_delay_alu instid0(VALU_DEP_2) | instskip(NEXT) | instid1(VALU_DEP_1)
	v_fmac_f64_e32 v[52:53], v[54:55], v[6:7]
	v_add_f64_e32 v[78:79], v[52:53], v[4:5]
	ds_load_b128 v[2:5], v68 offset:8320
	s_wait_dscnt 0x0
	v_mul_f64_e32 v[52:53], v[4:5], v[58:59]
	v_mul_f64_e32 v[54:55], v[2:3], v[58:59]
	s_delay_alu instid0(VALU_DEP_2) | instskip(NEXT) | instid1(VALU_DEP_2)
	v_fma_f64 v[52:53], v[2:3], v[56:57], -v[52:53]
	v_fmac_f64_e32 v[54:55], v[4:5], v[56:57]
	s_delay_alu instid0(VALU_DEP_2) | instskip(SKIP_1) | instid1(VALU_DEP_3)
	v_add_f64_e32 v[10:11], v[10:11], v[52:53]
	v_mul_f64_e32 v[52:53], v[4:5], v[8:9]
	v_add_f64_e32 v[12:13], v[54:55], v[12:13]
	s_delay_alu instid0(VALU_DEP_2) | instskip(SKIP_1) | instid1(VALU_DEP_2)
	v_fma_f64 v[52:53], v[2:3], v[6:7], -v[52:53]
	v_mul_f64_e32 v[2:3], v[2:3], v[8:9]
	v_add_f64_e32 v[48:49], v[48:49], v[52:53]
	s_delay_alu instid0(VALU_DEP_2) | instskip(NEXT) | instid1(VALU_DEP_1)
	v_fmac_f64_e32 v[2:3], v[4:5], v[6:7]
	v_add_f64_e32 v[50:51], v[2:3], v[50:51]
	ds_load_b128 v[2:5], v68 offset:144
	ds_load_b128 v[52:55], v67 offset:4608
	;; [unrolled: 1-line block ×3, first 2 shown]
	s_wait_dscnt 0x1
	v_mul_f64_e32 v[6:7], v[4:5], v[54:55]
	v_mul_f64_e32 v[8:9], v[2:3], v[54:55]
	s_delay_alu instid0(VALU_DEP_2) | instskip(NEXT) | instid1(VALU_DEP_2)
	v_fma_f64 v[6:7], v[2:3], v[52:53], -v[6:7]
	v_fmac_f64_e32 v[8:9], v[4:5], v[52:53]
	s_delay_alu instid0(VALU_DEP_2) | instskip(NEXT) | instid1(VALU_DEP_2)
	v_add_f64_e32 v[6:7], v[60:61], v[6:7]
	v_add_f64_e32 v[8:9], v[8:9], v[62:63]
	s_wait_dscnt 0x0
	v_mul_f64_e32 v[60:61], v[4:5], v[58:59]
	v_mul_f64_e32 v[62:63], v[2:3], v[58:59]
	s_delay_alu instid0(VALU_DEP_2) | instskip(NEXT) | instid1(VALU_DEP_2)
	v_fma_f64 v[60:61], v[2:3], v[56:57], -v[60:61]
	v_fmac_f64_e32 v[62:63], v[4:5], v[56:57]
	s_delay_alu instid0(VALU_DEP_2) | instskip(NEXT) | instid1(VALU_DEP_2)
	v_add_f64_e32 v[2:3], v[64:65], v[60:61]
	v_add_f64_e32 v[4:5], v[62:63], v[78:79]
	ds_load_b128 v[60:63], v68 offset:8336
	s_wait_dscnt 0x0
	v_mul_f64_e32 v[64:65], v[62:63], v[54:55]
	v_mul_f64_e32 v[54:55], v[60:61], v[54:55]
	s_delay_alu instid0(VALU_DEP_2) | instskip(NEXT) | instid1(VALU_DEP_2)
	v_fma_f64 v[64:65], v[60:61], v[52:53], -v[64:65]
	v_fmac_f64_e32 v[54:55], v[62:63], v[52:53]
	v_mul_f64_e32 v[52:53], v[62:63], v[58:59]
	s_delay_alu instid0(VALU_DEP_3) | instskip(NEXT) | instid1(VALU_DEP_3)
	v_add_f64_e32 v[10:11], v[10:11], v[64:65]
	v_add_f64_e32 v[12:13], v[54:55], v[12:13]
	v_mul_f64_e32 v[54:55], v[60:61], v[58:59]
	s_delay_alu instid0(VALU_DEP_4) | instskip(NEXT) | instid1(VALU_DEP_2)
	v_fma_f64 v[52:53], v[60:61], v[56:57], -v[52:53]
	v_fmac_f64_e32 v[54:55], v[62:63], v[56:57]
	s_delay_alu instid0(VALU_DEP_2) | instskip(NEXT) | instid1(VALU_DEP_2)
	v_add_f64_e32 v[48:49], v[48:49], v[52:53]
	v_add_f64_e32 v[50:51], v[54:55], v[50:51]
	ds_load_b128 v[52:55], v68 offset:160
	ds_load_b128 v[56:59], v67 offset:5120
	s_wait_dscnt 0x0
	v_mul_f64_e32 v[60:61], v[54:55], v[58:59]
	v_mul_f64_e32 v[62:63], v[52:53], v[58:59]
	s_delay_alu instid0(VALU_DEP_2) | instskip(NEXT) | instid1(VALU_DEP_2)
	v_fma_f64 v[60:61], v[52:53], v[56:57], -v[60:61]
	v_fmac_f64_e32 v[62:63], v[54:55], v[56:57]
	s_delay_alu instid0(VALU_DEP_2) | instskip(NEXT) | instid1(VALU_DEP_2)
	v_add_f64_e32 v[60:61], v[6:7], v[60:61]
	v_add_f64_e32 v[62:63], v[62:63], v[8:9]
	ds_load_b128 v[6:9], v67 offset:5376
	s_wait_dscnt 0x0
	v_mul_f64_e32 v[64:65], v[54:55], v[8:9]
	s_delay_alu instid0(VALU_DEP_1) | instskip(SKIP_1) | instid1(VALU_DEP_2)
	v_fma_f64 v[64:65], v[52:53], v[6:7], -v[64:65]
	v_mul_f64_e32 v[52:53], v[52:53], v[8:9]
	v_add_f64_e32 v[64:65], v[2:3], v[64:65]
	s_delay_alu instid0(VALU_DEP_2) | instskip(NEXT) | instid1(VALU_DEP_1)
	v_fmac_f64_e32 v[52:53], v[54:55], v[6:7]
	v_add_f64_e32 v[78:79], v[52:53], v[4:5]
	ds_load_b128 v[2:5], v68 offset:8352
	s_wait_dscnt 0x0
	v_mul_f64_e32 v[52:53], v[4:5], v[58:59]
	v_mul_f64_e32 v[54:55], v[2:3], v[58:59]
	s_delay_alu instid0(VALU_DEP_2) | instskip(NEXT) | instid1(VALU_DEP_2)
	v_fma_f64 v[52:53], v[2:3], v[56:57], -v[52:53]
	v_fmac_f64_e32 v[54:55], v[4:5], v[56:57]
	s_delay_alu instid0(VALU_DEP_2) | instskip(SKIP_1) | instid1(VALU_DEP_3)
	v_add_f64_e32 v[10:11], v[10:11], v[52:53]
	v_mul_f64_e32 v[52:53], v[4:5], v[8:9]
	v_add_f64_e32 v[12:13], v[54:55], v[12:13]
	s_delay_alu instid0(VALU_DEP_2) | instskip(SKIP_1) | instid1(VALU_DEP_2)
	v_fma_f64 v[52:53], v[2:3], v[6:7], -v[52:53]
	v_mul_f64_e32 v[2:3], v[2:3], v[8:9]
	v_add_f64_e32 v[48:49], v[48:49], v[52:53]
	s_delay_alu instid0(VALU_DEP_2) | instskip(NEXT) | instid1(VALU_DEP_1)
	v_fmac_f64_e32 v[2:3], v[4:5], v[6:7]
	v_add_f64_e32 v[50:51], v[2:3], v[50:51]
	ds_load_b128 v[2:5], v68 offset:176
	ds_load_b128 v[52:55], v67 offset:5632
	;; [unrolled: 1-line block ×3, first 2 shown]
	s_wait_dscnt 0x1
	v_mul_f64_e32 v[6:7], v[4:5], v[54:55]
	v_mul_f64_e32 v[8:9], v[2:3], v[54:55]
	s_delay_alu instid0(VALU_DEP_2) | instskip(NEXT) | instid1(VALU_DEP_2)
	v_fma_f64 v[6:7], v[2:3], v[52:53], -v[6:7]
	v_fmac_f64_e32 v[8:9], v[4:5], v[52:53]
	s_delay_alu instid0(VALU_DEP_2) | instskip(NEXT) | instid1(VALU_DEP_2)
	v_add_f64_e32 v[6:7], v[60:61], v[6:7]
	v_add_f64_e32 v[8:9], v[8:9], v[62:63]
	s_wait_dscnt 0x0
	v_mul_f64_e32 v[60:61], v[4:5], v[58:59]
	v_mul_f64_e32 v[62:63], v[2:3], v[58:59]
	s_delay_alu instid0(VALU_DEP_2) | instskip(NEXT) | instid1(VALU_DEP_2)
	v_fma_f64 v[60:61], v[2:3], v[56:57], -v[60:61]
	v_fmac_f64_e32 v[62:63], v[4:5], v[56:57]
	s_delay_alu instid0(VALU_DEP_2) | instskip(NEXT) | instid1(VALU_DEP_2)
	v_add_f64_e32 v[2:3], v[64:65], v[60:61]
	v_add_f64_e32 v[4:5], v[62:63], v[78:79]
	ds_load_b128 v[60:63], v68 offset:8368
	s_wait_dscnt 0x0
	v_mul_f64_e32 v[64:65], v[62:63], v[54:55]
	v_mul_f64_e32 v[54:55], v[60:61], v[54:55]
	s_delay_alu instid0(VALU_DEP_2) | instskip(NEXT) | instid1(VALU_DEP_2)
	v_fma_f64 v[64:65], v[60:61], v[52:53], -v[64:65]
	v_fmac_f64_e32 v[54:55], v[62:63], v[52:53]
	v_mul_f64_e32 v[52:53], v[62:63], v[58:59]
	s_delay_alu instid0(VALU_DEP_3) | instskip(NEXT) | instid1(VALU_DEP_3)
	v_add_f64_e32 v[10:11], v[10:11], v[64:65]
	v_add_f64_e32 v[12:13], v[54:55], v[12:13]
	v_mul_f64_e32 v[54:55], v[60:61], v[58:59]
	s_delay_alu instid0(VALU_DEP_4) | instskip(NEXT) | instid1(VALU_DEP_2)
	v_fma_f64 v[52:53], v[60:61], v[56:57], -v[52:53]
	v_fmac_f64_e32 v[54:55], v[62:63], v[56:57]
	s_delay_alu instid0(VALU_DEP_2) | instskip(NEXT) | instid1(VALU_DEP_2)
	v_add_f64_e32 v[48:49], v[48:49], v[52:53]
	v_add_f64_e32 v[50:51], v[54:55], v[50:51]
	ds_load_b128 v[52:55], v68 offset:192
	ds_load_b128 v[56:59], v67 offset:6144
	s_wait_dscnt 0x0
	v_mul_f64_e32 v[60:61], v[54:55], v[58:59]
	v_mul_f64_e32 v[62:63], v[52:53], v[58:59]
	s_delay_alu instid0(VALU_DEP_2) | instskip(NEXT) | instid1(VALU_DEP_2)
	v_fma_f64 v[60:61], v[52:53], v[56:57], -v[60:61]
	v_fmac_f64_e32 v[62:63], v[54:55], v[56:57]
	s_delay_alu instid0(VALU_DEP_2) | instskip(NEXT) | instid1(VALU_DEP_2)
	v_add_f64_e32 v[60:61], v[6:7], v[60:61]
	v_add_f64_e32 v[62:63], v[62:63], v[8:9]
	ds_load_b128 v[6:9], v67 offset:6400
	s_wait_dscnt 0x0
	v_mul_f64_e32 v[64:65], v[54:55], v[8:9]
	s_delay_alu instid0(VALU_DEP_1) | instskip(SKIP_1) | instid1(VALU_DEP_2)
	v_fma_f64 v[64:65], v[52:53], v[6:7], -v[64:65]
	v_mul_f64_e32 v[52:53], v[52:53], v[8:9]
	v_add_f64_e32 v[64:65], v[2:3], v[64:65]
	s_delay_alu instid0(VALU_DEP_2) | instskip(NEXT) | instid1(VALU_DEP_1)
	v_fmac_f64_e32 v[52:53], v[54:55], v[6:7]
	v_add_f64_e32 v[78:79], v[52:53], v[4:5]
	ds_load_b128 v[2:5], v68 offset:8384
	s_wait_dscnt 0x0
	v_mul_f64_e32 v[52:53], v[4:5], v[58:59]
	v_mul_f64_e32 v[54:55], v[2:3], v[58:59]
	s_delay_alu instid0(VALU_DEP_2) | instskip(NEXT) | instid1(VALU_DEP_2)
	v_fma_f64 v[52:53], v[2:3], v[56:57], -v[52:53]
	v_fmac_f64_e32 v[54:55], v[4:5], v[56:57]
	s_delay_alu instid0(VALU_DEP_2) | instskip(SKIP_1) | instid1(VALU_DEP_3)
	v_add_f64_e32 v[10:11], v[10:11], v[52:53]
	v_mul_f64_e32 v[52:53], v[4:5], v[8:9]
	v_add_f64_e32 v[12:13], v[54:55], v[12:13]
	s_delay_alu instid0(VALU_DEP_2) | instskip(SKIP_1) | instid1(VALU_DEP_2)
	v_fma_f64 v[52:53], v[2:3], v[6:7], -v[52:53]
	v_mul_f64_e32 v[2:3], v[2:3], v[8:9]
	v_add_f64_e32 v[48:49], v[48:49], v[52:53]
	s_delay_alu instid0(VALU_DEP_2) | instskip(NEXT) | instid1(VALU_DEP_1)
	v_fmac_f64_e32 v[2:3], v[4:5], v[6:7]
	v_add_f64_e32 v[50:51], v[2:3], v[50:51]
	ds_load_b128 v[2:5], v68 offset:208
	ds_load_b128 v[52:55], v67 offset:6656
	;; [unrolled: 1-line block ×3, first 2 shown]
	s_wait_dscnt 0x1
	v_mul_f64_e32 v[6:7], v[4:5], v[54:55]
	v_mul_f64_e32 v[8:9], v[2:3], v[54:55]
	s_delay_alu instid0(VALU_DEP_2) | instskip(NEXT) | instid1(VALU_DEP_2)
	v_fma_f64 v[6:7], v[2:3], v[52:53], -v[6:7]
	v_fmac_f64_e32 v[8:9], v[4:5], v[52:53]
	s_delay_alu instid0(VALU_DEP_2) | instskip(NEXT) | instid1(VALU_DEP_2)
	v_add_f64_e32 v[6:7], v[60:61], v[6:7]
	v_add_f64_e32 v[8:9], v[8:9], v[62:63]
	s_wait_dscnt 0x0
	v_mul_f64_e32 v[60:61], v[4:5], v[58:59]
	v_mul_f64_e32 v[62:63], v[2:3], v[58:59]
	s_delay_alu instid0(VALU_DEP_2) | instskip(NEXT) | instid1(VALU_DEP_2)
	v_fma_f64 v[60:61], v[2:3], v[56:57], -v[60:61]
	v_fmac_f64_e32 v[62:63], v[4:5], v[56:57]
	s_delay_alu instid0(VALU_DEP_2) | instskip(NEXT) | instid1(VALU_DEP_2)
	v_add_f64_e32 v[2:3], v[64:65], v[60:61]
	v_add_f64_e32 v[4:5], v[62:63], v[78:79]
	ds_load_b128 v[60:63], v68 offset:8400
	s_wait_dscnt 0x0
	v_mul_f64_e32 v[64:65], v[62:63], v[54:55]
	v_mul_f64_e32 v[54:55], v[60:61], v[54:55]
	s_delay_alu instid0(VALU_DEP_2) | instskip(NEXT) | instid1(VALU_DEP_2)
	v_fma_f64 v[64:65], v[60:61], v[52:53], -v[64:65]
	v_fmac_f64_e32 v[54:55], v[62:63], v[52:53]
	v_mul_f64_e32 v[52:53], v[62:63], v[58:59]
	s_delay_alu instid0(VALU_DEP_3) | instskip(NEXT) | instid1(VALU_DEP_3)
	v_add_f64_e32 v[10:11], v[10:11], v[64:65]
	v_add_f64_e32 v[12:13], v[54:55], v[12:13]
	v_mul_f64_e32 v[54:55], v[60:61], v[58:59]
	s_delay_alu instid0(VALU_DEP_4) | instskip(NEXT) | instid1(VALU_DEP_2)
	v_fma_f64 v[52:53], v[60:61], v[56:57], -v[52:53]
	v_fmac_f64_e32 v[54:55], v[62:63], v[56:57]
	s_delay_alu instid0(VALU_DEP_2) | instskip(NEXT) | instid1(VALU_DEP_2)
	v_add_f64_e32 v[48:49], v[48:49], v[52:53]
	v_add_f64_e32 v[50:51], v[54:55], v[50:51]
	ds_load_b128 v[52:55], v68 offset:224
	ds_load_b128 v[56:59], v67 offset:7168
	s_wait_dscnt 0x0
	v_mul_f64_e32 v[60:61], v[54:55], v[58:59]
	v_mul_f64_e32 v[62:63], v[52:53], v[58:59]
	s_delay_alu instid0(VALU_DEP_2) | instskip(NEXT) | instid1(VALU_DEP_2)
	v_fma_f64 v[60:61], v[52:53], v[56:57], -v[60:61]
	v_fmac_f64_e32 v[62:63], v[54:55], v[56:57]
	s_delay_alu instid0(VALU_DEP_2) | instskip(NEXT) | instid1(VALU_DEP_2)
	v_add_f64_e32 v[60:61], v[6:7], v[60:61]
	v_add_f64_e32 v[62:63], v[62:63], v[8:9]
	ds_load_b128 v[6:9], v67 offset:7424
	s_wait_dscnt 0x0
	v_mul_f64_e32 v[64:65], v[54:55], v[8:9]
	s_delay_alu instid0(VALU_DEP_1) | instskip(SKIP_1) | instid1(VALU_DEP_2)
	v_fma_f64 v[64:65], v[52:53], v[6:7], -v[64:65]
	v_mul_f64_e32 v[52:53], v[52:53], v[8:9]
	v_add_f64_e32 v[64:65], v[2:3], v[64:65]
	s_delay_alu instid0(VALU_DEP_2) | instskip(NEXT) | instid1(VALU_DEP_1)
	v_fmac_f64_e32 v[52:53], v[54:55], v[6:7]
	v_add_f64_e32 v[78:79], v[52:53], v[4:5]
	ds_load_b128 v[2:5], v68 offset:8416
	s_wait_dscnt 0x0
	v_mul_f64_e32 v[52:53], v[4:5], v[58:59]
	v_mul_f64_e32 v[54:55], v[2:3], v[58:59]
	s_delay_alu instid0(VALU_DEP_2) | instskip(NEXT) | instid1(VALU_DEP_2)
	v_fma_f64 v[52:53], v[2:3], v[56:57], -v[52:53]
	v_fmac_f64_e32 v[54:55], v[4:5], v[56:57]
	s_delay_alu instid0(VALU_DEP_2) | instskip(SKIP_1) | instid1(VALU_DEP_3)
	v_add_f64_e32 v[10:11], v[10:11], v[52:53]
	v_mul_f64_e32 v[52:53], v[4:5], v[8:9]
	v_add_f64_e32 v[12:13], v[54:55], v[12:13]
	s_delay_alu instid0(VALU_DEP_2) | instskip(SKIP_1) | instid1(VALU_DEP_2)
	v_fma_f64 v[52:53], v[2:3], v[6:7], -v[52:53]
	v_mul_f64_e32 v[2:3], v[2:3], v[8:9]
	v_add_f64_e32 v[48:49], v[48:49], v[52:53]
	s_delay_alu instid0(VALU_DEP_2) | instskip(NEXT) | instid1(VALU_DEP_1)
	v_fmac_f64_e32 v[2:3], v[4:5], v[6:7]
	v_add_f64_e32 v[50:51], v[2:3], v[50:51]
	ds_load_b128 v[2:5], v68 offset:240
	ds_load_b128 v[52:55], v67 offset:7680
	;; [unrolled: 1-line block ×3, first 2 shown]
	s_wait_dscnt 0x1
	v_mul_f64_e32 v[6:7], v[4:5], v[54:55]
	v_mul_f64_e32 v[8:9], v[2:3], v[54:55]
	s_delay_alu instid0(VALU_DEP_2) | instskip(NEXT) | instid1(VALU_DEP_2)
	v_fma_f64 v[6:7], v[2:3], v[52:53], -v[6:7]
	v_fmac_f64_e32 v[8:9], v[4:5], v[52:53]
	s_delay_alu instid0(VALU_DEP_2) | instskip(NEXT) | instid1(VALU_DEP_2)
	v_add_f64_e32 v[6:7], v[60:61], v[6:7]
	v_add_f64_e32 v[8:9], v[8:9], v[62:63]
	s_wait_dscnt 0x0
	v_mul_f64_e32 v[60:61], v[4:5], v[58:59]
	v_mul_f64_e32 v[62:63], v[2:3], v[58:59]
	s_delay_alu instid0(VALU_DEP_2) | instskip(NEXT) | instid1(VALU_DEP_2)
	v_fma_f64 v[60:61], v[2:3], v[56:57], -v[60:61]
	v_fmac_f64_e32 v[62:63], v[4:5], v[56:57]
	s_delay_alu instid0(VALU_DEP_2) | instskip(NEXT) | instid1(VALU_DEP_2)
	v_add_f64_e32 v[2:3], v[64:65], v[60:61]
	v_add_f64_e32 v[4:5], v[62:63], v[78:79]
	ds_load_b128 v[60:63], v68 offset:8432
	s_wait_dscnt 0x0
	v_mul_f64_e32 v[64:65], v[62:63], v[54:55]
	v_mul_f64_e32 v[54:55], v[60:61], v[54:55]
	s_delay_alu instid0(VALU_DEP_2) | instskip(NEXT) | instid1(VALU_DEP_2)
	v_fma_f64 v[64:65], v[60:61], v[52:53], -v[64:65]
	v_fmac_f64_e32 v[54:55], v[62:63], v[52:53]
	v_mul_f64_e32 v[52:53], v[62:63], v[58:59]
	s_delay_alu instid0(VALU_DEP_3) | instskip(NEXT) | instid1(VALU_DEP_3)
	v_add_f64_e32 v[10:11], v[10:11], v[64:65]
	v_add_f64_e32 v[12:13], v[54:55], v[12:13]
	v_mul_f64_e32 v[54:55], v[60:61], v[58:59]
	s_delay_alu instid0(VALU_DEP_4) | instskip(NEXT) | instid1(VALU_DEP_2)
	v_fma_f64 v[52:53], v[60:61], v[56:57], -v[52:53]
	v_fmac_f64_e32 v[54:55], v[62:63], v[56:57]
	s_delay_alu instid0(VALU_DEP_2) | instskip(NEXT) | instid1(VALU_DEP_2)
	v_add_f64_e32 v[48:49], v[48:49], v[52:53]
	v_add_f64_e32 v[50:51], v[54:55], v[50:51]
	ds_load_b128 v[52:55], v68 offset:256
	ds_load_b128 v[56:59], v67 offset:8192
	s_wait_dscnt 0x0
	v_mul_f64_e32 v[60:61], v[54:55], v[58:59]
	v_mul_f64_e32 v[62:63], v[52:53], v[58:59]
	s_delay_alu instid0(VALU_DEP_2) | instskip(NEXT) | instid1(VALU_DEP_2)
	v_fma_f64 v[60:61], v[52:53], v[56:57], -v[60:61]
	v_fmac_f64_e32 v[62:63], v[54:55], v[56:57]
	s_delay_alu instid0(VALU_DEP_2) | instskip(NEXT) | instid1(VALU_DEP_2)
	v_add_f64_e32 v[60:61], v[6:7], v[60:61]
	v_add_f64_e32 v[62:63], v[62:63], v[8:9]
	ds_load_b128 v[6:9], v67 offset:8448
	s_wait_dscnt 0x0
	v_mul_f64_e32 v[64:65], v[54:55], v[8:9]
	s_delay_alu instid0(VALU_DEP_1) | instskip(SKIP_1) | instid1(VALU_DEP_2)
	v_fma_f64 v[64:65], v[52:53], v[6:7], -v[64:65]
	v_mul_f64_e32 v[52:53], v[52:53], v[8:9]
	v_add_f64_e32 v[64:65], v[2:3], v[64:65]
	s_delay_alu instid0(VALU_DEP_2) | instskip(NEXT) | instid1(VALU_DEP_1)
	v_fmac_f64_e32 v[52:53], v[54:55], v[6:7]
	v_add_f64_e32 v[78:79], v[52:53], v[4:5]
	ds_load_b128 v[2:5], v68 offset:8448
	s_wait_dscnt 0x0
	v_mul_f64_e32 v[52:53], v[4:5], v[58:59]
	v_mul_f64_e32 v[54:55], v[2:3], v[58:59]
	s_delay_alu instid0(VALU_DEP_2) | instskip(NEXT) | instid1(VALU_DEP_2)
	v_fma_f64 v[52:53], v[2:3], v[56:57], -v[52:53]
	v_fmac_f64_e32 v[54:55], v[4:5], v[56:57]
	s_delay_alu instid0(VALU_DEP_2) | instskip(SKIP_1) | instid1(VALU_DEP_3)
	v_add_f64_e32 v[10:11], v[10:11], v[52:53]
	v_mul_f64_e32 v[52:53], v[4:5], v[8:9]
	v_add_f64_e32 v[12:13], v[54:55], v[12:13]
	s_delay_alu instid0(VALU_DEP_2) | instskip(SKIP_1) | instid1(VALU_DEP_2)
	v_fma_f64 v[52:53], v[2:3], v[6:7], -v[52:53]
	v_mul_f64_e32 v[2:3], v[2:3], v[8:9]
	v_add_f64_e32 v[48:49], v[48:49], v[52:53]
	s_delay_alu instid0(VALU_DEP_2) | instskip(NEXT) | instid1(VALU_DEP_1)
	v_fmac_f64_e32 v[2:3], v[4:5], v[6:7]
	v_add_f64_e32 v[50:51], v[2:3], v[50:51]
	ds_load_b128 v[2:5], v68 offset:272
	ds_load_b128 v[52:55], v67 offset:8704
	;; [unrolled: 1-line block ×3, first 2 shown]
	s_wait_dscnt 0x1
	v_mul_f64_e32 v[6:7], v[4:5], v[54:55]
	v_mul_f64_e32 v[8:9], v[2:3], v[54:55]
	s_delay_alu instid0(VALU_DEP_2) | instskip(NEXT) | instid1(VALU_DEP_2)
	v_fma_f64 v[6:7], v[2:3], v[52:53], -v[6:7]
	v_fmac_f64_e32 v[8:9], v[4:5], v[52:53]
	s_delay_alu instid0(VALU_DEP_2) | instskip(NEXT) | instid1(VALU_DEP_2)
	v_add_f64_e32 v[6:7], v[60:61], v[6:7]
	v_add_f64_e32 v[8:9], v[8:9], v[62:63]
	s_wait_dscnt 0x0
	v_mul_f64_e32 v[60:61], v[4:5], v[58:59]
	v_mul_f64_e32 v[62:63], v[2:3], v[58:59]
	s_delay_alu instid0(VALU_DEP_2) | instskip(NEXT) | instid1(VALU_DEP_2)
	v_fma_f64 v[60:61], v[2:3], v[56:57], -v[60:61]
	v_fmac_f64_e32 v[62:63], v[4:5], v[56:57]
	s_delay_alu instid0(VALU_DEP_2) | instskip(NEXT) | instid1(VALU_DEP_2)
	v_add_f64_e32 v[2:3], v[64:65], v[60:61]
	v_add_f64_e32 v[4:5], v[62:63], v[78:79]
	ds_load_b128 v[60:63], v68 offset:8464
	s_wait_dscnt 0x0
	v_mul_f64_e32 v[64:65], v[62:63], v[54:55]
	v_mul_f64_e32 v[54:55], v[60:61], v[54:55]
	s_delay_alu instid0(VALU_DEP_2) | instskip(NEXT) | instid1(VALU_DEP_2)
	v_fma_f64 v[64:65], v[60:61], v[52:53], -v[64:65]
	v_fmac_f64_e32 v[54:55], v[62:63], v[52:53]
	v_mul_f64_e32 v[52:53], v[62:63], v[58:59]
	s_delay_alu instid0(VALU_DEP_3) | instskip(NEXT) | instid1(VALU_DEP_3)
	v_add_f64_e32 v[10:11], v[10:11], v[64:65]
	v_add_f64_e32 v[12:13], v[54:55], v[12:13]
	v_mul_f64_e32 v[54:55], v[60:61], v[58:59]
	s_delay_alu instid0(VALU_DEP_4) | instskip(NEXT) | instid1(VALU_DEP_2)
	v_fma_f64 v[52:53], v[60:61], v[56:57], -v[52:53]
	v_fmac_f64_e32 v[54:55], v[62:63], v[56:57]
	s_delay_alu instid0(VALU_DEP_2) | instskip(NEXT) | instid1(VALU_DEP_2)
	v_add_f64_e32 v[48:49], v[48:49], v[52:53]
	v_add_f64_e32 v[50:51], v[54:55], v[50:51]
	ds_load_b128 v[52:55], v68 offset:288
	ds_load_b128 v[56:59], v67 offset:9216
	s_wait_dscnt 0x0
	v_mul_f64_e32 v[60:61], v[54:55], v[58:59]
	v_mul_f64_e32 v[62:63], v[52:53], v[58:59]
	s_delay_alu instid0(VALU_DEP_2) | instskip(NEXT) | instid1(VALU_DEP_2)
	v_fma_f64 v[60:61], v[52:53], v[56:57], -v[60:61]
	v_fmac_f64_e32 v[62:63], v[54:55], v[56:57]
	s_delay_alu instid0(VALU_DEP_2) | instskip(NEXT) | instid1(VALU_DEP_2)
	v_add_f64_e32 v[60:61], v[6:7], v[60:61]
	v_add_f64_e32 v[62:63], v[62:63], v[8:9]
	ds_load_b128 v[6:9], v67 offset:9472
	s_wait_dscnt 0x0
	v_mul_f64_e32 v[64:65], v[54:55], v[8:9]
	s_delay_alu instid0(VALU_DEP_1) | instskip(SKIP_1) | instid1(VALU_DEP_2)
	v_fma_f64 v[64:65], v[52:53], v[6:7], -v[64:65]
	v_mul_f64_e32 v[52:53], v[52:53], v[8:9]
	v_add_f64_e32 v[64:65], v[2:3], v[64:65]
	s_delay_alu instid0(VALU_DEP_2) | instskip(NEXT) | instid1(VALU_DEP_1)
	v_fmac_f64_e32 v[52:53], v[54:55], v[6:7]
	v_add_f64_e32 v[78:79], v[52:53], v[4:5]
	ds_load_b128 v[2:5], v68 offset:8480
	s_wait_dscnt 0x0
	v_mul_f64_e32 v[52:53], v[4:5], v[58:59]
	v_mul_f64_e32 v[54:55], v[2:3], v[58:59]
	s_delay_alu instid0(VALU_DEP_2) | instskip(NEXT) | instid1(VALU_DEP_2)
	v_fma_f64 v[52:53], v[2:3], v[56:57], -v[52:53]
	v_fmac_f64_e32 v[54:55], v[4:5], v[56:57]
	s_delay_alu instid0(VALU_DEP_2) | instskip(SKIP_1) | instid1(VALU_DEP_3)
	v_add_f64_e32 v[10:11], v[10:11], v[52:53]
	v_mul_f64_e32 v[52:53], v[4:5], v[8:9]
	v_add_f64_e32 v[12:13], v[54:55], v[12:13]
	s_delay_alu instid0(VALU_DEP_2) | instskip(SKIP_1) | instid1(VALU_DEP_2)
	v_fma_f64 v[52:53], v[2:3], v[6:7], -v[52:53]
	v_mul_f64_e32 v[2:3], v[2:3], v[8:9]
	v_add_f64_e32 v[48:49], v[48:49], v[52:53]
	s_delay_alu instid0(VALU_DEP_2) | instskip(NEXT) | instid1(VALU_DEP_1)
	v_fmac_f64_e32 v[2:3], v[4:5], v[6:7]
	v_add_f64_e32 v[50:51], v[2:3], v[50:51]
	ds_load_b128 v[2:5], v68 offset:304
	ds_load_b128 v[52:55], v67 offset:9728
	;; [unrolled: 1-line block ×3, first 2 shown]
	s_wait_dscnt 0x1
	v_mul_f64_e32 v[6:7], v[4:5], v[54:55]
	v_mul_f64_e32 v[8:9], v[2:3], v[54:55]
	s_delay_alu instid0(VALU_DEP_2) | instskip(NEXT) | instid1(VALU_DEP_2)
	v_fma_f64 v[6:7], v[2:3], v[52:53], -v[6:7]
	v_fmac_f64_e32 v[8:9], v[4:5], v[52:53]
	s_delay_alu instid0(VALU_DEP_2) | instskip(NEXT) | instid1(VALU_DEP_2)
	v_add_f64_e32 v[6:7], v[60:61], v[6:7]
	v_add_f64_e32 v[8:9], v[8:9], v[62:63]
	s_wait_dscnt 0x0
	v_mul_f64_e32 v[60:61], v[4:5], v[58:59]
	v_mul_f64_e32 v[62:63], v[2:3], v[58:59]
	s_delay_alu instid0(VALU_DEP_2) | instskip(NEXT) | instid1(VALU_DEP_2)
	v_fma_f64 v[60:61], v[2:3], v[56:57], -v[60:61]
	v_fmac_f64_e32 v[62:63], v[4:5], v[56:57]
	s_delay_alu instid0(VALU_DEP_2) | instskip(NEXT) | instid1(VALU_DEP_2)
	v_add_f64_e32 v[2:3], v[64:65], v[60:61]
	v_add_f64_e32 v[4:5], v[62:63], v[78:79]
	ds_load_b128 v[60:63], v68 offset:8496
	s_wait_dscnt 0x0
	v_mul_f64_e32 v[64:65], v[62:63], v[54:55]
	v_mul_f64_e32 v[54:55], v[60:61], v[54:55]
	s_delay_alu instid0(VALU_DEP_2) | instskip(NEXT) | instid1(VALU_DEP_2)
	v_fma_f64 v[64:65], v[60:61], v[52:53], -v[64:65]
	v_fmac_f64_e32 v[54:55], v[62:63], v[52:53]
	v_mul_f64_e32 v[52:53], v[62:63], v[58:59]
	s_delay_alu instid0(VALU_DEP_3) | instskip(NEXT) | instid1(VALU_DEP_3)
	v_add_f64_e32 v[10:11], v[10:11], v[64:65]
	v_add_f64_e32 v[12:13], v[54:55], v[12:13]
	v_mul_f64_e32 v[54:55], v[60:61], v[58:59]
	s_delay_alu instid0(VALU_DEP_4) | instskip(NEXT) | instid1(VALU_DEP_2)
	v_fma_f64 v[52:53], v[60:61], v[56:57], -v[52:53]
	v_fmac_f64_e32 v[54:55], v[62:63], v[56:57]
	s_delay_alu instid0(VALU_DEP_2) | instskip(NEXT) | instid1(VALU_DEP_2)
	v_add_f64_e32 v[48:49], v[48:49], v[52:53]
	v_add_f64_e32 v[50:51], v[54:55], v[50:51]
	ds_load_b128 v[52:55], v68 offset:320
	ds_load_b128 v[56:59], v67 offset:10240
	s_wait_dscnt 0x0
	v_mul_f64_e32 v[60:61], v[54:55], v[58:59]
	v_mul_f64_e32 v[62:63], v[52:53], v[58:59]
	s_delay_alu instid0(VALU_DEP_2) | instskip(NEXT) | instid1(VALU_DEP_2)
	v_fma_f64 v[60:61], v[52:53], v[56:57], -v[60:61]
	v_fmac_f64_e32 v[62:63], v[54:55], v[56:57]
	s_delay_alu instid0(VALU_DEP_2) | instskip(NEXT) | instid1(VALU_DEP_2)
	v_add_f64_e32 v[64:65], v[6:7], v[60:61]
	v_add_f64_e32 v[78:79], v[62:63], v[8:9]
	ds_load_b128 v[60:63], v67 offset:10496
	s_wait_dscnt 0x0
	v_mul_f64_e32 v[6:7], v[54:55], v[62:63]
	v_mul_f64_e32 v[8:9], v[52:53], v[62:63]
	s_delay_alu instid0(VALU_DEP_2) | instskip(NEXT) | instid1(VALU_DEP_2)
	v_fma_f64 v[6:7], v[52:53], v[60:61], -v[6:7]
	v_fmac_f64_e32 v[8:9], v[54:55], v[60:61]
	s_delay_alu instid0(VALU_DEP_2) | instskip(NEXT) | instid1(VALU_DEP_2)
	v_add_f64_e32 v[80:81], v[2:3], v[6:7]
	v_add_f64_e32 v[82:83], v[8:9], v[4:5]
	;; [unrolled: 10-line block ×3, first 2 shown]
	v_mul_f64_e32 v[10:11], v[4:5], v[62:63]
	v_mul_f64_e32 v[12:13], v[2:3], v[62:63]
	s_delay_alu instid0(VALU_DEP_2) | instskip(NEXT) | instid1(VALU_DEP_2)
	v_fma_f64 v[10:11], v[2:3], v[60:61], -v[10:11]
	v_fmac_f64_e32 v[12:13], v[4:5], v[60:61]
	s_delay_alu instid0(VALU_DEP_2) | instskip(NEXT) | instid1(VALU_DEP_2)
	v_add_f64_e32 v[2:3], v[48:49], v[10:11]
	v_add_f64_e32 v[4:5], v[12:13], v[50:51]
	ds_load_b128 v[10:13], v68 offset:336
	ds_load_b128 v[52:55], v67 offset:10752
	;; [unrolled: 1-line block ×3, first 2 shown]
	s_wait_dscnt 0x1
	v_mul_f64_e32 v[48:49], v[12:13], v[54:55]
	s_wait_dscnt 0x0
	v_mul_f64_e32 v[60:61], v[12:13], v[58:59]
	v_mul_f64_e32 v[62:63], v[10:11], v[58:59]
	;; [unrolled: 1-line block ×3, first 2 shown]
	s_delay_alu instid0(VALU_DEP_4) | instskip(NEXT) | instid1(VALU_DEP_4)
	v_fma_f64 v[48:49], v[10:11], v[52:53], -v[48:49]
	v_fma_f64 v[60:61], v[10:11], v[56:57], -v[60:61]
	s_delay_alu instid0(VALU_DEP_4) | instskip(NEXT) | instid1(VALU_DEP_4)
	v_fmac_f64_e32 v[62:63], v[12:13], v[56:57]
	v_fmac_f64_e32 v[50:51], v[12:13], v[52:53]
	s_delay_alu instid0(VALU_DEP_4) | instskip(NEXT) | instid1(VALU_DEP_4)
	v_add_f64_e32 v[48:49], v[64:65], v[48:49]
	v_add_f64_e32 v[10:11], v[80:81], v[60:61]
	s_delay_alu instid0(VALU_DEP_4)
	v_add_f64_e32 v[12:13], v[62:63], v[82:83]
	ds_load_b128 v[60:63], v68 offset:8528
	v_add_f64_e32 v[50:51], v[50:51], v[78:79]
	s_wait_dscnt 0x0
	v_mul_f64_e32 v[64:65], v[62:63], v[54:55]
	v_mul_f64_e32 v[54:55], v[60:61], v[54:55]
	s_delay_alu instid0(VALU_DEP_2) | instskip(NEXT) | instid1(VALU_DEP_2)
	v_fma_f64 v[64:65], v[60:61], v[52:53], -v[64:65]
	v_fmac_f64_e32 v[54:55], v[62:63], v[52:53]
	s_delay_alu instid0(VALU_DEP_2) | instskip(NEXT) | instid1(VALU_DEP_2)
	v_add_f64_e32 v[52:53], v[6:7], v[64:65]
	v_add_f64_e32 v[54:55], v[54:55], v[8:9]
	v_mul_f64_e32 v[6:7], v[62:63], v[58:59]
	v_mul_f64_e32 v[8:9], v[60:61], v[58:59]
	s_delay_alu instid0(VALU_DEP_2) | instskip(NEXT) | instid1(VALU_DEP_2)
	v_fma_f64 v[6:7], v[60:61], v[56:57], -v[6:7]
	v_fmac_f64_e32 v[8:9], v[62:63], v[56:57]
	s_delay_alu instid0(VALU_DEP_2) | instskip(NEXT) | instid1(VALU_DEP_2)
	v_add_f64_e32 v[56:57], v[2:3], v[6:7]
	v_add_f64_e32 v[58:59], v[8:9], v[4:5]
	ds_load_b128 v[2:5], v68 offset:352
	ds_load_b128 v[6:9], v67 offset:11264
	s_wait_dscnt 0x0
	v_mul_f64_e32 v[60:61], v[4:5], v[8:9]
	v_mul_f64_e32 v[62:63], v[2:3], v[8:9]
	s_delay_alu instid0(VALU_DEP_2) | instskip(NEXT) | instid1(VALU_DEP_2)
	v_fma_f64 v[60:61], v[2:3], v[6:7], -v[60:61]
	v_fmac_f64_e32 v[62:63], v[4:5], v[6:7]
	s_delay_alu instid0(VALU_DEP_2) | instskip(NEXT) | instid1(VALU_DEP_2)
	v_add_f64_e32 v[60:61], v[48:49], v[60:61]
	v_add_f64_e32 v[62:63], v[62:63], v[50:51]
	ds_load_b128 v[48:51], v67 offset:11520
	s_wait_dscnt 0x0
	v_mul_f64_e32 v[64:65], v[4:5], v[50:51]
	s_delay_alu instid0(VALU_DEP_1) | instskip(SKIP_1) | instid1(VALU_DEP_2)
	v_fma_f64 v[64:65], v[2:3], v[48:49], -v[64:65]
	v_mul_f64_e32 v[2:3], v[2:3], v[50:51]
	v_add_f64_e32 v[64:65], v[10:11], v[64:65]
	s_delay_alu instid0(VALU_DEP_2) | instskip(NEXT) | instid1(VALU_DEP_1)
	v_fmac_f64_e32 v[2:3], v[4:5], v[48:49]
	v_add_f64_e32 v[78:79], v[2:3], v[12:13]
	ds_load_b128 v[2:5], v68 offset:8544
	s_wait_dscnt 0x0
	v_mul_f64_e32 v[10:11], v[4:5], v[8:9]
	v_mul_f64_e32 v[8:9], v[2:3], v[8:9]
	s_delay_alu instid0(VALU_DEP_2) | instskip(NEXT) | instid1(VALU_DEP_2)
	v_fma_f64 v[10:11], v[2:3], v[6:7], -v[10:11]
	v_fmac_f64_e32 v[8:9], v[4:5], v[6:7]
	v_mul_f64_e32 v[6:7], v[4:5], v[50:51]
	s_delay_alu instid0(VALU_DEP_3) | instskip(NEXT) | instid1(VALU_DEP_3)
	v_add_f64_e32 v[10:11], v[52:53], v[10:11]
	v_add_f64_e32 v[12:13], v[8:9], v[54:55]
	s_delay_alu instid0(VALU_DEP_3) | instskip(SKIP_1) | instid1(VALU_DEP_1)
	v_fma_f64 v[6:7], v[2:3], v[48:49], -v[6:7]
	v_mul_f64_e32 v[2:3], v[2:3], v[50:51]
	v_fmac_f64_e32 v[2:3], v[4:5], v[48:49]
	s_delay_alu instid0(VALU_DEP_3) | instskip(NEXT) | instid1(VALU_DEP_2)
	v_add_f64_e32 v[48:49], v[56:57], v[6:7]
	v_add_f64_e32 v[50:51], v[2:3], v[58:59]
	ds_load_b128 v[2:5], v68 offset:368
	ds_load_b128 v[52:55], v67 offset:11776
	;; [unrolled: 1-line block ×3, first 2 shown]
	s_wait_dscnt 0x1
	v_mul_f64_e32 v[6:7], v[4:5], v[54:55]
	v_mul_f64_e32 v[8:9], v[2:3], v[54:55]
	s_delay_alu instid0(VALU_DEP_2) | instskip(NEXT) | instid1(VALU_DEP_2)
	v_fma_f64 v[6:7], v[2:3], v[52:53], -v[6:7]
	v_fmac_f64_e32 v[8:9], v[4:5], v[52:53]
	s_delay_alu instid0(VALU_DEP_2) | instskip(NEXT) | instid1(VALU_DEP_2)
	v_add_f64_e32 v[6:7], v[60:61], v[6:7]
	v_add_f64_e32 v[8:9], v[8:9], v[62:63]
	s_wait_dscnt 0x0
	v_mul_f64_e32 v[60:61], v[4:5], v[58:59]
	v_mul_f64_e32 v[62:63], v[2:3], v[58:59]
	s_delay_alu instid0(VALU_DEP_2) | instskip(NEXT) | instid1(VALU_DEP_2)
	v_fma_f64 v[60:61], v[2:3], v[56:57], -v[60:61]
	v_fmac_f64_e32 v[62:63], v[4:5], v[56:57]
	s_delay_alu instid0(VALU_DEP_2) | instskip(NEXT) | instid1(VALU_DEP_2)
	v_add_f64_e32 v[2:3], v[64:65], v[60:61]
	v_add_f64_e32 v[4:5], v[62:63], v[78:79]
	ds_load_b128 v[60:63], v68 offset:8560
	s_wait_dscnt 0x0
	v_mul_f64_e32 v[64:65], v[62:63], v[54:55]
	v_mul_f64_e32 v[54:55], v[60:61], v[54:55]
	s_delay_alu instid0(VALU_DEP_2) | instskip(NEXT) | instid1(VALU_DEP_2)
	v_fma_f64 v[64:65], v[60:61], v[52:53], -v[64:65]
	v_fmac_f64_e32 v[54:55], v[62:63], v[52:53]
	v_mul_f64_e32 v[52:53], v[62:63], v[58:59]
	s_delay_alu instid0(VALU_DEP_3) | instskip(NEXT) | instid1(VALU_DEP_3)
	v_add_f64_e32 v[10:11], v[10:11], v[64:65]
	v_add_f64_e32 v[12:13], v[54:55], v[12:13]
	v_mul_f64_e32 v[54:55], v[60:61], v[58:59]
	s_delay_alu instid0(VALU_DEP_4) | instskip(NEXT) | instid1(VALU_DEP_2)
	v_fma_f64 v[52:53], v[60:61], v[56:57], -v[52:53]
	v_fmac_f64_e32 v[54:55], v[62:63], v[56:57]
	s_delay_alu instid0(VALU_DEP_2) | instskip(NEXT) | instid1(VALU_DEP_2)
	v_add_f64_e32 v[48:49], v[48:49], v[52:53]
	v_add_f64_e32 v[50:51], v[54:55], v[50:51]
	ds_load_b128 v[52:55], v68 offset:384
	ds_load_b128 v[56:59], v67 offset:12288
	s_wait_dscnt 0x0
	v_mul_f64_e32 v[60:61], v[54:55], v[58:59]
	v_mul_f64_e32 v[62:63], v[52:53], v[58:59]
	s_delay_alu instid0(VALU_DEP_2) | instskip(NEXT) | instid1(VALU_DEP_2)
	v_fma_f64 v[60:61], v[52:53], v[56:57], -v[60:61]
	v_fmac_f64_e32 v[62:63], v[54:55], v[56:57]
	s_delay_alu instid0(VALU_DEP_2) | instskip(NEXT) | instid1(VALU_DEP_2)
	v_add_f64_e32 v[64:65], v[6:7], v[60:61]
	v_add_f64_e32 v[78:79], v[62:63], v[8:9]
	ds_load_b128 v[60:63], v67 offset:12544
	s_wait_dscnt 0x0
	v_mul_f64_e32 v[6:7], v[54:55], v[62:63]
	v_mul_f64_e32 v[8:9], v[52:53], v[62:63]
	s_delay_alu instid0(VALU_DEP_2) | instskip(NEXT) | instid1(VALU_DEP_2)
	v_fma_f64 v[6:7], v[52:53], v[60:61], -v[6:7]
	v_fmac_f64_e32 v[8:9], v[54:55], v[60:61]
	s_delay_alu instid0(VALU_DEP_2) | instskip(NEXT) | instid1(VALU_DEP_2)
	v_add_f64_e32 v[80:81], v[2:3], v[6:7]
	v_add_f64_e32 v[82:83], v[8:9], v[4:5]
	;; [unrolled: 10-line block ×3, first 2 shown]
	v_mul_f64_e32 v[10:11], v[4:5], v[62:63]
	v_mul_f64_e32 v[12:13], v[2:3], v[62:63]
	s_delay_alu instid0(VALU_DEP_2) | instskip(NEXT) | instid1(VALU_DEP_2)
	v_fma_f64 v[10:11], v[2:3], v[60:61], -v[10:11]
	v_fmac_f64_e32 v[12:13], v[4:5], v[60:61]
	s_delay_alu instid0(VALU_DEP_2) | instskip(NEXT) | instid1(VALU_DEP_2)
	v_add_f64_e32 v[2:3], v[48:49], v[10:11]
	v_add_f64_e32 v[4:5], v[12:13], v[50:51]
	ds_load_b128 v[10:13], v68 offset:400
	ds_load_b128 v[52:55], v67 offset:12800
	;; [unrolled: 1-line block ×3, first 2 shown]
	s_wait_dscnt 0x1
	v_mul_f64_e32 v[48:49], v[12:13], v[54:55]
	s_wait_dscnt 0x0
	v_mul_f64_e32 v[60:61], v[12:13], v[58:59]
	v_mul_f64_e32 v[62:63], v[10:11], v[58:59]
	;; [unrolled: 1-line block ×3, first 2 shown]
	s_delay_alu instid0(VALU_DEP_4) | instskip(NEXT) | instid1(VALU_DEP_4)
	v_fma_f64 v[48:49], v[10:11], v[52:53], -v[48:49]
	v_fma_f64 v[60:61], v[10:11], v[56:57], -v[60:61]
	s_delay_alu instid0(VALU_DEP_4) | instskip(NEXT) | instid1(VALU_DEP_4)
	v_fmac_f64_e32 v[62:63], v[12:13], v[56:57]
	v_fmac_f64_e32 v[50:51], v[12:13], v[52:53]
	s_delay_alu instid0(VALU_DEP_4) | instskip(NEXT) | instid1(VALU_DEP_4)
	v_add_f64_e32 v[48:49], v[64:65], v[48:49]
	v_add_f64_e32 v[10:11], v[80:81], v[60:61]
	s_delay_alu instid0(VALU_DEP_4)
	v_add_f64_e32 v[12:13], v[62:63], v[82:83]
	ds_load_b128 v[60:63], v68 offset:8592
	v_add_f64_e32 v[50:51], v[50:51], v[78:79]
	s_wait_dscnt 0x0
	v_mul_f64_e32 v[64:65], v[62:63], v[54:55]
	v_mul_f64_e32 v[54:55], v[60:61], v[54:55]
	s_delay_alu instid0(VALU_DEP_2) | instskip(NEXT) | instid1(VALU_DEP_2)
	v_fma_f64 v[64:65], v[60:61], v[52:53], -v[64:65]
	v_fmac_f64_e32 v[54:55], v[62:63], v[52:53]
	s_delay_alu instid0(VALU_DEP_2) | instskip(NEXT) | instid1(VALU_DEP_2)
	v_add_f64_e32 v[52:53], v[6:7], v[64:65]
	v_add_f64_e32 v[54:55], v[54:55], v[8:9]
	v_mul_f64_e32 v[6:7], v[62:63], v[58:59]
	v_mul_f64_e32 v[8:9], v[60:61], v[58:59]
	s_delay_alu instid0(VALU_DEP_2) | instskip(NEXT) | instid1(VALU_DEP_2)
	v_fma_f64 v[6:7], v[60:61], v[56:57], -v[6:7]
	v_fmac_f64_e32 v[8:9], v[62:63], v[56:57]
	s_delay_alu instid0(VALU_DEP_2) | instskip(NEXT) | instid1(VALU_DEP_2)
	v_add_f64_e32 v[56:57], v[2:3], v[6:7]
	v_add_f64_e32 v[58:59], v[8:9], v[4:5]
	ds_load_b128 v[2:5], v68 offset:416
	ds_load_b128 v[6:9], v67 offset:13312
	s_wait_dscnt 0x0
	v_mul_f64_e32 v[60:61], v[4:5], v[8:9]
	v_mul_f64_e32 v[62:63], v[2:3], v[8:9]
	s_delay_alu instid0(VALU_DEP_2) | instskip(NEXT) | instid1(VALU_DEP_2)
	v_fma_f64 v[60:61], v[2:3], v[6:7], -v[60:61]
	v_fmac_f64_e32 v[62:63], v[4:5], v[6:7]
	s_delay_alu instid0(VALU_DEP_2) | instskip(NEXT) | instid1(VALU_DEP_2)
	v_add_f64_e32 v[60:61], v[48:49], v[60:61]
	v_add_f64_e32 v[62:63], v[62:63], v[50:51]
	ds_load_b128 v[48:51], v67 offset:13568
	s_wait_dscnt 0x0
	v_mul_f64_e32 v[64:65], v[4:5], v[50:51]
	s_delay_alu instid0(VALU_DEP_1) | instskip(SKIP_1) | instid1(VALU_DEP_2)
	v_fma_f64 v[64:65], v[2:3], v[48:49], -v[64:65]
	v_mul_f64_e32 v[2:3], v[2:3], v[50:51]
	v_add_f64_e32 v[64:65], v[10:11], v[64:65]
	s_delay_alu instid0(VALU_DEP_2) | instskip(NEXT) | instid1(VALU_DEP_1)
	v_fmac_f64_e32 v[2:3], v[4:5], v[48:49]
	v_add_f64_e32 v[78:79], v[2:3], v[12:13]
	ds_load_b128 v[2:5], v68 offset:8608
	s_wait_dscnt 0x0
	v_mul_f64_e32 v[10:11], v[4:5], v[8:9]
	v_mul_f64_e32 v[8:9], v[2:3], v[8:9]
	s_delay_alu instid0(VALU_DEP_2) | instskip(NEXT) | instid1(VALU_DEP_2)
	v_fma_f64 v[10:11], v[2:3], v[6:7], -v[10:11]
	v_fmac_f64_e32 v[8:9], v[4:5], v[6:7]
	v_mul_f64_e32 v[6:7], v[4:5], v[50:51]
	s_delay_alu instid0(VALU_DEP_3) | instskip(NEXT) | instid1(VALU_DEP_3)
	v_add_f64_e32 v[10:11], v[52:53], v[10:11]
	v_add_f64_e32 v[12:13], v[8:9], v[54:55]
	s_delay_alu instid0(VALU_DEP_3) | instskip(SKIP_1) | instid1(VALU_DEP_1)
	v_fma_f64 v[6:7], v[2:3], v[48:49], -v[6:7]
	v_mul_f64_e32 v[2:3], v[2:3], v[50:51]
	v_fmac_f64_e32 v[2:3], v[4:5], v[48:49]
	s_delay_alu instid0(VALU_DEP_3) | instskip(NEXT) | instid1(VALU_DEP_2)
	v_add_f64_e32 v[48:49], v[56:57], v[6:7]
	v_add_f64_e32 v[50:51], v[2:3], v[58:59]
	ds_load_b128 v[2:5], v68 offset:432
	ds_load_b128 v[52:55], v67 offset:13824
	;; [unrolled: 1-line block ×3, first 2 shown]
	s_wait_dscnt 0x1
	v_mul_f64_e32 v[6:7], v[4:5], v[54:55]
	v_mul_f64_e32 v[8:9], v[2:3], v[54:55]
	s_delay_alu instid0(VALU_DEP_2) | instskip(NEXT) | instid1(VALU_DEP_2)
	v_fma_f64 v[6:7], v[2:3], v[52:53], -v[6:7]
	v_fmac_f64_e32 v[8:9], v[4:5], v[52:53]
	s_delay_alu instid0(VALU_DEP_2) | instskip(NEXT) | instid1(VALU_DEP_2)
	v_add_f64_e32 v[6:7], v[60:61], v[6:7]
	v_add_f64_e32 v[8:9], v[8:9], v[62:63]
	s_wait_dscnt 0x0
	v_mul_f64_e32 v[60:61], v[4:5], v[58:59]
	v_mul_f64_e32 v[62:63], v[2:3], v[58:59]
	s_delay_alu instid0(VALU_DEP_2) | instskip(NEXT) | instid1(VALU_DEP_2)
	v_fma_f64 v[60:61], v[2:3], v[56:57], -v[60:61]
	v_fmac_f64_e32 v[62:63], v[4:5], v[56:57]
	s_delay_alu instid0(VALU_DEP_2) | instskip(NEXT) | instid1(VALU_DEP_2)
	v_add_f64_e32 v[2:3], v[64:65], v[60:61]
	v_add_f64_e32 v[4:5], v[62:63], v[78:79]
	ds_load_b128 v[60:63], v68 offset:8624
	s_wait_dscnt 0x0
	v_mul_f64_e32 v[64:65], v[62:63], v[54:55]
	v_mul_f64_e32 v[54:55], v[60:61], v[54:55]
	s_delay_alu instid0(VALU_DEP_2) | instskip(NEXT) | instid1(VALU_DEP_2)
	v_fma_f64 v[64:65], v[60:61], v[52:53], -v[64:65]
	v_fmac_f64_e32 v[54:55], v[62:63], v[52:53]
	v_mul_f64_e32 v[52:53], v[62:63], v[58:59]
	s_delay_alu instid0(VALU_DEP_3) | instskip(NEXT) | instid1(VALU_DEP_3)
	v_add_f64_e32 v[10:11], v[10:11], v[64:65]
	v_add_f64_e32 v[12:13], v[54:55], v[12:13]
	v_mul_f64_e32 v[54:55], v[60:61], v[58:59]
	s_delay_alu instid0(VALU_DEP_4) | instskip(NEXT) | instid1(VALU_DEP_2)
	v_fma_f64 v[52:53], v[60:61], v[56:57], -v[52:53]
	v_fmac_f64_e32 v[54:55], v[62:63], v[56:57]
	s_delay_alu instid0(VALU_DEP_2) | instskip(NEXT) | instid1(VALU_DEP_2)
	v_add_f64_e32 v[52:53], v[48:49], v[52:53]
	v_add_f64_e32 v[54:55], v[54:55], v[50:51]
	ds_load_b128 v[48:51], v68 offset:448
	ds_load_b128 v[56:59], v67 offset:14336
	s_wait_dscnt 0x0
	v_mul_f64_e32 v[60:61], v[50:51], v[58:59]
	v_mul_f64_e32 v[62:63], v[48:49], v[58:59]
	s_delay_alu instid0(VALU_DEP_2) | instskip(NEXT) | instid1(VALU_DEP_2)
	v_fma_f64 v[60:61], v[48:49], v[56:57], -v[60:61]
	v_fmac_f64_e32 v[62:63], v[50:51], v[56:57]
	s_delay_alu instid0(VALU_DEP_2) | instskip(NEXT) | instid1(VALU_DEP_2)
	v_add_f64_e32 v[60:61], v[6:7], v[60:61]
	v_add_f64_e32 v[62:63], v[62:63], v[8:9]
	ds_load_b128 v[6:9], v67 offset:14592
	s_wait_dscnt 0x0
	v_mul_f64_e32 v[64:65], v[50:51], v[8:9]
	s_delay_alu instid0(VALU_DEP_1) | instskip(SKIP_1) | instid1(VALU_DEP_2)
	v_fma_f64 v[64:65], v[48:49], v[6:7], -v[64:65]
	v_mul_f64_e32 v[48:49], v[48:49], v[8:9]
	v_add_f64_e32 v[64:65], v[2:3], v[64:65]
	s_delay_alu instid0(VALU_DEP_2) | instskip(NEXT) | instid1(VALU_DEP_1)
	v_fmac_f64_e32 v[48:49], v[50:51], v[6:7]
	v_add_f64_e32 v[78:79], v[48:49], v[4:5]
	ds_load_b128 v[2:5], v68 offset:8640
	s_wait_dscnt 0x0
	v_mul_f64_e32 v[48:49], v[4:5], v[58:59]
	v_mul_f64_e32 v[50:51], v[2:3], v[58:59]
	s_delay_alu instid0(VALU_DEP_2) | instskip(NEXT) | instid1(VALU_DEP_2)
	v_fma_f64 v[48:49], v[2:3], v[56:57], -v[48:49]
	v_fmac_f64_e32 v[50:51], v[4:5], v[56:57]
	s_delay_alu instid0(VALU_DEP_2) | instskip(SKIP_1) | instid1(VALU_DEP_3)
	v_add_f64_e32 v[48:49], v[10:11], v[48:49]
	v_mul_f64_e32 v[10:11], v[4:5], v[8:9]
	v_add_f64_e32 v[50:51], v[50:51], v[12:13]
	s_delay_alu instid0(VALU_DEP_2) | instskip(SKIP_1) | instid1(VALU_DEP_2)
	v_fma_f64 v[10:11], v[2:3], v[6:7], -v[10:11]
	v_mul_f64_e32 v[2:3], v[2:3], v[8:9]
	v_add_f64_e32 v[10:11], v[52:53], v[10:11]
	s_delay_alu instid0(VALU_DEP_2) | instskip(NEXT) | instid1(VALU_DEP_1)
	v_fmac_f64_e32 v[2:3], v[4:5], v[6:7]
	v_add_f64_e32 v[12:13], v[2:3], v[54:55]
	ds_load_b128 v[52:55], v68 offset:464
	ds_load_b128 v[6:9], v67 offset:14848
	s_wait_dscnt 0x0
	v_mul_f64_e32 v[2:3], v[54:55], v[8:9]
	v_mul_f64_e32 v[4:5], v[52:53], v[8:9]
	s_delay_alu instid0(VALU_DEP_2) | instskip(NEXT) | instid1(VALU_DEP_2)
	v_fma_f64 v[2:3], v[52:53], v[6:7], -v[2:3]
	v_fmac_f64_e32 v[4:5], v[54:55], v[6:7]
	s_delay_alu instid0(VALU_DEP_2) | instskip(NEXT) | instid1(VALU_DEP_2)
	v_add_f64_e32 v[56:57], v[60:61], v[2:3]
	v_add_f64_e32 v[58:59], v[4:5], v[62:63]
	ds_load_b128 v[2:5], v67 offset:15104
	s_wait_dscnt 0x0
	v_mul_f64_e32 v[60:61], v[54:55], v[4:5]
	v_mul_f64_e32 v[62:63], v[52:53], v[4:5]
	s_delay_alu instid0(VALU_DEP_2) | instskip(NEXT) | instid1(VALU_DEP_2)
	v_fma_f64 v[60:61], v[52:53], v[2:3], -v[60:61]
	v_fmac_f64_e32 v[62:63], v[54:55], v[2:3]
	s_delay_alu instid0(VALU_DEP_2) | instskip(NEXT) | instid1(VALU_DEP_2)
	v_add_f64_e32 v[52:53], v[64:65], v[60:61]
	v_add_f64_e32 v[54:55], v[62:63], v[78:79]
	ds_load_b128 v[60:63], v68 offset:8656
	s_wait_dscnt 0x0
	v_mul_f64_e32 v[64:65], v[62:63], v[8:9]
	v_mul_f64_e32 v[8:9], v[60:61], v[8:9]
	s_delay_alu instid0(VALU_DEP_2) | instskip(NEXT) | instid1(VALU_DEP_2)
	v_fma_f64 v[64:65], v[60:61], v[6:7], -v[64:65]
	v_fmac_f64_e32 v[8:9], v[62:63], v[6:7]
	v_mul_f64_e32 v[6:7], v[62:63], v[4:5]
	v_mul_f64_e32 v[4:5], v[60:61], v[4:5]
	s_delay_alu instid0(VALU_DEP_4) | instskip(NEXT) | instid1(VALU_DEP_4)
	v_add_f64_e32 v[64:65], v[48:49], v[64:65]
	v_add_f64_e32 v[78:79], v[8:9], v[50:51]
	s_delay_alu instid0(VALU_DEP_4) | instskip(NEXT) | instid1(VALU_DEP_4)
	v_fma_f64 v[6:7], v[60:61], v[2:3], -v[6:7]
	v_fmac_f64_e32 v[4:5], v[62:63], v[2:3]
	s_delay_alu instid0(VALU_DEP_2)
	v_add_f64_e32 v[62:63], v[10:11], v[6:7]
	ds_load_b128 v[6:9], v68 offset:480
	ds_load_b128 v[48:51], v67 offset:15360
	v_add_f64_e32 v[80:81], v[4:5], v[12:13]
	s_wait_dscnt 0x0
	v_mul_f64_e32 v[2:3], v[8:9], v[50:51]
	v_mul_f64_e32 v[4:5], v[6:7], v[50:51]
	s_delay_alu instid0(VALU_DEP_2) | instskip(NEXT) | instid1(VALU_DEP_2)
	v_fma_f64 v[2:3], v[6:7], v[48:49], -v[2:3]
	v_fmac_f64_e32 v[4:5], v[8:9], v[48:49]
	s_delay_alu instid0(VALU_DEP_2) | instskip(NEXT) | instid1(VALU_DEP_2)
	v_add_f64_e32 v[2:3], v[56:57], v[2:3]
	v_add_f64_e32 v[4:5], v[4:5], v[58:59]
	ds_load_b128 v[56:59], v67 offset:15616
	s_wait_dscnt 0x0
	v_mul_f64_e32 v[10:11], v[8:9], v[58:59]
	s_delay_alu instid0(VALU_DEP_1) | instskip(SKIP_1) | instid1(VALU_DEP_2)
	v_fma_f64 v[10:11], v[6:7], v[56:57], -v[10:11]
	v_mul_f64_e32 v[6:7], v[6:7], v[58:59]
	v_add_f64_e32 v[10:11], v[52:53], v[10:11]
	s_delay_alu instid0(VALU_DEP_2) | instskip(NEXT) | instid1(VALU_DEP_1)
	v_fmac_f64_e32 v[6:7], v[8:9], v[56:57]
	v_add_f64_e32 v[12:13], v[6:7], v[54:55]
	ds_load_b128 v[6:9], v68 offset:8672
	s_wait_dscnt 0x0
	v_mul_f64_e32 v[52:53], v[8:9], v[50:51]
	v_mul_f64_e32 v[50:51], v[6:7], v[50:51]
	s_delay_alu instid0(VALU_DEP_2) | instskip(NEXT) | instid1(VALU_DEP_2)
	v_fma_f64 v[52:53], v[6:7], v[48:49], -v[52:53]
	v_fmac_f64_e32 v[50:51], v[8:9], v[48:49]
	v_mul_f64_e32 v[48:49], v[8:9], v[58:59]
	s_delay_alu instid0(VALU_DEP_3) | instskip(NEXT) | instid1(VALU_DEP_3)
	v_add_f64_e32 v[60:61], v[64:65], v[52:53]
	v_add_f64_e32 v[64:65], v[50:51], v[78:79]
	s_delay_alu instid0(VALU_DEP_3) | instskip(SKIP_1) | instid1(VALU_DEP_1)
	v_fma_f64 v[48:49], v[6:7], v[56:57], -v[48:49]
	v_mul_f64_e32 v[6:7], v[6:7], v[58:59]
	v_fmac_f64_e32 v[6:7], v[8:9], v[56:57]
	s_delay_alu instid0(VALU_DEP_3) | instskip(NEXT) | instid1(VALU_DEP_2)
	v_add_f64_e32 v[56:57], v[62:63], v[48:49]
	v_add_f64_e32 v[58:59], v[6:7], v[80:81]
	ds_load_b128 v[48:51], v68 offset:496
	ds_load_b128 v[6:9], v67 offset:15872
	s_wait_dscnt 0x0
	v_mul_f64_e32 v[52:53], v[50:51], v[8:9]
	v_mul_f64_e32 v[54:55], v[48:49], v[8:9]
	s_delay_alu instid0(VALU_DEP_2) | instskip(NEXT) | instid1(VALU_DEP_2)
	v_fma_f64 v[52:53], v[48:49], v[6:7], -v[52:53]
	v_fmac_f64_e32 v[54:55], v[50:51], v[6:7]
	s_delay_alu instid0(VALU_DEP_2) | instskip(NEXT) | instid1(VALU_DEP_2)
	v_add_f64_e32 v[52:53], v[2:3], v[52:53]
	v_add_f64_e32 v[54:55], v[54:55], v[4:5]
	ds_load_b128 v[2:5], v67 offset:16128
	s_wait_dscnt 0x0
	v_mul_f64_e32 v[62:63], v[50:51], v[4:5]
	v_mul_f64_e32 v[78:79], v[48:49], v[4:5]
	s_delay_alu instid0(VALU_DEP_2) | instskip(NEXT) | instid1(VALU_DEP_2)
	v_fma_f64 v[62:63], v[48:49], v[2:3], -v[62:63]
	v_fmac_f64_e32 v[78:79], v[50:51], v[2:3]
	s_delay_alu instid0(VALU_DEP_2) | instskip(NEXT) | instid1(VALU_DEP_2)
	v_add_f64_e32 v[48:49], v[10:11], v[62:63]
	v_add_f64_e32 v[50:51], v[78:79], v[12:13]
	ds_load_b128 v[10:13], v68 offset:8688
	s_wait_dscnt 0x0
	s_barrier_signal -1
	s_barrier_wait -1
	v_mul_f64_e32 v[62:63], v[12:13], v[8:9]
	v_mul_f64_e32 v[8:9], v[10:11], v[8:9]
	s_delay_alu instid0(VALU_DEP_2) | instskip(NEXT) | instid1(VALU_DEP_2)
	v_fma_f64 v[62:63], v[10:11], v[6:7], -v[62:63]
	v_fmac_f64_e32 v[8:9], v[12:13], v[6:7]
	v_mul_f64_e32 v[6:7], v[12:13], v[4:5]
	v_mul_f64_e32 v[4:5], v[10:11], v[4:5]
	s_delay_alu instid0(VALU_DEP_4) | instskip(NEXT) | instid1(VALU_DEP_4)
	v_add_f64_e32 v[62:63], v[60:61], v[62:63]
	v_add_f64_e32 v[60:61], v[8:9], v[64:65]
	s_delay_alu instid0(VALU_DEP_4) | instskip(NEXT) | instid1(VALU_DEP_4)
	v_fma_f64 v[6:7], v[10:11], v[2:3], -v[6:7]
	v_fmac_f64_e32 v[4:5], v[12:13], v[2:3]
	s_delay_alu instid0(VALU_DEP_2) | instskip(NEXT) | instid1(VALU_DEP_2)
	v_add_f64_e32 v[64:65], v[56:57], v[6:7]
	v_add_f64_e32 v[56:57], v[4:5], v[58:59]
	s_cbranch_scc1 .LBB113_59
.LBB113_10:                             ;   Parent Loop BB113_4 Depth=1
                                        ;     Parent Loop BB113_7 Depth=2
                                        ; =>    This Inner Loop Header: Depth=3
	v_add_nc_u64_e32 v[6:7], s[46:47], v[16:17]
	v_cmp_eq_u64_e64 s7, s[46:47], v[22:23]
	v_add_nc_u64_e32 v[4:5], s[36:37], v[36:37]
	s_delay_alu instid0(VALU_DEP_3) | instskip(SKIP_3) | instid1(SALU_CYCLE_1)
	v_cmp_le_i64_e64 s6, s[42:43], v[6:7]
	v_cmp_lt_i64_e64 s5, v[6:7], v[14:15]
	s_and_b32 s56, s52, s7
	s_or_b32 s7, s6, s5
	s_or_b32 s7, s7, s56
	s_delay_alu instid0(SALU_CYCLE_1) | instskip(NEXT) | instid1(SALU_CYCLE_1)
	s_nor_b32 s7, s0, s7
	s_and_saveexec_b32 s8, s7
	s_delay_alu instid0(SALU_CYCLE_1)
	s_xor_b32 s7, exec_lo, s8
	s_cbranch_execz .LBB113_12
; %bb.11:                               ;   in Loop: Header=BB113_10 Depth=3
	global_load_b128 v[8:11], v[4:5], off offset:-256
	s_wait_loadcnt 0x0
	ds_store_2addr_b64 v69, v[8:9], v[10:11] offset1:1
.LBB113_12:                             ;   in Loop: Header=BB113_10 Depth=3
	s_wait_xcnt 0x0
	s_or_saveexec_b32 s7, s7
	s_xor_b32 s55, s56, -1
	s_xor_b32 exec_lo, exec_lo, s7
	s_cbranch_execz .LBB113_18
; %bb.13:                               ;   in Loop: Header=BB113_10 Depth=3
	s_and_saveexec_b32 s8, s55
	s_delay_alu instid0(SALU_CYCLE_1)
	s_xor_b32 s8, exec_lo, s8
; %bb.14:                               ;   in Loop: Header=BB113_10 Depth=3
	v_dual_mov_b32 v8, v0 :: v_dual_mov_b32 v9, v0
	v_dual_mov_b32 v10, v0 :: v_dual_mov_b32 v11, v0
	ds_store_b128 v69, v[8:11]
; %bb.15:                               ;   in Loop: Header=BB113_10 Depth=3
	s_and_not1_saveexec_b32 s8, s8
; %bb.16:                               ;   in Loop: Header=BB113_10 Depth=3
	v_dual_mov_b32 v2, v0 :: v_dual_mov_b32 v3, v0
	ds_store_b128 v69, v[0:3]
; %bb.17:                               ;   in Loop: Header=BB113_10 Depth=3
	s_or_b32 exec_lo, exec_lo, s8
.LBB113_18:                             ;   in Loop: Header=BB113_10 Depth=3
	s_delay_alu instid0(SALU_CYCLE_1)
	s_or_b32 exec_lo, exec_lo, s7
	v_cmp_eq_u64_e64 s7, s[46:47], v[24:25]
	v_cmp_gt_i64_e64 s8, v[20:21], v[6:7]
	v_add_nc_u64_e32 v[8:9], s[36:37], v[38:39]
	s_and_b32 s7, s52, s7
	s_or_b32 s6, s6, s8
	s_delay_alu instid0(SALU_CYCLE_1) | instskip(NEXT) | instid1(SALU_CYCLE_1)
	s_or_b32 s6, s6, s7
	s_nor_b32 s6, s3, s6
	s_delay_alu instid0(SALU_CYCLE_1) | instskip(NEXT) | instid1(SALU_CYCLE_1)
	s_and_saveexec_b32 s8, s6
	s_xor_b32 s6, exec_lo, s8
	s_cbranch_execz .LBB113_20
; %bb.19:                               ;   in Loop: Header=BB113_10 Depth=3
	global_load_b128 v[10:13], v[8:9], off
	s_wait_loadcnt 0x0
	ds_store_2addr_b64 v71, v[10:11], v[12:13] offset1:1
.LBB113_20:                             ;   in Loop: Header=BB113_10 Depth=3
	s_wait_xcnt 0x0
	s_and_not1_saveexec_b32 s6, s6
	s_cbranch_execz .LBB113_26
; %bb.21:                               ;   in Loop: Header=BB113_10 Depth=3
	s_xor_b32 s7, s7, -1
	s_delay_alu instid0(SALU_CYCLE_1) | instskip(NEXT) | instid1(SALU_CYCLE_1)
	s_and_saveexec_b32 s8, s7
	s_xor_b32 s7, exec_lo, s8
; %bb.22:                               ;   in Loop: Header=BB113_10 Depth=3
	v_dual_mov_b32 v10, v0 :: v_dual_mov_b32 v11, v0
	v_dual_mov_b32 v12, v0 :: v_dual_mov_b32 v13, v0
	ds_store_b128 v69, v[10:13] offset:256
; %bb.23:                               ;   in Loop: Header=BB113_10 Depth=3
	s_and_not1_saveexec_b32 s7, s7
; %bb.24:                               ;   in Loop: Header=BB113_10 Depth=3
	v_dual_mov_b32 v2, v0 :: v_dual_mov_b32 v3, v0
	ds_store_b128 v69, v[0:3] offset:256
; %bb.25:                               ;   in Loop: Header=BB113_10 Depth=3
	s_or_b32 exec_lo, exec_lo, s7
.LBB113_26:                             ;   in Loop: Header=BB113_10 Depth=3
	s_delay_alu instid0(SALU_CYCLE_1) | instskip(SKIP_2) | instid1(VALU_DEP_2)
	s_or_b32 exec_lo, exec_lo, s6
	v_add_nc_u64_e32 v[2:3], 16, v[6:7]
	v_cmp_eq_u64_e64 s7, s[46:47], v[26:27]
	v_cmp_le_i64_e64 s6, s[42:43], v[2:3]
	v_cmp_lt_i64_e64 s8, v[2:3], v[14:15]
	s_and_b32 s57, s52, s7
	s_or_b32 s7, s6, s8
	s_delay_alu instid0(SALU_CYCLE_1) | instskip(NEXT) | instid1(SALU_CYCLE_1)
	s_or_b32 s7, s7, s57
	s_nor_b32 s7, s0, s7
	s_delay_alu instid0(SALU_CYCLE_1) | instskip(NEXT) | instid1(SALU_CYCLE_1)
	s_and_saveexec_b32 s8, s7
	s_xor_b32 s7, exec_lo, s8
	s_cbranch_execz .LBB113_28
; %bb.27:                               ;   in Loop: Header=BB113_10 Depth=3
	global_load_b128 v[2:5], v[4:5], off
	s_wait_loadcnt 0x0
	ds_store_2addr_b64 v72, v[2:3], v[4:5] offset1:1
.LBB113_28:                             ;   in Loop: Header=BB113_10 Depth=3
	s_wait_xcnt 0x0
	s_and_not1_saveexec_b32 s7, s7
	s_cbranch_execz .LBB113_34
; %bb.29:                               ;   in Loop: Header=BB113_10 Depth=3
	s_xor_b32 s8, s57, -1
	s_delay_alu instid0(SALU_CYCLE_1) | instskip(NEXT) | instid1(SALU_CYCLE_1)
	s_and_saveexec_b32 s57, s8
	s_xor_b32 s8, exec_lo, s57
; %bb.30:                               ;   in Loop: Header=BB113_10 Depth=3
	v_dual_mov_b32 v2, v0 :: v_dual_mov_b32 v3, v0
	v_dual_mov_b32 v4, v0 :: v_dual_mov_b32 v5, v0
	ds_store_b128 v69, v[2:5] offset:8192
; %bb.31:                               ;   in Loop: Header=BB113_10 Depth=3
	s_and_not1_saveexec_b32 s8, s8
; %bb.32:                               ;   in Loop: Header=BB113_10 Depth=3
	v_dual_mov_b32 v2, v0 :: v_dual_mov_b32 v3, v0
	ds_store_b128 v69, v[0:3] offset:8192
; %bb.33:                               ;   in Loop: Header=BB113_10 Depth=3
	s_or_b32 exec_lo, exec_lo, s8
.LBB113_34:                             ;   in Loop: Header=BB113_10 Depth=3
	s_delay_alu instid0(SALU_CYCLE_1) | instskip(SKIP_1) | instid1(SALU_CYCLE_1)
	s_or_b32 exec_lo, exec_lo, s7
	s_or_b32 s5, s6, s5
	s_or_b32 s5, s5, s56
	s_delay_alu instid0(SALU_CYCLE_1) | instskip(NEXT) | instid1(SALU_CYCLE_1)
	s_nor_b32 s5, s3, s5
	s_and_saveexec_b32 s6, s5
	s_delay_alu instid0(SALU_CYCLE_1)
	s_xor_b32 s5, exec_lo, s6
	s_cbranch_execz .LBB113_36
; %bb.35:                               ;   in Loop: Header=BB113_10 Depth=3
	global_load_b128 v[2:5], v[8:9], off offset:256
	s_wait_loadcnt 0x0
	ds_store_2addr_b64 v73, v[2:3], v[4:5] offset1:1
.LBB113_36:                             ;   in Loop: Header=BB113_10 Depth=3
	s_wait_xcnt 0x0
	s_and_not1_saveexec_b32 s5, s5
	s_cbranch_execz .LBB113_42
; %bb.37:                               ;   in Loop: Header=BB113_10 Depth=3
	s_and_saveexec_b32 s6, s55
	s_delay_alu instid0(SALU_CYCLE_1)
	s_xor_b32 s6, exec_lo, s6
; %bb.38:                               ;   in Loop: Header=BB113_10 Depth=3
	v_dual_mov_b32 v2, v0 :: v_dual_mov_b32 v3, v0
	v_dual_mov_b32 v4, v0 :: v_dual_mov_b32 v5, v0
	ds_store_b128 v69, v[2:5] offset:8448
; %bb.39:                               ;   in Loop: Header=BB113_10 Depth=3
	s_and_not1_saveexec_b32 s6, s6
; %bb.40:                               ;   in Loop: Header=BB113_10 Depth=3
	v_dual_mov_b32 v2, v0 :: v_dual_mov_b32 v3, v0
	ds_store_b128 v69, v[0:3] offset:8448
; %bb.41:                               ;   in Loop: Header=BB113_10 Depth=3
	s_or_b32 exec_lo, exec_lo, s6
.LBB113_42:                             ;   in Loop: Header=BB113_10 Depth=3
	s_delay_alu instid0(SALU_CYCLE_1) | instskip(SKIP_1) | instid1(VALU_DEP_1)
	s_or_b32 exec_lo, exec_lo, s5
	v_add_nc_u64_e32 v[2:3], s[46:47], v[14:15]
	v_cmp_gt_i64_e64 s5, s[42:43], v[2:3]
	s_and_b32 s6, vcc_lo, s5
	s_delay_alu instid0(SALU_CYCLE_1) | instskip(NEXT) | instid1(SALU_CYCLE_1)
	s_xor_b32 s6, s6, -1
	s_and_saveexec_b32 s7, s6
	s_delay_alu instid0(SALU_CYCLE_1)
	s_xor_b32 s6, exec_lo, s7
; %bb.43:                               ;   in Loop: Header=BB113_10 Depth=3
	v_dual_mov_b32 v4, v0 :: v_dual_mov_b32 v5, v0
	v_dual_mov_b32 v6, v0 :: v_dual_mov_b32 v7, v0
	ds_store_b128 v70, v[4:7]
; %bb.44:                               ;   in Loop: Header=BB113_10 Depth=3
	s_or_saveexec_b32 s6, s6
	v_add_nc_u64_e32 v[4:5], s[36:37], v[44:45]
	s_xor_b32 exec_lo, exec_lo, s6
	s_cbranch_execz .LBB113_46
; %bb.45:                               ;   in Loop: Header=BB113_10 Depth=3
	global_load_b128 v[6:9], v[4:5], off offset:-256
	s_wait_loadcnt 0x0
	ds_store_2addr_b64 v70, v[6:7], v[8:9] offset1:1
.LBB113_46:                             ;   in Loop: Header=BB113_10 Depth=3
	s_wait_xcnt 0x0
	s_or_b32 exec_lo, exec_lo, s6
	v_cmp_gt_i64_e64 s6, s[20:21], v[2:3]
	s_and_b32 s7, vcc_lo, s6
	s_delay_alu instid0(SALU_CYCLE_1) | instskip(NEXT) | instid1(SALU_CYCLE_1)
	s_xor_b32 s7, s7, -1
	s_and_saveexec_b32 s8, s7
	s_delay_alu instid0(SALU_CYCLE_1)
	s_xor_b32 s7, exec_lo, s8
; %bb.47:                               ;   in Loop: Header=BB113_10 Depth=3
	v_dual_mov_b32 v2, v0 :: v_dual_mov_b32 v3, v0
	v_dual_mov_b32 v4, v0 :: v_dual_mov_b32 v5, v0
	ds_store_b128 v70, v[2:5] offset:256
                                        ; implicit-def: $vgpr4_vgpr5
; %bb.48:                               ;   in Loop: Header=BB113_10 Depth=3
	s_and_not1_saveexec_b32 s7, s7
	s_cbranch_execz .LBB113_50
; %bb.49:                               ;   in Loop: Header=BB113_10 Depth=3
	global_load_b128 v[2:5], v[4:5], off
	s_wait_loadcnt 0x0
	ds_store_2addr_b64 v74, v[2:3], v[4:5] offset1:1
.LBB113_50:                             ;   in Loop: Header=BB113_10 Depth=3
	s_wait_xcnt 0x0
	s_or_b32 exec_lo, exec_lo, s7
	s_and_b32 s5, s4, s5
	s_delay_alu instid0(SALU_CYCLE_1) | instskip(NEXT) | instid1(SALU_CYCLE_1)
	s_xor_b32 s5, s5, -1
	s_and_saveexec_b32 s7, s5
	s_delay_alu instid0(SALU_CYCLE_1)
	s_xor_b32 s5, exec_lo, s7
; %bb.51:                               ;   in Loop: Header=BB113_10 Depth=3
	v_dual_mov_b32 v2, v0 :: v_dual_mov_b32 v3, v0
	v_dual_mov_b32 v4, v0 :: v_dual_mov_b32 v5, v0
	ds_store_b128 v70, v[2:5] offset:8192
; %bb.52:                               ;   in Loop: Header=BB113_10 Depth=3
	s_or_saveexec_b32 s5, s5
	v_add_nc_u64_e32 v[2:3], s[36:37], v[46:47]
	s_xor_b32 exec_lo, exec_lo, s5
	s_cbranch_execz .LBB113_54
; %bb.53:                               ;   in Loop: Header=BB113_10 Depth=3
	global_load_b128 v[4:7], v[2:3], off offset:-256
	s_wait_loadcnt 0x0
	ds_store_2addr_b64 v75, v[4:5], v[6:7] offset1:1
.LBB113_54:                             ;   in Loop: Header=BB113_10 Depth=3
	s_wait_xcnt 0x0
	s_or_b32 exec_lo, exec_lo, s5
	s_and_b32 s5, s4, s6
	s_delay_alu instid0(SALU_CYCLE_1) | instskip(NEXT) | instid1(SALU_CYCLE_1)
	s_xor_b32 s5, s5, -1
	s_and_saveexec_b32 s6, s5
	s_delay_alu instid0(SALU_CYCLE_1)
	s_xor_b32 s5, exec_lo, s6
; %bb.55:                               ;   in Loop: Header=BB113_10 Depth=3
	v_dual_mov_b32 v2, v0 :: v_dual_mov_b32 v3, v0
	v_dual_mov_b32 v4, v0 :: v_dual_mov_b32 v5, v0
	ds_store_b128 v70, v[2:5] offset:8448
                                        ; implicit-def: $vgpr2_vgpr3
; %bb.56:                               ;   in Loop: Header=BB113_10 Depth=3
	s_and_not1_saveexec_b32 s5, s5
	s_cbranch_execz .LBB113_9
; %bb.57:                               ;   in Loop: Header=BB113_10 Depth=3
	global_load_b128 v[2:5], v[2:3], off
	s_wait_loadcnt 0x0
	ds_store_2addr_b64 v76, v[2:3], v[4:5] offset1:1
	s_branch .LBB113_9
.LBB113_58:                             ;   in Loop: Header=BB113_7 Depth=2
	v_mov_b64_e32 v[52:53], 0
	v_mov_b64_e32 v[54:55], 0
	;; [unrolled: 1-line block ×8, first 2 shown]
.LBB113_59:                             ;   in Loop: Header=BB113_7 Depth=2
	v_mul_u64_e32 v[2:3], s[24:25], v[42:43]
	v_cmp_gt_i32_e32 vcc_lo, s38, v42
	s_and_b32 s5, s1, vcc_lo
	s_delay_alu instid0(VALU_DEP_2)
	v_lshl_add_u64 v[2:3], v[2:3], 4, s[22:23]
	s_and_saveexec_b32 s4, s5
	s_cbranch_execz .LBB113_61
; %bb.60:                               ;   in Loop: Header=BB113_7 Depth=2
	s_delay_alu instid0(VALU_DEP_1)
	v_lshl_add_u64 v[8:9], v[14:15], 4, v[2:3]
	v_mul_f64_e32 v[10:11], s[30:31], v[54:55]
	v_mul_f64_e32 v[12:13], s[28:29], v[54:55]
	global_load_b128 v[4:7], v[8:9], off
	v_fma_f64 v[10:11], s[28:29], v[52:53], -v[10:11]
	v_fmac_f64_e32 v[12:13], s[30:31], v[52:53]
	s_wait_loadcnt 0x0
	s_delay_alu instid0(VALU_DEP_2) | instskip(NEXT) | instid1(VALU_DEP_2)
	v_add_f64_e32 v[4:5], v[4:5], v[10:11]
	v_add_f64_e32 v[6:7], v[12:13], v[6:7]
	global_store_b128 v[8:9], v[4:7], off
.LBB113_61:                             ;   in Loop: Header=BB113_7 Depth=2
	s_wait_xcnt 0x0
	s_or_b32 exec_lo, exec_lo, s4
	s_and_b32 s5, s2, vcc_lo
	s_delay_alu instid0(SALU_CYCLE_1)
	s_and_saveexec_b32 s4, s5
	s_cbranch_execz .LBB113_63
; %bb.62:                               ;   in Loop: Header=BB113_7 Depth=2
	v_lshl_add_u64 v[6:7], v[18:19], 4, v[2:3]
	v_mul_f64_e32 v[8:9], s[30:31], v[50:51]
	v_mul_f64_e32 v[10:11], s[28:29], v[50:51]
	global_load_b128 v[2:5], v[6:7], off
	v_fma_f64 v[8:9], s[28:29], v[48:49], -v[8:9]
	v_fmac_f64_e32 v[10:11], s[30:31], v[48:49]
	s_wait_loadcnt 0x0
	s_delay_alu instid0(VALU_DEP_2) | instskip(NEXT) | instid1(VALU_DEP_2)
	v_add_f64_e32 v[2:3], v[2:3], v[8:9]
	v_add_f64_e32 v[4:5], v[10:11], v[4:5]
	global_store_b128 v[6:7], v[2:5], off
.LBB113_63:                             ;   in Loop: Header=BB113_7 Depth=2
	s_wait_xcnt 0x0
	s_or_b32 exec_lo, exec_lo, s4
	v_add_nc_u32_e32 v2, 16, v42
	s_delay_alu instid0(VALU_DEP_1) | instskip(SKIP_1) | instid1(VALU_DEP_2)
	v_ashrrev_i32_e32 v3, 31, v2
	v_cmp_gt_i32_e32 vcc_lo, s38, v2
	v_mul_u64_e32 v[4:5], s[24:25], v[2:3]
	s_and_b32 s5, s1, vcc_lo
	s_delay_alu instid0(VALU_DEP_1)
	v_lshl_add_u64 v[2:3], v[4:5], 4, s[22:23]
	s_and_saveexec_b32 s4, s5
	s_cbranch_execz .LBB113_65
; %bb.64:                               ;   in Loop: Header=BB113_7 Depth=2
	s_delay_alu instid0(VALU_DEP_1)
	v_lshl_add_u64 v[8:9], v[14:15], 4, v[2:3]
	v_mul_f64_e32 v[10:11], s[30:31], v[60:61]
	v_mul_f64_e32 v[12:13], s[28:29], v[60:61]
	global_load_b128 v[4:7], v[8:9], off
	v_fma_f64 v[10:11], s[28:29], v[62:63], -v[10:11]
	v_fmac_f64_e32 v[12:13], s[30:31], v[62:63]
	s_wait_loadcnt 0x0
	s_delay_alu instid0(VALU_DEP_2) | instskip(NEXT) | instid1(VALU_DEP_2)
	v_add_f64_e32 v[4:5], v[4:5], v[10:11]
	v_add_f64_e32 v[6:7], v[12:13], v[6:7]
	global_store_b128 v[8:9], v[4:7], off
.LBB113_65:                             ;   in Loop: Header=BB113_7 Depth=2
	s_wait_xcnt 0x0
	s_or_b32 exec_lo, exec_lo, s4
	s_and_b32 s5, s2, vcc_lo
	s_delay_alu instid0(SALU_CYCLE_1)
	s_and_saveexec_b32 s4, s5
	s_cbranch_execz .LBB113_6
; %bb.66:                               ;   in Loop: Header=BB113_7 Depth=2
	v_lshl_add_u64 v[6:7], v[18:19], 4, v[2:3]
	v_mul_f64_e32 v[8:9], s[30:31], v[56:57]
	v_mul_f64_e32 v[10:11], s[28:29], v[56:57]
	global_load_b128 v[2:5], v[6:7], off
	v_fma_f64 v[8:9], s[28:29], v[64:65], -v[8:9]
	v_fmac_f64_e32 v[10:11], s[30:31], v[64:65]
	s_wait_loadcnt 0x0
	s_delay_alu instid0(VALU_DEP_2) | instskip(NEXT) | instid1(VALU_DEP_2)
	v_add_f64_e32 v[2:3], v[2:3], v[8:9]
	v_add_f64_e32 v[4:5], v[10:11], v[4:5]
	global_store_b128 v[6:7], v[2:5], off
	s_branch .LBB113_6
.LBB113_67:
	s_sendmsg sendmsg(MSG_DEALLOC_VGPRS)
	s_endpgm
	.section	.rodata,"a",@progbits
	.p2align	6, 0x0
	.amdhsa_kernel _ZL30rocblas_trmm_outofplace_kernelI19rocblas_complex_numIdELi32ELi2ELb1ELb0ELb1ELb0ES1_KS1_S1_Ev17rocblas_diagonal_iiT6_lPT7_lllS6_lllPT8_llli
		.amdhsa_group_segment_fixed_size 32768
		.amdhsa_private_segment_fixed_size 0
		.amdhsa_kernarg_size 400
		.amdhsa_user_sgpr_count 2
		.amdhsa_user_sgpr_dispatch_ptr 0
		.amdhsa_user_sgpr_queue_ptr 0
		.amdhsa_user_sgpr_kernarg_segment_ptr 1
		.amdhsa_user_sgpr_dispatch_id 0
		.amdhsa_user_sgpr_kernarg_preload_length 0
		.amdhsa_user_sgpr_kernarg_preload_offset 0
		.amdhsa_user_sgpr_private_segment_size 0
		.amdhsa_wavefront_size32 1
		.amdhsa_uses_dynamic_stack 0
		.amdhsa_enable_private_segment 0
		.amdhsa_system_sgpr_workgroup_id_x 1
		.amdhsa_system_sgpr_workgroup_id_y 1
		.amdhsa_system_sgpr_workgroup_id_z 1
		.amdhsa_system_sgpr_workgroup_info 0
		.amdhsa_system_vgpr_workitem_id 1
		.amdhsa_next_free_vgpr 92
		.amdhsa_next_free_sgpr 58
		.amdhsa_named_barrier_count 0
		.amdhsa_reserve_vcc 1
		.amdhsa_float_round_mode_32 0
		.amdhsa_float_round_mode_16_64 0
		.amdhsa_float_denorm_mode_32 3
		.amdhsa_float_denorm_mode_16_64 3
		.amdhsa_fp16_overflow 0
		.amdhsa_memory_ordered 1
		.amdhsa_forward_progress 1
		.amdhsa_inst_pref_size 67
		.amdhsa_round_robin_scheduling 0
		.amdhsa_exception_fp_ieee_invalid_op 0
		.amdhsa_exception_fp_denorm_src 0
		.amdhsa_exception_fp_ieee_div_zero 0
		.amdhsa_exception_fp_ieee_overflow 0
		.amdhsa_exception_fp_ieee_underflow 0
		.amdhsa_exception_fp_ieee_inexact 0
		.amdhsa_exception_int_div_zero 0
	.end_amdhsa_kernel
	.section	.text._ZL30rocblas_trmm_outofplace_kernelI19rocblas_complex_numIdELi32ELi2ELb1ELb0ELb1ELb0ES1_KS1_S1_Ev17rocblas_diagonal_iiT6_lPT7_lllS6_lllPT8_llli,"axG",@progbits,_ZL30rocblas_trmm_outofplace_kernelI19rocblas_complex_numIdELi32ELi2ELb1ELb0ELb1ELb0ES1_KS1_S1_Ev17rocblas_diagonal_iiT6_lPT7_lllS6_lllPT8_llli,comdat
.Lfunc_end113:
	.size	_ZL30rocblas_trmm_outofplace_kernelI19rocblas_complex_numIdELi32ELi2ELb1ELb0ELb1ELb0ES1_KS1_S1_Ev17rocblas_diagonal_iiT6_lPT7_lllS6_lllPT8_llli, .Lfunc_end113-_ZL30rocblas_trmm_outofplace_kernelI19rocblas_complex_numIdELi32ELi2ELb1ELb0ELb1ELb0ES1_KS1_S1_Ev17rocblas_diagonal_iiT6_lPT7_lllS6_lllPT8_llli
                                        ; -- End function
	.set _ZL30rocblas_trmm_outofplace_kernelI19rocblas_complex_numIdELi32ELi2ELb1ELb0ELb1ELb0ES1_KS1_S1_Ev17rocblas_diagonal_iiT6_lPT7_lllS6_lllPT8_llli.num_vgpr, 92
	.set _ZL30rocblas_trmm_outofplace_kernelI19rocblas_complex_numIdELi32ELi2ELb1ELb0ELb1ELb0ES1_KS1_S1_Ev17rocblas_diagonal_iiT6_lPT7_lllS6_lllPT8_llli.num_agpr, 0
	.set _ZL30rocblas_trmm_outofplace_kernelI19rocblas_complex_numIdELi32ELi2ELb1ELb0ELb1ELb0ES1_KS1_S1_Ev17rocblas_diagonal_iiT6_lPT7_lllS6_lllPT8_llli.numbered_sgpr, 58
	.set _ZL30rocblas_trmm_outofplace_kernelI19rocblas_complex_numIdELi32ELi2ELb1ELb0ELb1ELb0ES1_KS1_S1_Ev17rocblas_diagonal_iiT6_lPT7_lllS6_lllPT8_llli.num_named_barrier, 0
	.set _ZL30rocblas_trmm_outofplace_kernelI19rocblas_complex_numIdELi32ELi2ELb1ELb0ELb1ELb0ES1_KS1_S1_Ev17rocblas_diagonal_iiT6_lPT7_lllS6_lllPT8_llli.private_seg_size, 0
	.set _ZL30rocblas_trmm_outofplace_kernelI19rocblas_complex_numIdELi32ELi2ELb1ELb0ELb1ELb0ES1_KS1_S1_Ev17rocblas_diagonal_iiT6_lPT7_lllS6_lllPT8_llli.uses_vcc, 1
	.set _ZL30rocblas_trmm_outofplace_kernelI19rocblas_complex_numIdELi32ELi2ELb1ELb0ELb1ELb0ES1_KS1_S1_Ev17rocblas_diagonal_iiT6_lPT7_lllS6_lllPT8_llli.uses_flat_scratch, 0
	.set _ZL30rocblas_trmm_outofplace_kernelI19rocblas_complex_numIdELi32ELi2ELb1ELb0ELb1ELb0ES1_KS1_S1_Ev17rocblas_diagonal_iiT6_lPT7_lllS6_lllPT8_llli.has_dyn_sized_stack, 0
	.set _ZL30rocblas_trmm_outofplace_kernelI19rocblas_complex_numIdELi32ELi2ELb1ELb0ELb1ELb0ES1_KS1_S1_Ev17rocblas_diagonal_iiT6_lPT7_lllS6_lllPT8_llli.has_recursion, 0
	.set _ZL30rocblas_trmm_outofplace_kernelI19rocblas_complex_numIdELi32ELi2ELb1ELb0ELb1ELb0ES1_KS1_S1_Ev17rocblas_diagonal_iiT6_lPT7_lllS6_lllPT8_llli.has_indirect_call, 0
	.section	.AMDGPU.csdata,"",@progbits
; Kernel info:
; codeLenInByte = 8476
; TotalNumSgprs: 60
; NumVgprs: 92
; ScratchSize: 0
; MemoryBound: 0
; FloatMode: 240
; IeeeMode: 1
; LDSByteSize: 32768 bytes/workgroup (compile time only)
; SGPRBlocks: 0
; VGPRBlocks: 5
; NumSGPRsForWavesPerEU: 60
; NumVGPRsForWavesPerEU: 92
; NamedBarCnt: 0
; Occupancy: 10
; WaveLimiterHint : 0
; COMPUTE_PGM_RSRC2:SCRATCH_EN: 0
; COMPUTE_PGM_RSRC2:USER_SGPR: 2
; COMPUTE_PGM_RSRC2:TRAP_HANDLER: 0
; COMPUTE_PGM_RSRC2:TGID_X_EN: 1
; COMPUTE_PGM_RSRC2:TGID_Y_EN: 1
; COMPUTE_PGM_RSRC2:TGID_Z_EN: 1
; COMPUTE_PGM_RSRC2:TIDIG_COMP_CNT: 1
	.section	.text._ZL30rocblas_trmm_outofplace_kernelI19rocblas_complex_numIdELi32ELi2ELb1ELb1ELb1ELb0EPKS1_S2_S1_Ev17rocblas_diagonal_iiT6_lPT7_lllS7_lllPT8_llli,"axG",@progbits,_ZL30rocblas_trmm_outofplace_kernelI19rocblas_complex_numIdELi32ELi2ELb1ELb1ELb1ELb0EPKS1_S2_S1_Ev17rocblas_diagonal_iiT6_lPT7_lllS7_lllPT8_llli,comdat
	.globl	_ZL30rocblas_trmm_outofplace_kernelI19rocblas_complex_numIdELi32ELi2ELb1ELb1ELb1ELb0EPKS1_S2_S1_Ev17rocblas_diagonal_iiT6_lPT7_lllS7_lllPT8_llli ; -- Begin function _ZL30rocblas_trmm_outofplace_kernelI19rocblas_complex_numIdELi32ELi2ELb1ELb1ELb1ELb0EPKS1_S2_S1_Ev17rocblas_diagonal_iiT6_lPT7_lllS7_lllPT8_llli
	.p2align	8
	.type	_ZL30rocblas_trmm_outofplace_kernelI19rocblas_complex_numIdELi32ELi2ELb1ELb1ELb1ELb0EPKS1_S2_S1_Ev17rocblas_diagonal_iiT6_lPT7_lllS7_lllPT8_llli,@function
_ZL30rocblas_trmm_outofplace_kernelI19rocblas_complex_numIdELi32ELi2ELb1ELb1ELb1ELb0EPKS1_S2_S1_Ev17rocblas_diagonal_iiT6_lPT7_lllS7_lllPT8_llli: ; @_ZL30rocblas_trmm_outofplace_kernelI19rocblas_complex_numIdELi32ELi2ELb1ELb1ELb1ELb0EPKS1_S2_S1_Ev17rocblas_diagonal_iiT6_lPT7_lllS7_lllPT8_llli
; %bb.0:
	s_load_b32 s11, s[0:1], 0x80
	s_bfe_u32 s2, ttmp6, 0x40014
	s_lshr_b32 s3, ttmp7, 16
	s_add_co_i32 s2, s2, 1
	s_bfe_u32 s5, ttmp6, 0x40008
	s_mul_i32 s2, s3, s2
	s_getreg_b32 s4, hwreg(HW_REG_IB_STS2, 6, 4)
	s_add_co_i32 s5, s5, s2
	s_cmp_eq_u32 s4, 0
	s_mov_b32 s35, 0
	s_cselect_b32 s34, s3, s5
	s_wait_kmcnt 0x0
	s_cmp_ge_u32 s34, s11
	s_cbranch_scc1 .LBB114_67
; %bb.1:
	s_clause 0x2
	s_load_b96 s[8:10], s[0:1], 0x0
	s_load_b256 s[36:43], s[0:1], 0x50
	s_load_b512 s[12:27], s[0:1], 0x10
	s_bfe_u32 s3, ttmp6, 0x4000c
	s_and_b32 s2, ttmp6, 15
	s_add_co_i32 s3, s3, 1
	s_bfe_u32 s6, ttmp6, 0x40010
	s_mul_i32 s3, ttmp9, s3
	s_and_b32 s5, ttmp7, 0xffff
	s_add_co_i32 s6, s6, 1
	s_add_co_i32 s30, s2, s3
	s_bfe_u32 s7, ttmp6, 0x40004
	s_mul_i32 s6, s5, s6
	v_and_b32_e32 v20, 0x3ff, v0
	s_add_co_i32 s7, s7, s6
	v_bfe_u32 v24, v0, 10, 10
	s_delay_alu instid0(VALU_DEP_2) | instskip(SKIP_2) | instid1(VALU_DEP_1)
	v_dual_mov_b32 v0, 0 :: v_dual_lshlrev_b32 v26, 4, v20
	s_wait_kmcnt 0x0
	s_add_co_i32 s28, s10, -1
	v_dual_mov_b32 v9, v0 :: v_dual_lshlrev_b32 v8, 4, v24
	s_ashr_i32 s29, s28, 31
	v_lshlrev_b32_e32 v1, 9, v24
	s_lshr_b32 s2, s29, 27
	v_mov_b32_e32 v25, v0
	s_add_co_i32 s28, s28, s2
	s_lshl_b64 s[2:3], s[42:43], 4
	s_ashr_i32 s33, s28, 5
	s_cmp_eq_u32 s4, 0
	v_dual_mov_b32 v21, v0 :: v_dual_add_nc_u32 v80, 0x4000, v1
	s_cselect_b32 s48, s5, s7
	s_cselect_b32 s4, ttmp9, s30
	s_cmp_le_i32 s48, s33
	v_dual_add_nc_u32 v81, v26, v1 :: v_dual_mov_b32 v27, v0
	s_cselect_b32 s49, -1, 0
	s_lshl_b32 s50, s4, 5
	s_cmp_gt_i32 s4, -1
	v_add_nc_u32_e32 v22, s50, v20
	s_cselect_b32 s51, -1, 0
	s_cmp_eq_u32 s8, 0x84
	s_load_b128 s[28:31], s[0:1], 0x70
	s_cselect_b32 s52, -1, 0
	v_ashrrev_i32_e32 v23, 31, v22
	s_lshl_b64 s[4:5], s[18:19], 4
	s_add_nc_u64 s[40:41], s[40:41], s[2:3]
	s_lshl_b64 s[2:3], s[26:27], 4
	v_add_nc_u32_e32 v28, 16, v22
	v_mul_u64_e32 v[2:3], s[20:21], v[22:23]
	v_lshl_add_u64 v[4:5], v[22:23], 4, 0x100
	s_add_nc_u64 s[2:3], s[24:25], s[2:3]
	v_add_nc_u64_e32 v[30:31], 16, v[22:23]
	v_sub_nc_u64_e32 v[32:33], v[22:23], v[24:25]
	s_mov_b32 s42, s9
	v_mad_nc_u64_u32 v[6:7], s20, v4, s[4:5]
	s_ashr_i32 s43, s9, 31
	s_add_nc_u64 s[18:19], s[0:1], 0x88
	v_add_nc_u32_e32 v83, 0x2100, v81
	v_lshl_add_u32 v87, s48, 5, v24
	v_add_nc_u64_e32 v[36:37], 16, v[32:33]
	v_add_nc_u64_e32 v[38:39], -16, v[32:33]
	s_wait_xcnt 0x0
	v_cmp_le_i32_e64 s0, s9, v22
	v_cmp_gt_i32_e64 s1, s9, v22
	s_mov_b32 s44, s10
	s_ashr_i32 s45, s10, 31
	v_mad_u32 v1, s21, v4, v7
	s_lshl_b64 s[24:25], s[36:37], 4
	s_lshl_b64 s[22:23], s[22:23], 4
	s_delay_alu instid0(VALU_DEP_1)
	v_mad_u32 v7, s20, v5, v1
	v_add_nc_u64_e32 v[4:5], s[2:3], v[26:27]
	v_dual_mov_b32 v1, 0x3ff00000 :: v_dual_add_nc_u32 v82, v80, v26
	v_ashrrev_i32_e32 v29, 31, v28
	v_lshl_add_u64 v[2:3], v[2:3], 4, s[4:5]
	v_cmp_le_i64_e64 s3, s[42:43], v[30:31]
	v_cmp_gt_i32_e64 s2, s9, v28
	v_add_nc_u64_e32 v[34:35], 0x100, v[4:5]
	v_add_nc_u32_e32 v84, 0x100, v82
	v_add_nc_u64_e32 v[2:3], v[2:3], v[8:9]
	v_add_nc_u64_e32 v[6:7], v[6:7], v[8:9]
	v_add_nc_u32_e32 v85, 0x2000, v82
	v_add_nc_u32_e32 v86, 0x2100, v82
	s_add_nc_u64 s[20:21], s[42:43], -16
	s_delay_alu instid0(VALU_DEP_4) | instskip(NEXT) | instid1(VALU_DEP_4)
	v_add_nc_u64_e32 v[2:3], s[16:17], v[2:3]
	v_add_nc_u64_e32 v[40:41], s[16:17], v[6:7]
	s_lshl_b64 s[16:17], s[38:39], 4
	s_delay_alu instid0(VALU_DEP_2)
	v_add_nc_u64_e32 v[42:43], 0x100, v[2:3]
	s_branch .LBB114_4
.LBB114_2:                              ;   in Loop: Header=BB114_4 Depth=1
	s_add_co_i32 s34, s34, 0x10000
	s_delay_alu instid0(SALU_CYCLE_1)
	s_cmp_ge_u32 s34, s11
	s_cselect_b32 s4, -1, 0
.LBB114_3:                              ;   in Loop: Header=BB114_4 Depth=1
	s_delay_alu instid0(SALU_CYCLE_1)
	s_and_b32 vcc_lo, exec_lo, s4
	s_cbranch_vccnz .LBB114_67
.LBB114_4:                              ; =>This Loop Header: Depth=1
                                        ;     Child Loop BB114_8 Depth 2
                                        ;       Child Loop BB114_11 Depth 3
	s_mul_u64 s[4:5], s[14:15], s[34:35]
	s_delay_alu instid0(SALU_CYCLE_1) | instskip(NEXT) | instid1(SALU_CYCLE_1)
	s_lshl_b64 s[4:5], s[4:5], 4
	s_add_nc_u64 s[4:5], s[12:13], s[4:5]
	global_load_b128 v[4:7], v0, s[4:5]
	s_wait_loadcnt 0x0
	v_cmp_eq_f64_e32 vcc_lo, 0, v[4:5]
	s_wait_xcnt 0x0
	v_cmp_eq_f64_e64 s4, 0, v[6:7]
	s_and_b32 s4, vcc_lo, s4
	s_delay_alu instid0(SALU_CYCLE_1)
	s_and_b32 vcc_lo, exec_lo, s4
	s_mov_b32 s4, -1
	s_cbranch_vccnz .LBB114_3
; %bb.5:                                ;   in Loop: Header=BB114_4 Depth=1
	s_and_not1_b32 vcc_lo, exec_lo, s49
	s_cbranch_vccnz .LBB114_2
; %bb.6:                                ;   in Loop: Header=BB114_4 Depth=1
	s_load_b32 s9, s[18:19], 0x4
	v_mad_nc_u64_u32 v[44:45], s16, s34, v[34:35]
	v_mad_nc_u64_u32 v[46:47], s22, s34, v[42:43]
	;; [unrolled: 1-line block ×3, first 2 shown]
	s_mul_i32 s6, s23, s34
	s_wait_kmcnt 0x0
	s_mul_u64 s[4:5], s[30:31], s[34:35]
	v_mov_b32_e32 v50, v87
	s_lshl_b64 s[4:5], s[4:5], 4
	s_mov_b32 s54, s48
	s_add_nc_u64 s[26:27], s[40:41], s[4:5]
	s_delay_alu instid0(VALU_DEP_4) | instskip(NEXT) | instid1(VALU_DEP_3)
	v_mad_u32 v45, s17, s34, v45
	v_dual_add_nc_u32 v47, s6, v47 :: v_dual_add_nc_u32 v49, s6, v49
	s_lshl_b32 s53, s9, 5
	s_branch .LBB114_8
.LBB114_7:                              ;   in Loop: Header=BB114_8 Depth=2
	s_wait_xcnt 0x0
	s_or_b32 exec_lo, exec_lo, s4
	v_add_nc_u32_e32 v50, s53, v50
	s_add_co_i32 s54, s9, s54
	s_delay_alu instid0(SALU_CYCLE_1)
	s_cmp_gt_i32 s54, s33
	s_cbranch_scc1 .LBB114_2
.LBB114_8:                              ;   Parent Loop BB114_4 Depth=1
                                        ; =>  This Loop Header: Depth=2
                                        ;       Child Loop BB114_11 Depth 3
	v_lshl_add_u32 v52, s54, 5, v24
	v_mov_b64_e32 v[62:63], 0
	v_mov_b64_e32 v[64:65], 0
	;; [unrolled: 1-line block ×8, first 2 shown]
	v_ashrrev_i32_e32 v53, 31, v52
	s_and_not1_b32 vcc_lo, exec_lo, s51
	s_cbranch_vccnz .LBB114_59
; %bb.9:                                ;   in Loop: Header=BB114_8 Depth=2
	v_ashrrev_i32_e32 v51, 31, v50
	v_mad_nc_u64_u32 v[54:55], s24, v50, v[44:45]
	v_sub_nc_u64_e32 v[8:9], s[44:45], v[52:53]
	v_mov_b64_e32 v[66:67], 0
	v_mov_b64_e32 v[70:71], 0
	v_lshl_add_u64 v[2:3], v[50:51], 4, 0x100
	v_mov_b64_e32 v[68:69], 0
	v_mov_b64_e32 v[72:73], 0
	v_mov_b64_e32 v[60:61], 0
	v_cmp_lt_i64_e64 s4, 16, v[8:9]
	v_mad_nc_u64_u32 v[56:57], s36, v2, v[44:45]
	v_mov_b64_e32 v[58:59], 0
	v_mad_u32 v10, s25, v50, v55
	v_mov_b64_e32 v[64:65], 0
	v_mov_b64_e32 v[62:63], 0
	s_mov_b64 s[38:39], 0
	s_mov_b64 s[46:47], 0
	v_cmp_lt_i64_e32 vcc_lo, 0, v[8:9]
	v_mad_u32 v2, s37, v2, v57
	v_mad_u32 v55, s24, v51, v10
	s_delay_alu instid0(VALU_DEP_2)
	v_mad_u32 v57, s36, v3, v2
	s_branch .LBB114_11
.LBB114_10:                             ;   in Loop: Header=BB114_11 Depth=3
	s_wait_xcnt 0x0
	s_or_b32 exec_lo, exec_lo, s5
	s_wait_dscnt 0x0
	s_barrier_signal -1
	s_barrier_wait -1
	ds_load_b128 v[88:91], v80
	ds_load_b128 v[16:19], v80 offset:16
	ds_load_b128 v[12:15], v80 offset:32
	;; [unrolled: 1-line block ×3, first 2 shown]
	ds_load_b128 v[92:95], v26
	ds_load_b128 v[96:99], v26 offset:256
	s_add_nc_u64 s[46:47], s[46:47], 32
	s_add_nc_u64 s[38:39], s[38:39], 0x200
	s_sub_co_i32 s5, s46, 32
	s_delay_alu instid0(SALU_CYCLE_1) | instskip(SKIP_3) | instid1(VALU_DEP_2)
	s_cmp_ge_i32 s5, s50
	s_wait_dscnt 0x1
	v_mul_f64_e32 v[2:3], v[90:91], v[94:95]
	v_mul_f64_e32 v[74:75], v[88:89], v[94:95]
	v_fma_f64 v[2:3], v[88:89], v[92:93], -v[2:3]
	s_delay_alu instid0(VALU_DEP_2) | instskip(NEXT) | instid1(VALU_DEP_2)
	v_fmac_f64_e32 v[74:75], v[90:91], v[92:93]
	v_add_f64_e32 v[76:77], v[62:63], v[2:3]
	s_wait_dscnt 0x0
	v_mul_f64_e32 v[2:3], v[90:91], v[98:99]
	v_mul_f64_e32 v[62:63], v[88:89], v[98:99]
	s_delay_alu instid0(VALU_DEP_4) | instskip(NEXT) | instid1(VALU_DEP_3)
	v_add_f64_e32 v[78:79], v[74:75], v[64:65]
	v_fma_f64 v[2:3], v[88:89], v[96:97], -v[2:3]
	s_delay_alu instid0(VALU_DEP_3) | instskip(NEXT) | instid1(VALU_DEP_2)
	v_fmac_f64_e32 v[62:63], v[90:91], v[96:97]
	v_add_f64_e32 v[2:3], v[58:59], v[2:3]
	s_delay_alu instid0(VALU_DEP_2) | instskip(SKIP_4) | instid1(VALU_DEP_2)
	v_add_f64_e32 v[74:75], v[62:63], v[60:61]
	ds_load_b128 v[58:61], v80 offset:8192
	s_wait_dscnt 0x0
	v_mul_f64_e32 v[62:63], v[60:61], v[94:95]
	v_mul_f64_e32 v[64:65], v[58:59], v[94:95]
	v_fma_f64 v[62:63], v[58:59], v[92:93], -v[62:63]
	s_delay_alu instid0(VALU_DEP_2) | instskip(NEXT) | instid1(VALU_DEP_2)
	v_fmac_f64_e32 v[64:65], v[60:61], v[92:93]
	v_add_f64_e32 v[62:63], v[72:73], v[62:63]
	s_delay_alu instid0(VALU_DEP_2) | instskip(SKIP_2) | instid1(VALU_DEP_2)
	v_add_f64_e32 v[68:69], v[64:65], v[68:69]
	v_mul_f64_e32 v[64:65], v[60:61], v[98:99]
	v_mul_f64_e32 v[72:73], v[58:59], v[98:99]
	v_fma_f64 v[64:65], v[58:59], v[96:97], -v[64:65]
	s_delay_alu instid0(VALU_DEP_2) | instskip(NEXT) | instid1(VALU_DEP_2)
	v_fmac_f64_e32 v[72:73], v[60:61], v[96:97]
	v_add_f64_e32 v[58:59], v[70:71], v[64:65]
	s_delay_alu instid0(VALU_DEP_2) | instskip(SKIP_4) | instid1(VALU_DEP_2)
	v_add_f64_e32 v[60:61], v[72:73], v[66:67]
	ds_load_b128 v[70:73], v26 offset:512
	s_wait_dscnt 0x0
	v_mul_f64_e32 v[64:65], v[18:19], v[72:73]
	v_mul_f64_e32 v[66:67], v[16:17], v[72:73]
	v_fma_f64 v[64:65], v[16:17], v[70:71], -v[64:65]
	s_delay_alu instid0(VALU_DEP_2) | instskip(NEXT) | instid1(VALU_DEP_2)
	v_fmac_f64_e32 v[66:67], v[18:19], v[70:71]
	v_add_f64_e32 v[64:65], v[76:77], v[64:65]
	s_delay_alu instid0(VALU_DEP_2) | instskip(SKIP_3) | instid1(VALU_DEP_1)
	v_add_f64_e32 v[66:67], v[66:67], v[78:79]
	ds_load_b128 v[76:79], v26 offset:768
	s_wait_dscnt 0x0
	v_mul_f64_e32 v[88:89], v[18:19], v[78:79]
	v_fma_f64 v[88:89], v[16:17], v[76:77], -v[88:89]
	v_mul_f64_e32 v[16:17], v[16:17], v[78:79]
	s_delay_alu instid0(VALU_DEP_2)
	v_add_f64_e32 v[2:3], v[2:3], v[88:89]
	ds_load_b128 v[88:91], v80 offset:8208
	v_fmac_f64_e32 v[16:17], v[18:19], v[76:77]
	s_wait_dscnt 0x0
	v_mul_f64_e32 v[18:19], v[90:91], v[72:73]
	v_mul_f64_e32 v[72:73], v[88:89], v[72:73]
	s_delay_alu instid0(VALU_DEP_3) | instskip(NEXT) | instid1(VALU_DEP_3)
	v_add_f64_e32 v[16:17], v[16:17], v[74:75]
	v_fma_f64 v[18:19], v[88:89], v[70:71], -v[18:19]
	s_delay_alu instid0(VALU_DEP_3) | instskip(SKIP_1) | instid1(VALU_DEP_3)
	v_fmac_f64_e32 v[72:73], v[90:91], v[70:71]
	v_mul_f64_e32 v[70:71], v[88:89], v[78:79]
	v_add_f64_e32 v[18:19], v[62:63], v[18:19]
	s_delay_alu instid0(VALU_DEP_3) | instskip(SKIP_1) | instid1(VALU_DEP_4)
	v_add_f64_e32 v[62:63], v[72:73], v[68:69]
	v_mul_f64_e32 v[68:69], v[90:91], v[78:79]
	v_fmac_f64_e32 v[70:71], v[90:91], v[76:77]
	s_delay_alu instid0(VALU_DEP_2) | instskip(NEXT) | instid1(VALU_DEP_2)
	v_fma_f64 v[68:69], v[88:89], v[76:77], -v[68:69]
	v_add_f64_e32 v[60:61], v[70:71], v[60:61]
	s_delay_alu instid0(VALU_DEP_2) | instskip(SKIP_4) | instid1(VALU_DEP_2)
	v_add_f64_e32 v[58:59], v[58:59], v[68:69]
	ds_load_b128 v[68:71], v26 offset:1024
	s_wait_dscnt 0x0
	v_mul_f64_e32 v[72:73], v[14:15], v[70:71]
	v_mul_f64_e32 v[74:75], v[12:13], v[70:71]
	v_fma_f64 v[72:73], v[12:13], v[68:69], -v[72:73]
	s_delay_alu instid0(VALU_DEP_2) | instskip(NEXT) | instid1(VALU_DEP_2)
	v_fmac_f64_e32 v[74:75], v[14:15], v[68:69]
	v_add_f64_e32 v[76:77], v[64:65], v[72:73]
	s_delay_alu instid0(VALU_DEP_2) | instskip(SKIP_3) | instid1(VALU_DEP_1)
	v_add_f64_e32 v[78:79], v[74:75], v[66:67]
	ds_load_b128 v[72:75], v26 offset:1280
	s_wait_dscnt 0x0
	v_mul_f64_e32 v[64:65], v[14:15], v[74:75]
	v_fma_f64 v[64:65], v[12:13], v[72:73], -v[64:65]
	v_mul_f64_e32 v[12:13], v[12:13], v[74:75]
	s_delay_alu instid0(VALU_DEP_2) | instskip(NEXT) | instid1(VALU_DEP_2)
	v_add_f64_e32 v[2:3], v[2:3], v[64:65]
	v_fmac_f64_e32 v[12:13], v[14:15], v[72:73]
	s_delay_alu instid0(VALU_DEP_1) | instskip(SKIP_4) | instid1(VALU_DEP_2)
	v_add_f64_e32 v[88:89], v[12:13], v[16:17]
	ds_load_b128 v[12:15], v80 offset:8224
	s_wait_dscnt 0x0
	v_mul_f64_e32 v[16:17], v[14:15], v[70:71]
	v_mul_f64_e32 v[64:65], v[12:13], v[70:71]
	v_fma_f64 v[16:17], v[12:13], v[68:69], -v[16:17]
	s_delay_alu instid0(VALU_DEP_2) | instskip(NEXT) | instid1(VALU_DEP_2)
	v_fmac_f64_e32 v[64:65], v[14:15], v[68:69]
	v_add_f64_e32 v[66:67], v[18:19], v[16:17]
	v_mul_f64_e32 v[16:17], v[14:15], v[74:75]
	s_delay_alu instid0(VALU_DEP_3) | instskip(NEXT) | instid1(VALU_DEP_2)
	v_add_f64_e32 v[68:69], v[64:65], v[62:63]
	v_fma_f64 v[16:17], v[12:13], v[72:73], -v[16:17]
	v_mul_f64_e32 v[12:13], v[12:13], v[74:75]
	s_delay_alu instid0(VALU_DEP_2) | instskip(NEXT) | instid1(VALU_DEP_2)
	v_add_f64_e32 v[62:63], v[58:59], v[16:17]
	v_fmac_f64_e32 v[12:13], v[14:15], v[72:73]
	ds_load_b128 v[16:19], v26 offset:1536
	s_wait_dscnt 0x0
	v_mul_f64_e32 v[14:15], v[8:9], v[18:19]
	v_add_f64_e32 v[64:65], v[12:13], v[60:61]
	v_mul_f64_e32 v[12:13], v[10:11], v[18:19]
	s_delay_alu instid0(VALU_DEP_3) | instskip(NEXT) | instid1(VALU_DEP_2)
	v_fmac_f64_e32 v[14:15], v[10:11], v[16:17]
	v_fma_f64 v[12:13], v[8:9], v[16:17], -v[12:13]
	s_delay_alu instid0(VALU_DEP_2) | instskip(NEXT) | instid1(VALU_DEP_2)
	v_add_f64_e32 v[60:61], v[14:15], v[78:79]
	v_add_f64_e32 v[58:59], v[76:77], v[12:13]
	ds_load_b128 v[12:15], v26 offset:1792
	s_wait_dscnt 0x0
	v_mul_f64_e32 v[70:71], v[10:11], v[14:15]
	s_delay_alu instid0(VALU_DEP_1) | instskip(SKIP_1) | instid1(VALU_DEP_2)
	v_fma_f64 v[70:71], v[8:9], v[12:13], -v[70:71]
	v_mul_f64_e32 v[8:9], v[8:9], v[14:15]
	v_add_f64_e32 v[2:3], v[2:3], v[70:71]
	ds_load_b128 v[70:73], v80 offset:8240
	v_fmac_f64_e32 v[8:9], v[10:11], v[12:13]
	s_wait_dscnt 0x0
	v_mul_f64_e32 v[10:11], v[72:73], v[18:19]
	v_mul_f64_e32 v[18:19], v[70:71], v[18:19]
	s_delay_alu instid0(VALU_DEP_3) | instskip(NEXT) | instid1(VALU_DEP_3)
	v_add_f64_e32 v[8:9], v[8:9], v[88:89]
	v_fma_f64 v[10:11], v[70:71], v[16:17], -v[10:11]
	s_delay_alu instid0(VALU_DEP_3) | instskip(NEXT) | instid1(VALU_DEP_2)
	v_fmac_f64_e32 v[18:19], v[72:73], v[16:17]
	v_add_f64_e32 v[16:17], v[66:67], v[10:11]
	v_mul_f64_e32 v[10:11], v[72:73], v[14:15]
	s_delay_alu instid0(VALU_DEP_3) | instskip(SKIP_1) | instid1(VALU_DEP_3)
	v_add_f64_e32 v[66:67], v[18:19], v[68:69]
	v_mul_f64_e32 v[18:19], v[70:71], v[14:15]
	v_fma_f64 v[10:11], v[70:71], v[12:13], -v[10:11]
	s_delay_alu instid0(VALU_DEP_2)
	v_fmac_f64_e32 v[18:19], v[72:73], v[12:13]
	ds_load_b128 v[68:71], v80 offset:64
	ds_load_b128 v[72:75], v26 offset:2048
	;; [unrolled: 1-line block ×3, first 2 shown]
	s_wait_dscnt 0x1
	v_mul_f64_e32 v[12:13], v[68:69], v[74:75]
	v_add_f64_e32 v[14:15], v[62:63], v[10:11]
	v_mul_f64_e32 v[10:11], v[70:71], v[74:75]
	v_add_f64_e32 v[62:63], v[18:19], v[64:65]
	s_wait_dscnt 0x0
	v_mul_f64_e32 v[18:19], v[70:71], v[78:79]
	v_fmac_f64_e32 v[12:13], v[70:71], v[72:73]
	s_delay_alu instid0(VALU_DEP_4) | instskip(NEXT) | instid1(VALU_DEP_3)
	v_fma_f64 v[10:11], v[68:69], v[72:73], -v[10:11]
	v_fma_f64 v[18:19], v[68:69], v[76:77], -v[18:19]
	s_delay_alu instid0(VALU_DEP_3) | instskip(NEXT) | instid1(VALU_DEP_3)
	v_add_f64_e32 v[12:13], v[12:13], v[60:61]
	v_add_f64_e32 v[10:11], v[58:59], v[10:11]
	v_mul_f64_e32 v[58:59], v[68:69], v[78:79]
	s_delay_alu instid0(VALU_DEP_4) | instskip(NEXT) | instid1(VALU_DEP_2)
	v_add_f64_e32 v[2:3], v[2:3], v[18:19]
	v_fmac_f64_e32 v[58:59], v[70:71], v[76:77]
	ds_load_b128 v[68:71], v80 offset:8256
	v_add_f64_e32 v[64:65], v[58:59], v[8:9]
	s_wait_dscnt 0x0
	v_mul_f64_e32 v[8:9], v[70:71], v[74:75]
	v_mul_f64_e32 v[58:59], v[68:69], v[74:75]
	s_delay_alu instid0(VALU_DEP_2) | instskip(NEXT) | instid1(VALU_DEP_2)
	v_fma_f64 v[8:9], v[68:69], v[72:73], -v[8:9]
	v_fmac_f64_e32 v[58:59], v[70:71], v[72:73]
	s_delay_alu instid0(VALU_DEP_2) | instskip(SKIP_2) | instid1(VALU_DEP_4)
	v_add_f64_e32 v[18:19], v[16:17], v[8:9]
	v_mul_f64_e32 v[8:9], v[70:71], v[78:79]
	v_mul_f64_e32 v[16:17], v[68:69], v[78:79]
	v_add_f64_e32 v[58:59], v[58:59], v[66:67]
	s_delay_alu instid0(VALU_DEP_3) | instskip(NEXT) | instid1(VALU_DEP_3)
	v_fma_f64 v[8:9], v[68:69], v[76:77], -v[8:9]
	v_fmac_f64_e32 v[16:17], v[70:71], v[76:77]
	ds_load_b128 v[66:69], v80 offset:80
	ds_load_b128 v[70:73], v26 offset:2560
	v_add_f64_e32 v[14:15], v[14:15], v[8:9]
	s_wait_dscnt 0x0
	v_mul_f64_e32 v[8:9], v[68:69], v[72:73]
	v_add_f64_e32 v[16:17], v[16:17], v[62:63]
	v_mul_f64_e32 v[62:63], v[66:67], v[72:73]
	s_delay_alu instid0(VALU_DEP_3) | instskip(NEXT) | instid1(VALU_DEP_2)
	v_fma_f64 v[8:9], v[66:67], v[70:71], -v[8:9]
	v_fmac_f64_e32 v[62:63], v[68:69], v[70:71]
	s_delay_alu instid0(VALU_DEP_2) | instskip(SKIP_4) | instid1(VALU_DEP_1)
	v_add_f64_e32 v[60:61], v[10:11], v[8:9]
	ds_load_b128 v[8:11], v26 offset:2816
	v_add_f64_e32 v[62:63], v[62:63], v[12:13]
	s_wait_dscnt 0x0
	v_mul_f64_e32 v[12:13], v[68:69], v[10:11]
	v_fma_f64 v[12:13], v[66:67], v[8:9], -v[12:13]
	v_mul_f64_e32 v[66:67], v[66:67], v[10:11]
	s_delay_alu instid0(VALU_DEP_2) | instskip(NEXT) | instid1(VALU_DEP_2)
	v_add_f64_e32 v[2:3], v[2:3], v[12:13]
	v_fmac_f64_e32 v[66:67], v[68:69], v[8:9]
	s_delay_alu instid0(VALU_DEP_1) | instskip(SKIP_4) | instid1(VALU_DEP_2)
	v_add_f64_e32 v[12:13], v[66:67], v[64:65]
	ds_load_b128 v[64:67], v80 offset:8272
	s_wait_dscnt 0x0
	v_mul_f64_e32 v[68:69], v[66:67], v[72:73]
	v_mul_f64_e32 v[72:73], v[64:65], v[72:73]
	v_fma_f64 v[68:69], v[64:65], v[70:71], -v[68:69]
	s_delay_alu instid0(VALU_DEP_2) | instskip(NEXT) | instid1(VALU_DEP_2)
	v_fmac_f64_e32 v[72:73], v[66:67], v[70:71]
	v_add_f64_e32 v[18:19], v[18:19], v[68:69]
	v_mul_f64_e32 v[68:69], v[66:67], v[10:11]
	v_mul_f64_e32 v[10:11], v[64:65], v[10:11]
	s_delay_alu instid0(VALU_DEP_4) | instskip(NEXT) | instid1(VALU_DEP_3)
	v_add_f64_e32 v[58:59], v[72:73], v[58:59]
	v_fma_f64 v[68:69], v[64:65], v[8:9], -v[68:69]
	s_delay_alu instid0(VALU_DEP_3) | instskip(NEXT) | instid1(VALU_DEP_2)
	v_fmac_f64_e32 v[10:11], v[66:67], v[8:9]
	v_add_f64_e32 v[14:15], v[14:15], v[68:69]
	ds_load_b128 v[64:67], v80 offset:96
	ds_load_b128 v[68:71], v26 offset:3072
	v_add_f64_e32 v[16:17], v[10:11], v[16:17]
	s_wait_dscnt 0x0
	v_mul_f64_e32 v[8:9], v[66:67], v[70:71]
	v_mul_f64_e32 v[10:11], v[64:65], v[70:71]
	s_delay_alu instid0(VALU_DEP_2) | instskip(NEXT) | instid1(VALU_DEP_2)
	v_fma_f64 v[8:9], v[64:65], v[68:69], -v[8:9]
	v_fmac_f64_e32 v[10:11], v[66:67], v[68:69]
	s_delay_alu instid0(VALU_DEP_2) | instskip(NEXT) | instid1(VALU_DEP_2)
	v_add_f64_e32 v[8:9], v[60:61], v[8:9]
	v_add_f64_e32 v[10:11], v[10:11], v[62:63]
	ds_load_b128 v[60:63], v26 offset:3328
	s_wait_dscnt 0x0
	v_mul_f64_e32 v[72:73], v[66:67], v[62:63]
	s_delay_alu instid0(VALU_DEP_1) | instskip(SKIP_1) | instid1(VALU_DEP_2)
	v_fma_f64 v[72:73], v[64:65], v[60:61], -v[72:73]
	v_mul_f64_e32 v[64:65], v[64:65], v[62:63]
	v_add_f64_e32 v[2:3], v[2:3], v[72:73]
	s_delay_alu instid0(VALU_DEP_2) | instskip(NEXT) | instid1(VALU_DEP_1)
	v_fmac_f64_e32 v[64:65], v[66:67], v[60:61]
	v_add_f64_e32 v[12:13], v[64:65], v[12:13]
	ds_load_b128 v[64:67], v80 offset:8288
	s_wait_dscnt 0x0
	v_mul_f64_e32 v[72:73], v[66:67], v[70:71]
	v_mul_f64_e32 v[70:71], v[64:65], v[70:71]
	s_delay_alu instid0(VALU_DEP_2) | instskip(NEXT) | instid1(VALU_DEP_2)
	v_fma_f64 v[72:73], v[64:65], v[68:69], -v[72:73]
	v_fmac_f64_e32 v[70:71], v[66:67], v[68:69]
	v_mul_f64_e32 v[68:69], v[66:67], v[62:63]
	v_mul_f64_e32 v[62:63], v[64:65], v[62:63]
	s_delay_alu instid0(VALU_DEP_4) | instskip(NEXT) | instid1(VALU_DEP_4)
	v_add_f64_e32 v[18:19], v[18:19], v[72:73]
	v_add_f64_e32 v[58:59], v[70:71], v[58:59]
	s_delay_alu instid0(VALU_DEP_4) | instskip(NEXT) | instid1(VALU_DEP_4)
	v_fma_f64 v[68:69], v[64:65], v[60:61], -v[68:69]
	v_fmac_f64_e32 v[62:63], v[66:67], v[60:61]
	s_delay_alu instid0(VALU_DEP_2)
	v_add_f64_e32 v[14:15], v[14:15], v[68:69]
	ds_load_b128 v[64:67], v80 offset:112
	ds_load_b128 v[68:71], v26 offset:3584
	v_add_f64_e32 v[16:17], v[62:63], v[16:17]
	s_wait_dscnt 0x0
	v_mul_f64_e32 v[60:61], v[66:67], v[70:71]
	v_mul_f64_e32 v[62:63], v[64:65], v[70:71]
	s_delay_alu instid0(VALU_DEP_2) | instskip(NEXT) | instid1(VALU_DEP_2)
	v_fma_f64 v[60:61], v[64:65], v[68:69], -v[60:61]
	v_fmac_f64_e32 v[62:63], v[66:67], v[68:69]
	s_delay_alu instid0(VALU_DEP_2) | instskip(NEXT) | instid1(VALU_DEP_2)
	v_add_f64_e32 v[60:61], v[8:9], v[60:61]
	v_add_f64_e32 v[62:63], v[62:63], v[10:11]
	ds_load_b128 v[8:11], v26 offset:3840
	s_wait_dscnt 0x0
	v_mul_f64_e32 v[72:73], v[66:67], v[10:11]
	s_delay_alu instid0(VALU_DEP_1) | instskip(SKIP_1) | instid1(VALU_DEP_2)
	v_fma_f64 v[72:73], v[64:65], v[8:9], -v[72:73]
	v_mul_f64_e32 v[64:65], v[64:65], v[10:11]
	v_add_f64_e32 v[2:3], v[2:3], v[72:73]
	s_delay_alu instid0(VALU_DEP_2) | instskip(NEXT) | instid1(VALU_DEP_1)
	v_fmac_f64_e32 v[64:65], v[66:67], v[8:9]
	v_add_f64_e32 v[12:13], v[64:65], v[12:13]
	ds_load_b128 v[64:67], v80 offset:8304
	s_wait_dscnt 0x0
	v_mul_f64_e32 v[72:73], v[66:67], v[70:71]
	v_mul_f64_e32 v[70:71], v[64:65], v[70:71]
	s_delay_alu instid0(VALU_DEP_2) | instskip(NEXT) | instid1(VALU_DEP_2)
	v_fma_f64 v[72:73], v[64:65], v[68:69], -v[72:73]
	v_fmac_f64_e32 v[70:71], v[66:67], v[68:69]
	v_mul_f64_e32 v[68:69], v[66:67], v[10:11]
	v_mul_f64_e32 v[10:11], v[64:65], v[10:11]
	s_delay_alu instid0(VALU_DEP_4) | instskip(NEXT) | instid1(VALU_DEP_4)
	v_add_f64_e32 v[18:19], v[18:19], v[72:73]
	v_add_f64_e32 v[58:59], v[70:71], v[58:59]
	s_delay_alu instid0(VALU_DEP_4) | instskip(NEXT) | instid1(VALU_DEP_4)
	v_fma_f64 v[68:69], v[64:65], v[8:9], -v[68:69]
	v_fmac_f64_e32 v[10:11], v[66:67], v[8:9]
	s_delay_alu instid0(VALU_DEP_2)
	v_add_f64_e32 v[14:15], v[14:15], v[68:69]
	ds_load_b128 v[64:67], v80 offset:128
	ds_load_b128 v[68:71], v26 offset:4096
	v_add_f64_e32 v[16:17], v[10:11], v[16:17]
	s_wait_dscnt 0x0
	v_mul_f64_e32 v[8:9], v[66:67], v[70:71]
	v_mul_f64_e32 v[10:11], v[64:65], v[70:71]
	s_delay_alu instid0(VALU_DEP_2) | instskip(NEXT) | instid1(VALU_DEP_2)
	v_fma_f64 v[8:9], v[64:65], v[68:69], -v[8:9]
	v_fmac_f64_e32 v[10:11], v[66:67], v[68:69]
	s_delay_alu instid0(VALU_DEP_2) | instskip(NEXT) | instid1(VALU_DEP_2)
	v_add_f64_e32 v[8:9], v[60:61], v[8:9]
	v_add_f64_e32 v[10:11], v[10:11], v[62:63]
	ds_load_b128 v[60:63], v26 offset:4352
	s_wait_dscnt 0x0
	v_mul_f64_e32 v[72:73], v[66:67], v[62:63]
	s_delay_alu instid0(VALU_DEP_1) | instskip(SKIP_1) | instid1(VALU_DEP_2)
	v_fma_f64 v[72:73], v[64:65], v[60:61], -v[72:73]
	v_mul_f64_e32 v[64:65], v[64:65], v[62:63]
	v_add_f64_e32 v[2:3], v[2:3], v[72:73]
	s_delay_alu instid0(VALU_DEP_2) | instskip(NEXT) | instid1(VALU_DEP_1)
	v_fmac_f64_e32 v[64:65], v[66:67], v[60:61]
	v_add_f64_e32 v[12:13], v[64:65], v[12:13]
	ds_load_b128 v[64:67], v80 offset:8320
	s_wait_dscnt 0x0
	v_mul_f64_e32 v[72:73], v[66:67], v[70:71]
	v_mul_f64_e32 v[70:71], v[64:65], v[70:71]
	s_delay_alu instid0(VALU_DEP_2) | instskip(NEXT) | instid1(VALU_DEP_2)
	v_fma_f64 v[72:73], v[64:65], v[68:69], -v[72:73]
	v_fmac_f64_e32 v[70:71], v[66:67], v[68:69]
	v_mul_f64_e32 v[68:69], v[66:67], v[62:63]
	v_mul_f64_e32 v[62:63], v[64:65], v[62:63]
	s_delay_alu instid0(VALU_DEP_4) | instskip(NEXT) | instid1(VALU_DEP_4)
	v_add_f64_e32 v[18:19], v[18:19], v[72:73]
	v_add_f64_e32 v[58:59], v[70:71], v[58:59]
	s_delay_alu instid0(VALU_DEP_4) | instskip(NEXT) | instid1(VALU_DEP_4)
	v_fma_f64 v[68:69], v[64:65], v[60:61], -v[68:69]
	v_fmac_f64_e32 v[62:63], v[66:67], v[60:61]
	s_delay_alu instid0(VALU_DEP_2)
	v_add_f64_e32 v[14:15], v[14:15], v[68:69]
	ds_load_b128 v[64:67], v80 offset:144
	ds_load_b128 v[68:71], v26 offset:4608
	v_add_f64_e32 v[16:17], v[62:63], v[16:17]
	s_wait_dscnt 0x0
	v_mul_f64_e32 v[60:61], v[66:67], v[70:71]
	v_mul_f64_e32 v[62:63], v[64:65], v[70:71]
	s_delay_alu instid0(VALU_DEP_2) | instskip(NEXT) | instid1(VALU_DEP_2)
	v_fma_f64 v[60:61], v[64:65], v[68:69], -v[60:61]
	v_fmac_f64_e32 v[62:63], v[66:67], v[68:69]
	s_delay_alu instid0(VALU_DEP_2) | instskip(NEXT) | instid1(VALU_DEP_2)
	v_add_f64_e32 v[60:61], v[8:9], v[60:61]
	v_add_f64_e32 v[62:63], v[62:63], v[10:11]
	ds_load_b128 v[8:11], v26 offset:4864
	s_wait_dscnt 0x0
	v_mul_f64_e32 v[72:73], v[66:67], v[10:11]
	s_delay_alu instid0(VALU_DEP_1) | instskip(SKIP_1) | instid1(VALU_DEP_2)
	v_fma_f64 v[72:73], v[64:65], v[8:9], -v[72:73]
	v_mul_f64_e32 v[64:65], v[64:65], v[10:11]
	v_add_f64_e32 v[2:3], v[2:3], v[72:73]
	s_delay_alu instid0(VALU_DEP_2) | instskip(NEXT) | instid1(VALU_DEP_1)
	v_fmac_f64_e32 v[64:65], v[66:67], v[8:9]
	v_add_f64_e32 v[12:13], v[64:65], v[12:13]
	ds_load_b128 v[64:67], v80 offset:8336
	s_wait_dscnt 0x0
	v_mul_f64_e32 v[72:73], v[66:67], v[70:71]
	v_mul_f64_e32 v[70:71], v[64:65], v[70:71]
	s_delay_alu instid0(VALU_DEP_2) | instskip(NEXT) | instid1(VALU_DEP_2)
	v_fma_f64 v[72:73], v[64:65], v[68:69], -v[72:73]
	v_fmac_f64_e32 v[70:71], v[66:67], v[68:69]
	v_mul_f64_e32 v[68:69], v[66:67], v[10:11]
	v_mul_f64_e32 v[10:11], v[64:65], v[10:11]
	s_delay_alu instid0(VALU_DEP_4) | instskip(NEXT) | instid1(VALU_DEP_4)
	v_add_f64_e32 v[18:19], v[18:19], v[72:73]
	v_add_f64_e32 v[58:59], v[70:71], v[58:59]
	s_delay_alu instid0(VALU_DEP_4) | instskip(NEXT) | instid1(VALU_DEP_4)
	v_fma_f64 v[68:69], v[64:65], v[8:9], -v[68:69]
	v_fmac_f64_e32 v[10:11], v[66:67], v[8:9]
	s_delay_alu instid0(VALU_DEP_2)
	v_add_f64_e32 v[14:15], v[14:15], v[68:69]
	ds_load_b128 v[64:67], v80 offset:160
	ds_load_b128 v[68:71], v26 offset:5120
	v_add_f64_e32 v[16:17], v[10:11], v[16:17]
	s_wait_dscnt 0x0
	v_mul_f64_e32 v[8:9], v[66:67], v[70:71]
	v_mul_f64_e32 v[10:11], v[64:65], v[70:71]
	s_delay_alu instid0(VALU_DEP_2) | instskip(NEXT) | instid1(VALU_DEP_2)
	v_fma_f64 v[8:9], v[64:65], v[68:69], -v[8:9]
	v_fmac_f64_e32 v[10:11], v[66:67], v[68:69]
	s_delay_alu instid0(VALU_DEP_2) | instskip(NEXT) | instid1(VALU_DEP_2)
	v_add_f64_e32 v[8:9], v[60:61], v[8:9]
	v_add_f64_e32 v[10:11], v[10:11], v[62:63]
	ds_load_b128 v[60:63], v26 offset:5376
	s_wait_dscnt 0x0
	v_mul_f64_e32 v[72:73], v[66:67], v[62:63]
	s_delay_alu instid0(VALU_DEP_1) | instskip(SKIP_1) | instid1(VALU_DEP_2)
	v_fma_f64 v[72:73], v[64:65], v[60:61], -v[72:73]
	v_mul_f64_e32 v[64:65], v[64:65], v[62:63]
	v_add_f64_e32 v[2:3], v[2:3], v[72:73]
	s_delay_alu instid0(VALU_DEP_2) | instskip(NEXT) | instid1(VALU_DEP_1)
	v_fmac_f64_e32 v[64:65], v[66:67], v[60:61]
	v_add_f64_e32 v[12:13], v[64:65], v[12:13]
	ds_load_b128 v[64:67], v80 offset:8352
	s_wait_dscnt 0x0
	v_mul_f64_e32 v[72:73], v[66:67], v[70:71]
	v_mul_f64_e32 v[70:71], v[64:65], v[70:71]
	s_delay_alu instid0(VALU_DEP_2) | instskip(NEXT) | instid1(VALU_DEP_2)
	v_fma_f64 v[72:73], v[64:65], v[68:69], -v[72:73]
	v_fmac_f64_e32 v[70:71], v[66:67], v[68:69]
	v_mul_f64_e32 v[68:69], v[66:67], v[62:63]
	v_mul_f64_e32 v[62:63], v[64:65], v[62:63]
	s_delay_alu instid0(VALU_DEP_4) | instskip(NEXT) | instid1(VALU_DEP_4)
	v_add_f64_e32 v[18:19], v[18:19], v[72:73]
	v_add_f64_e32 v[58:59], v[70:71], v[58:59]
	s_delay_alu instid0(VALU_DEP_4) | instskip(NEXT) | instid1(VALU_DEP_4)
	v_fma_f64 v[68:69], v[64:65], v[60:61], -v[68:69]
	v_fmac_f64_e32 v[62:63], v[66:67], v[60:61]
	s_delay_alu instid0(VALU_DEP_2)
	v_add_f64_e32 v[14:15], v[14:15], v[68:69]
	ds_load_b128 v[64:67], v80 offset:176
	ds_load_b128 v[68:71], v26 offset:5632
	v_add_f64_e32 v[16:17], v[62:63], v[16:17]
	s_wait_dscnt 0x0
	v_mul_f64_e32 v[60:61], v[66:67], v[70:71]
	v_mul_f64_e32 v[62:63], v[64:65], v[70:71]
	s_delay_alu instid0(VALU_DEP_2) | instskip(NEXT) | instid1(VALU_DEP_2)
	v_fma_f64 v[60:61], v[64:65], v[68:69], -v[60:61]
	v_fmac_f64_e32 v[62:63], v[66:67], v[68:69]
	s_delay_alu instid0(VALU_DEP_2) | instskip(NEXT) | instid1(VALU_DEP_2)
	v_add_f64_e32 v[60:61], v[8:9], v[60:61]
	v_add_f64_e32 v[62:63], v[62:63], v[10:11]
	ds_load_b128 v[8:11], v26 offset:5888
	s_wait_dscnt 0x0
	v_mul_f64_e32 v[72:73], v[66:67], v[10:11]
	s_delay_alu instid0(VALU_DEP_1) | instskip(SKIP_1) | instid1(VALU_DEP_2)
	v_fma_f64 v[72:73], v[64:65], v[8:9], -v[72:73]
	v_mul_f64_e32 v[64:65], v[64:65], v[10:11]
	v_add_f64_e32 v[2:3], v[2:3], v[72:73]
	s_delay_alu instid0(VALU_DEP_2) | instskip(NEXT) | instid1(VALU_DEP_1)
	v_fmac_f64_e32 v[64:65], v[66:67], v[8:9]
	v_add_f64_e32 v[12:13], v[64:65], v[12:13]
	ds_load_b128 v[64:67], v80 offset:8368
	s_wait_dscnt 0x0
	v_mul_f64_e32 v[72:73], v[66:67], v[70:71]
	v_mul_f64_e32 v[70:71], v[64:65], v[70:71]
	s_delay_alu instid0(VALU_DEP_2) | instskip(NEXT) | instid1(VALU_DEP_2)
	v_fma_f64 v[72:73], v[64:65], v[68:69], -v[72:73]
	v_fmac_f64_e32 v[70:71], v[66:67], v[68:69]
	v_mul_f64_e32 v[68:69], v[66:67], v[10:11]
	v_mul_f64_e32 v[10:11], v[64:65], v[10:11]
	s_delay_alu instid0(VALU_DEP_4) | instskip(NEXT) | instid1(VALU_DEP_4)
	v_add_f64_e32 v[18:19], v[18:19], v[72:73]
	v_add_f64_e32 v[58:59], v[70:71], v[58:59]
	s_delay_alu instid0(VALU_DEP_4) | instskip(NEXT) | instid1(VALU_DEP_4)
	v_fma_f64 v[68:69], v[64:65], v[8:9], -v[68:69]
	v_fmac_f64_e32 v[10:11], v[66:67], v[8:9]
	s_delay_alu instid0(VALU_DEP_2)
	v_add_f64_e32 v[14:15], v[14:15], v[68:69]
	ds_load_b128 v[64:67], v80 offset:192
	ds_load_b128 v[68:71], v26 offset:6144
	v_add_f64_e32 v[16:17], v[10:11], v[16:17]
	s_wait_dscnt 0x0
	v_mul_f64_e32 v[8:9], v[66:67], v[70:71]
	v_mul_f64_e32 v[10:11], v[64:65], v[70:71]
	s_delay_alu instid0(VALU_DEP_2) | instskip(NEXT) | instid1(VALU_DEP_2)
	v_fma_f64 v[8:9], v[64:65], v[68:69], -v[8:9]
	v_fmac_f64_e32 v[10:11], v[66:67], v[68:69]
	s_delay_alu instid0(VALU_DEP_2) | instskip(NEXT) | instid1(VALU_DEP_2)
	v_add_f64_e32 v[8:9], v[60:61], v[8:9]
	v_add_f64_e32 v[10:11], v[10:11], v[62:63]
	ds_load_b128 v[60:63], v26 offset:6400
	s_wait_dscnt 0x0
	v_mul_f64_e32 v[72:73], v[66:67], v[62:63]
	s_delay_alu instid0(VALU_DEP_1) | instskip(SKIP_1) | instid1(VALU_DEP_2)
	v_fma_f64 v[72:73], v[64:65], v[60:61], -v[72:73]
	v_mul_f64_e32 v[64:65], v[64:65], v[62:63]
	v_add_f64_e32 v[2:3], v[2:3], v[72:73]
	s_delay_alu instid0(VALU_DEP_2) | instskip(NEXT) | instid1(VALU_DEP_1)
	v_fmac_f64_e32 v[64:65], v[66:67], v[60:61]
	v_add_f64_e32 v[12:13], v[64:65], v[12:13]
	ds_load_b128 v[64:67], v80 offset:8384
	s_wait_dscnt 0x0
	v_mul_f64_e32 v[72:73], v[66:67], v[70:71]
	v_mul_f64_e32 v[70:71], v[64:65], v[70:71]
	s_delay_alu instid0(VALU_DEP_2) | instskip(NEXT) | instid1(VALU_DEP_2)
	v_fma_f64 v[72:73], v[64:65], v[68:69], -v[72:73]
	v_fmac_f64_e32 v[70:71], v[66:67], v[68:69]
	v_mul_f64_e32 v[68:69], v[66:67], v[62:63]
	v_mul_f64_e32 v[62:63], v[64:65], v[62:63]
	s_delay_alu instid0(VALU_DEP_4) | instskip(NEXT) | instid1(VALU_DEP_4)
	v_add_f64_e32 v[18:19], v[18:19], v[72:73]
	v_add_f64_e32 v[58:59], v[70:71], v[58:59]
	s_delay_alu instid0(VALU_DEP_4) | instskip(NEXT) | instid1(VALU_DEP_4)
	v_fma_f64 v[68:69], v[64:65], v[60:61], -v[68:69]
	v_fmac_f64_e32 v[62:63], v[66:67], v[60:61]
	s_delay_alu instid0(VALU_DEP_2)
	v_add_f64_e32 v[14:15], v[14:15], v[68:69]
	ds_load_b128 v[64:67], v80 offset:208
	ds_load_b128 v[68:71], v26 offset:6656
	v_add_f64_e32 v[16:17], v[62:63], v[16:17]
	s_wait_dscnt 0x0
	v_mul_f64_e32 v[60:61], v[66:67], v[70:71]
	v_mul_f64_e32 v[62:63], v[64:65], v[70:71]
	s_delay_alu instid0(VALU_DEP_2) | instskip(NEXT) | instid1(VALU_DEP_2)
	v_fma_f64 v[60:61], v[64:65], v[68:69], -v[60:61]
	v_fmac_f64_e32 v[62:63], v[66:67], v[68:69]
	s_delay_alu instid0(VALU_DEP_2) | instskip(NEXT) | instid1(VALU_DEP_2)
	v_add_f64_e32 v[60:61], v[8:9], v[60:61]
	v_add_f64_e32 v[62:63], v[62:63], v[10:11]
	ds_load_b128 v[8:11], v26 offset:6912
	s_wait_dscnt 0x0
	v_mul_f64_e32 v[72:73], v[66:67], v[10:11]
	s_delay_alu instid0(VALU_DEP_1) | instskip(SKIP_1) | instid1(VALU_DEP_2)
	v_fma_f64 v[72:73], v[64:65], v[8:9], -v[72:73]
	v_mul_f64_e32 v[64:65], v[64:65], v[10:11]
	v_add_f64_e32 v[2:3], v[2:3], v[72:73]
	s_delay_alu instid0(VALU_DEP_2) | instskip(NEXT) | instid1(VALU_DEP_1)
	v_fmac_f64_e32 v[64:65], v[66:67], v[8:9]
	v_add_f64_e32 v[12:13], v[64:65], v[12:13]
	ds_load_b128 v[64:67], v80 offset:8400
	s_wait_dscnt 0x0
	v_mul_f64_e32 v[72:73], v[66:67], v[70:71]
	v_mul_f64_e32 v[70:71], v[64:65], v[70:71]
	s_delay_alu instid0(VALU_DEP_2) | instskip(NEXT) | instid1(VALU_DEP_2)
	v_fma_f64 v[72:73], v[64:65], v[68:69], -v[72:73]
	v_fmac_f64_e32 v[70:71], v[66:67], v[68:69]
	v_mul_f64_e32 v[68:69], v[66:67], v[10:11]
	v_mul_f64_e32 v[10:11], v[64:65], v[10:11]
	s_delay_alu instid0(VALU_DEP_4) | instskip(NEXT) | instid1(VALU_DEP_4)
	v_add_f64_e32 v[18:19], v[18:19], v[72:73]
	v_add_f64_e32 v[58:59], v[70:71], v[58:59]
	s_delay_alu instid0(VALU_DEP_4) | instskip(NEXT) | instid1(VALU_DEP_4)
	v_fma_f64 v[68:69], v[64:65], v[8:9], -v[68:69]
	v_fmac_f64_e32 v[10:11], v[66:67], v[8:9]
	s_delay_alu instid0(VALU_DEP_2)
	v_add_f64_e32 v[14:15], v[14:15], v[68:69]
	ds_load_b128 v[64:67], v80 offset:224
	ds_load_b128 v[68:71], v26 offset:7168
	v_add_f64_e32 v[16:17], v[10:11], v[16:17]
	s_wait_dscnt 0x0
	v_mul_f64_e32 v[8:9], v[66:67], v[70:71]
	v_mul_f64_e32 v[10:11], v[64:65], v[70:71]
	s_delay_alu instid0(VALU_DEP_2) | instskip(NEXT) | instid1(VALU_DEP_2)
	v_fma_f64 v[8:9], v[64:65], v[68:69], -v[8:9]
	v_fmac_f64_e32 v[10:11], v[66:67], v[68:69]
	s_delay_alu instid0(VALU_DEP_2) | instskip(NEXT) | instid1(VALU_DEP_2)
	v_add_f64_e32 v[8:9], v[60:61], v[8:9]
	v_add_f64_e32 v[10:11], v[10:11], v[62:63]
	ds_load_b128 v[60:63], v26 offset:7424
	s_wait_dscnt 0x0
	v_mul_f64_e32 v[72:73], v[66:67], v[62:63]
	s_delay_alu instid0(VALU_DEP_1) | instskip(SKIP_1) | instid1(VALU_DEP_2)
	v_fma_f64 v[72:73], v[64:65], v[60:61], -v[72:73]
	v_mul_f64_e32 v[64:65], v[64:65], v[62:63]
	v_add_f64_e32 v[2:3], v[2:3], v[72:73]
	s_delay_alu instid0(VALU_DEP_2) | instskip(NEXT) | instid1(VALU_DEP_1)
	v_fmac_f64_e32 v[64:65], v[66:67], v[60:61]
	v_add_f64_e32 v[12:13], v[64:65], v[12:13]
	ds_load_b128 v[64:67], v80 offset:8416
	s_wait_dscnt 0x0
	v_mul_f64_e32 v[72:73], v[66:67], v[70:71]
	v_mul_f64_e32 v[70:71], v[64:65], v[70:71]
	s_delay_alu instid0(VALU_DEP_2) | instskip(NEXT) | instid1(VALU_DEP_2)
	v_fma_f64 v[72:73], v[64:65], v[68:69], -v[72:73]
	v_fmac_f64_e32 v[70:71], v[66:67], v[68:69]
	v_mul_f64_e32 v[68:69], v[66:67], v[62:63]
	v_mul_f64_e32 v[62:63], v[64:65], v[62:63]
	s_delay_alu instid0(VALU_DEP_4) | instskip(NEXT) | instid1(VALU_DEP_4)
	v_add_f64_e32 v[18:19], v[18:19], v[72:73]
	v_add_f64_e32 v[58:59], v[70:71], v[58:59]
	s_delay_alu instid0(VALU_DEP_4) | instskip(NEXT) | instid1(VALU_DEP_4)
	v_fma_f64 v[68:69], v[64:65], v[60:61], -v[68:69]
	v_fmac_f64_e32 v[62:63], v[66:67], v[60:61]
	s_delay_alu instid0(VALU_DEP_2)
	v_add_f64_e32 v[14:15], v[14:15], v[68:69]
	ds_load_b128 v[64:67], v80 offset:240
	ds_load_b128 v[68:71], v26 offset:7680
	v_add_f64_e32 v[16:17], v[62:63], v[16:17]
	s_wait_dscnt 0x0
	v_mul_f64_e32 v[60:61], v[66:67], v[70:71]
	v_mul_f64_e32 v[62:63], v[64:65], v[70:71]
	s_delay_alu instid0(VALU_DEP_2) | instskip(NEXT) | instid1(VALU_DEP_2)
	v_fma_f64 v[60:61], v[64:65], v[68:69], -v[60:61]
	v_fmac_f64_e32 v[62:63], v[66:67], v[68:69]
	s_delay_alu instid0(VALU_DEP_2) | instskip(NEXT) | instid1(VALU_DEP_2)
	v_add_f64_e32 v[60:61], v[8:9], v[60:61]
	v_add_f64_e32 v[62:63], v[62:63], v[10:11]
	ds_load_b128 v[8:11], v26 offset:7936
	s_wait_dscnt 0x0
	v_mul_f64_e32 v[72:73], v[66:67], v[10:11]
	s_delay_alu instid0(VALU_DEP_1) | instskip(SKIP_1) | instid1(VALU_DEP_2)
	v_fma_f64 v[72:73], v[64:65], v[8:9], -v[72:73]
	v_mul_f64_e32 v[64:65], v[64:65], v[10:11]
	v_add_f64_e32 v[2:3], v[2:3], v[72:73]
	s_delay_alu instid0(VALU_DEP_2) | instskip(NEXT) | instid1(VALU_DEP_1)
	v_fmac_f64_e32 v[64:65], v[66:67], v[8:9]
	v_add_f64_e32 v[12:13], v[64:65], v[12:13]
	ds_load_b128 v[64:67], v80 offset:8432
	s_wait_dscnt 0x0
	v_mul_f64_e32 v[72:73], v[66:67], v[70:71]
	v_mul_f64_e32 v[70:71], v[64:65], v[70:71]
	s_delay_alu instid0(VALU_DEP_2) | instskip(NEXT) | instid1(VALU_DEP_2)
	v_fma_f64 v[72:73], v[64:65], v[68:69], -v[72:73]
	v_fmac_f64_e32 v[70:71], v[66:67], v[68:69]
	v_mul_f64_e32 v[68:69], v[66:67], v[10:11]
	v_mul_f64_e32 v[10:11], v[64:65], v[10:11]
	s_delay_alu instid0(VALU_DEP_4) | instskip(NEXT) | instid1(VALU_DEP_4)
	v_add_f64_e32 v[18:19], v[18:19], v[72:73]
	v_add_f64_e32 v[58:59], v[70:71], v[58:59]
	s_delay_alu instid0(VALU_DEP_4) | instskip(NEXT) | instid1(VALU_DEP_4)
	v_fma_f64 v[68:69], v[64:65], v[8:9], -v[68:69]
	v_fmac_f64_e32 v[10:11], v[66:67], v[8:9]
	s_delay_alu instid0(VALU_DEP_2)
	v_add_f64_e32 v[14:15], v[14:15], v[68:69]
	ds_load_b128 v[64:67], v80 offset:256
	ds_load_b128 v[68:71], v26 offset:8192
	v_add_f64_e32 v[16:17], v[10:11], v[16:17]
	s_wait_dscnt 0x0
	v_mul_f64_e32 v[8:9], v[66:67], v[70:71]
	v_mul_f64_e32 v[10:11], v[64:65], v[70:71]
	s_delay_alu instid0(VALU_DEP_2) | instskip(NEXT) | instid1(VALU_DEP_2)
	v_fma_f64 v[8:9], v[64:65], v[68:69], -v[8:9]
	v_fmac_f64_e32 v[10:11], v[66:67], v[68:69]
	s_delay_alu instid0(VALU_DEP_2) | instskip(NEXT) | instid1(VALU_DEP_2)
	v_add_f64_e32 v[8:9], v[60:61], v[8:9]
	v_add_f64_e32 v[10:11], v[10:11], v[62:63]
	ds_load_b128 v[60:63], v26 offset:8448
	s_wait_dscnt 0x0
	v_mul_f64_e32 v[72:73], v[66:67], v[62:63]
	s_delay_alu instid0(VALU_DEP_1) | instskip(SKIP_1) | instid1(VALU_DEP_2)
	v_fma_f64 v[72:73], v[64:65], v[60:61], -v[72:73]
	v_mul_f64_e32 v[64:65], v[64:65], v[62:63]
	v_add_f64_e32 v[2:3], v[2:3], v[72:73]
	s_delay_alu instid0(VALU_DEP_2) | instskip(NEXT) | instid1(VALU_DEP_1)
	v_fmac_f64_e32 v[64:65], v[66:67], v[60:61]
	v_add_f64_e32 v[12:13], v[64:65], v[12:13]
	ds_load_b128 v[64:67], v80 offset:8448
	s_wait_dscnt 0x0
	v_mul_f64_e32 v[72:73], v[66:67], v[70:71]
	v_mul_f64_e32 v[70:71], v[64:65], v[70:71]
	s_delay_alu instid0(VALU_DEP_2) | instskip(NEXT) | instid1(VALU_DEP_2)
	v_fma_f64 v[72:73], v[64:65], v[68:69], -v[72:73]
	v_fmac_f64_e32 v[70:71], v[66:67], v[68:69]
	v_mul_f64_e32 v[68:69], v[66:67], v[62:63]
	v_mul_f64_e32 v[62:63], v[64:65], v[62:63]
	s_delay_alu instid0(VALU_DEP_4) | instskip(NEXT) | instid1(VALU_DEP_4)
	v_add_f64_e32 v[18:19], v[18:19], v[72:73]
	v_add_f64_e32 v[58:59], v[70:71], v[58:59]
	s_delay_alu instid0(VALU_DEP_4) | instskip(NEXT) | instid1(VALU_DEP_4)
	v_fma_f64 v[68:69], v[64:65], v[60:61], -v[68:69]
	v_fmac_f64_e32 v[62:63], v[66:67], v[60:61]
	s_delay_alu instid0(VALU_DEP_2)
	v_add_f64_e32 v[14:15], v[14:15], v[68:69]
	ds_load_b128 v[64:67], v80 offset:272
	ds_load_b128 v[68:71], v26 offset:8704
	v_add_f64_e32 v[16:17], v[62:63], v[16:17]
	s_wait_dscnt 0x0
	v_mul_f64_e32 v[60:61], v[66:67], v[70:71]
	v_mul_f64_e32 v[62:63], v[64:65], v[70:71]
	s_delay_alu instid0(VALU_DEP_2) | instskip(NEXT) | instid1(VALU_DEP_2)
	v_fma_f64 v[60:61], v[64:65], v[68:69], -v[60:61]
	v_fmac_f64_e32 v[62:63], v[66:67], v[68:69]
	s_delay_alu instid0(VALU_DEP_2) | instskip(NEXT) | instid1(VALU_DEP_2)
	v_add_f64_e32 v[60:61], v[8:9], v[60:61]
	v_add_f64_e32 v[62:63], v[62:63], v[10:11]
	ds_load_b128 v[8:11], v26 offset:8960
	s_wait_dscnt 0x0
	v_mul_f64_e32 v[72:73], v[66:67], v[10:11]
	s_delay_alu instid0(VALU_DEP_1) | instskip(SKIP_1) | instid1(VALU_DEP_2)
	v_fma_f64 v[72:73], v[64:65], v[8:9], -v[72:73]
	v_mul_f64_e32 v[64:65], v[64:65], v[10:11]
	v_add_f64_e32 v[2:3], v[2:3], v[72:73]
	s_delay_alu instid0(VALU_DEP_2) | instskip(NEXT) | instid1(VALU_DEP_1)
	v_fmac_f64_e32 v[64:65], v[66:67], v[8:9]
	v_add_f64_e32 v[12:13], v[64:65], v[12:13]
	ds_load_b128 v[64:67], v80 offset:8464
	s_wait_dscnt 0x0
	v_mul_f64_e32 v[72:73], v[66:67], v[70:71]
	v_mul_f64_e32 v[70:71], v[64:65], v[70:71]
	s_delay_alu instid0(VALU_DEP_2) | instskip(NEXT) | instid1(VALU_DEP_2)
	v_fma_f64 v[72:73], v[64:65], v[68:69], -v[72:73]
	v_fmac_f64_e32 v[70:71], v[66:67], v[68:69]
	v_mul_f64_e32 v[68:69], v[66:67], v[10:11]
	v_mul_f64_e32 v[10:11], v[64:65], v[10:11]
	s_delay_alu instid0(VALU_DEP_4) | instskip(NEXT) | instid1(VALU_DEP_4)
	v_add_f64_e32 v[18:19], v[18:19], v[72:73]
	v_add_f64_e32 v[58:59], v[70:71], v[58:59]
	s_delay_alu instid0(VALU_DEP_4) | instskip(NEXT) | instid1(VALU_DEP_4)
	v_fma_f64 v[68:69], v[64:65], v[8:9], -v[68:69]
	v_fmac_f64_e32 v[10:11], v[66:67], v[8:9]
	s_delay_alu instid0(VALU_DEP_2)
	v_add_f64_e32 v[14:15], v[14:15], v[68:69]
	ds_load_b128 v[64:67], v80 offset:288
	ds_load_b128 v[68:71], v26 offset:9216
	v_add_f64_e32 v[16:17], v[10:11], v[16:17]
	s_wait_dscnt 0x0
	v_mul_f64_e32 v[8:9], v[66:67], v[70:71]
	v_mul_f64_e32 v[10:11], v[64:65], v[70:71]
	s_delay_alu instid0(VALU_DEP_2) | instskip(NEXT) | instid1(VALU_DEP_2)
	v_fma_f64 v[8:9], v[64:65], v[68:69], -v[8:9]
	v_fmac_f64_e32 v[10:11], v[66:67], v[68:69]
	s_delay_alu instid0(VALU_DEP_2) | instskip(NEXT) | instid1(VALU_DEP_2)
	v_add_f64_e32 v[8:9], v[60:61], v[8:9]
	v_add_f64_e32 v[10:11], v[10:11], v[62:63]
	ds_load_b128 v[60:63], v26 offset:9472
	s_wait_dscnt 0x0
	v_mul_f64_e32 v[72:73], v[66:67], v[62:63]
	s_delay_alu instid0(VALU_DEP_1) | instskip(SKIP_1) | instid1(VALU_DEP_2)
	v_fma_f64 v[72:73], v[64:65], v[60:61], -v[72:73]
	v_mul_f64_e32 v[64:65], v[64:65], v[62:63]
	v_add_f64_e32 v[2:3], v[2:3], v[72:73]
	s_delay_alu instid0(VALU_DEP_2) | instskip(NEXT) | instid1(VALU_DEP_1)
	v_fmac_f64_e32 v[64:65], v[66:67], v[60:61]
	v_add_f64_e32 v[12:13], v[64:65], v[12:13]
	ds_load_b128 v[64:67], v80 offset:8480
	s_wait_dscnt 0x0
	v_mul_f64_e32 v[72:73], v[66:67], v[70:71]
	v_mul_f64_e32 v[70:71], v[64:65], v[70:71]
	s_delay_alu instid0(VALU_DEP_2) | instskip(NEXT) | instid1(VALU_DEP_2)
	v_fma_f64 v[72:73], v[64:65], v[68:69], -v[72:73]
	v_fmac_f64_e32 v[70:71], v[66:67], v[68:69]
	v_mul_f64_e32 v[68:69], v[66:67], v[62:63]
	v_mul_f64_e32 v[62:63], v[64:65], v[62:63]
	s_delay_alu instid0(VALU_DEP_4) | instskip(NEXT) | instid1(VALU_DEP_4)
	v_add_f64_e32 v[18:19], v[18:19], v[72:73]
	v_add_f64_e32 v[58:59], v[70:71], v[58:59]
	s_delay_alu instid0(VALU_DEP_4) | instskip(NEXT) | instid1(VALU_DEP_4)
	v_fma_f64 v[68:69], v[64:65], v[60:61], -v[68:69]
	v_fmac_f64_e32 v[62:63], v[66:67], v[60:61]
	s_delay_alu instid0(VALU_DEP_2)
	v_add_f64_e32 v[14:15], v[14:15], v[68:69]
	ds_load_b128 v[64:67], v80 offset:304
	ds_load_b128 v[68:71], v26 offset:9728
	v_add_f64_e32 v[16:17], v[62:63], v[16:17]
	s_wait_dscnt 0x0
	v_mul_f64_e32 v[60:61], v[66:67], v[70:71]
	v_mul_f64_e32 v[62:63], v[64:65], v[70:71]
	s_delay_alu instid0(VALU_DEP_2) | instskip(NEXT) | instid1(VALU_DEP_2)
	v_fma_f64 v[60:61], v[64:65], v[68:69], -v[60:61]
	v_fmac_f64_e32 v[62:63], v[66:67], v[68:69]
	s_delay_alu instid0(VALU_DEP_2) | instskip(NEXT) | instid1(VALU_DEP_2)
	v_add_f64_e32 v[60:61], v[8:9], v[60:61]
	v_add_f64_e32 v[62:63], v[62:63], v[10:11]
	ds_load_b128 v[8:11], v26 offset:9984
	s_wait_dscnt 0x0
	v_mul_f64_e32 v[72:73], v[66:67], v[10:11]
	s_delay_alu instid0(VALU_DEP_1) | instskip(SKIP_1) | instid1(VALU_DEP_2)
	v_fma_f64 v[72:73], v[64:65], v[8:9], -v[72:73]
	v_mul_f64_e32 v[64:65], v[64:65], v[10:11]
	v_add_f64_e32 v[2:3], v[2:3], v[72:73]
	s_delay_alu instid0(VALU_DEP_2) | instskip(NEXT) | instid1(VALU_DEP_1)
	v_fmac_f64_e32 v[64:65], v[66:67], v[8:9]
	v_add_f64_e32 v[12:13], v[64:65], v[12:13]
	ds_load_b128 v[64:67], v80 offset:8496
	s_wait_dscnt 0x0
	v_mul_f64_e32 v[72:73], v[66:67], v[70:71]
	v_mul_f64_e32 v[70:71], v[64:65], v[70:71]
	s_delay_alu instid0(VALU_DEP_2) | instskip(NEXT) | instid1(VALU_DEP_2)
	v_fma_f64 v[72:73], v[64:65], v[68:69], -v[72:73]
	v_fmac_f64_e32 v[70:71], v[66:67], v[68:69]
	v_mul_f64_e32 v[68:69], v[66:67], v[10:11]
	v_mul_f64_e32 v[10:11], v[64:65], v[10:11]
	s_delay_alu instid0(VALU_DEP_4) | instskip(NEXT) | instid1(VALU_DEP_4)
	v_add_f64_e32 v[18:19], v[18:19], v[72:73]
	v_add_f64_e32 v[58:59], v[70:71], v[58:59]
	s_delay_alu instid0(VALU_DEP_4) | instskip(NEXT) | instid1(VALU_DEP_4)
	v_fma_f64 v[68:69], v[64:65], v[8:9], -v[68:69]
	v_fmac_f64_e32 v[10:11], v[66:67], v[8:9]
	s_delay_alu instid0(VALU_DEP_2)
	v_add_f64_e32 v[14:15], v[14:15], v[68:69]
	ds_load_b128 v[64:67], v80 offset:320
	ds_load_b128 v[68:71], v26 offset:10240
	v_add_f64_e32 v[16:17], v[10:11], v[16:17]
	s_wait_dscnt 0x0
	v_mul_f64_e32 v[8:9], v[66:67], v[70:71]
	v_mul_f64_e32 v[10:11], v[64:65], v[70:71]
	s_delay_alu instid0(VALU_DEP_2) | instskip(NEXT) | instid1(VALU_DEP_2)
	v_fma_f64 v[8:9], v[64:65], v[68:69], -v[8:9]
	v_fmac_f64_e32 v[10:11], v[66:67], v[68:69]
	s_delay_alu instid0(VALU_DEP_2) | instskip(NEXT) | instid1(VALU_DEP_2)
	v_add_f64_e32 v[8:9], v[60:61], v[8:9]
	v_add_f64_e32 v[10:11], v[10:11], v[62:63]
	ds_load_b128 v[60:63], v26 offset:10496
	s_wait_dscnt 0x0
	v_mul_f64_e32 v[72:73], v[66:67], v[62:63]
	s_delay_alu instid0(VALU_DEP_1) | instskip(SKIP_1) | instid1(VALU_DEP_2)
	v_fma_f64 v[72:73], v[64:65], v[60:61], -v[72:73]
	v_mul_f64_e32 v[64:65], v[64:65], v[62:63]
	v_add_f64_e32 v[2:3], v[2:3], v[72:73]
	s_delay_alu instid0(VALU_DEP_2) | instskip(NEXT) | instid1(VALU_DEP_1)
	v_fmac_f64_e32 v[64:65], v[66:67], v[60:61]
	v_add_f64_e32 v[12:13], v[64:65], v[12:13]
	ds_load_b128 v[64:67], v80 offset:8512
	s_wait_dscnt 0x0
	v_mul_f64_e32 v[72:73], v[66:67], v[70:71]
	v_mul_f64_e32 v[70:71], v[64:65], v[70:71]
	s_delay_alu instid0(VALU_DEP_2) | instskip(NEXT) | instid1(VALU_DEP_2)
	v_fma_f64 v[72:73], v[64:65], v[68:69], -v[72:73]
	v_fmac_f64_e32 v[70:71], v[66:67], v[68:69]
	v_mul_f64_e32 v[68:69], v[66:67], v[62:63]
	v_mul_f64_e32 v[62:63], v[64:65], v[62:63]
	s_delay_alu instid0(VALU_DEP_4) | instskip(NEXT) | instid1(VALU_DEP_4)
	v_add_f64_e32 v[18:19], v[18:19], v[72:73]
	v_add_f64_e32 v[58:59], v[70:71], v[58:59]
	s_delay_alu instid0(VALU_DEP_4) | instskip(NEXT) | instid1(VALU_DEP_4)
	v_fma_f64 v[68:69], v[64:65], v[60:61], -v[68:69]
	v_fmac_f64_e32 v[62:63], v[66:67], v[60:61]
	s_delay_alu instid0(VALU_DEP_2)
	v_add_f64_e32 v[14:15], v[14:15], v[68:69]
	ds_load_b128 v[64:67], v80 offset:336
	ds_load_b128 v[68:71], v26 offset:10752
	v_add_f64_e32 v[16:17], v[62:63], v[16:17]
	s_wait_dscnt 0x0
	v_mul_f64_e32 v[60:61], v[66:67], v[70:71]
	v_mul_f64_e32 v[62:63], v[64:65], v[70:71]
	s_delay_alu instid0(VALU_DEP_2) | instskip(NEXT) | instid1(VALU_DEP_2)
	v_fma_f64 v[60:61], v[64:65], v[68:69], -v[60:61]
	v_fmac_f64_e32 v[62:63], v[66:67], v[68:69]
	s_delay_alu instid0(VALU_DEP_2) | instskip(NEXT) | instid1(VALU_DEP_2)
	v_add_f64_e32 v[60:61], v[8:9], v[60:61]
	v_add_f64_e32 v[62:63], v[62:63], v[10:11]
	ds_load_b128 v[8:11], v26 offset:11008
	s_wait_dscnt 0x0
	v_mul_f64_e32 v[72:73], v[66:67], v[10:11]
	s_delay_alu instid0(VALU_DEP_1) | instskip(SKIP_1) | instid1(VALU_DEP_2)
	v_fma_f64 v[72:73], v[64:65], v[8:9], -v[72:73]
	v_mul_f64_e32 v[64:65], v[64:65], v[10:11]
	v_add_f64_e32 v[2:3], v[2:3], v[72:73]
	s_delay_alu instid0(VALU_DEP_2) | instskip(NEXT) | instid1(VALU_DEP_1)
	v_fmac_f64_e32 v[64:65], v[66:67], v[8:9]
	v_add_f64_e32 v[12:13], v[64:65], v[12:13]
	ds_load_b128 v[64:67], v80 offset:8528
	s_wait_dscnt 0x0
	v_mul_f64_e32 v[72:73], v[66:67], v[70:71]
	v_mul_f64_e32 v[70:71], v[64:65], v[70:71]
	s_delay_alu instid0(VALU_DEP_2) | instskip(NEXT) | instid1(VALU_DEP_2)
	v_fma_f64 v[72:73], v[64:65], v[68:69], -v[72:73]
	v_fmac_f64_e32 v[70:71], v[66:67], v[68:69]
	v_mul_f64_e32 v[68:69], v[66:67], v[10:11]
	v_mul_f64_e32 v[10:11], v[64:65], v[10:11]
	s_delay_alu instid0(VALU_DEP_4) | instskip(NEXT) | instid1(VALU_DEP_4)
	v_add_f64_e32 v[18:19], v[18:19], v[72:73]
	v_add_f64_e32 v[58:59], v[70:71], v[58:59]
	s_delay_alu instid0(VALU_DEP_4) | instskip(NEXT) | instid1(VALU_DEP_4)
	v_fma_f64 v[68:69], v[64:65], v[8:9], -v[68:69]
	v_fmac_f64_e32 v[10:11], v[66:67], v[8:9]
	s_delay_alu instid0(VALU_DEP_2)
	v_add_f64_e32 v[14:15], v[14:15], v[68:69]
	ds_load_b128 v[64:67], v80 offset:352
	ds_load_b128 v[68:71], v26 offset:11264
	v_add_f64_e32 v[16:17], v[10:11], v[16:17]
	s_wait_dscnt 0x0
	v_mul_f64_e32 v[8:9], v[66:67], v[70:71]
	v_mul_f64_e32 v[10:11], v[64:65], v[70:71]
	s_delay_alu instid0(VALU_DEP_2) | instskip(NEXT) | instid1(VALU_DEP_2)
	v_fma_f64 v[8:9], v[64:65], v[68:69], -v[8:9]
	v_fmac_f64_e32 v[10:11], v[66:67], v[68:69]
	s_delay_alu instid0(VALU_DEP_2) | instskip(NEXT) | instid1(VALU_DEP_2)
	v_add_f64_e32 v[8:9], v[60:61], v[8:9]
	v_add_f64_e32 v[10:11], v[10:11], v[62:63]
	ds_load_b128 v[60:63], v26 offset:11520
	s_wait_dscnt 0x0
	v_mul_f64_e32 v[72:73], v[66:67], v[62:63]
	s_delay_alu instid0(VALU_DEP_1) | instskip(SKIP_1) | instid1(VALU_DEP_2)
	v_fma_f64 v[72:73], v[64:65], v[60:61], -v[72:73]
	v_mul_f64_e32 v[64:65], v[64:65], v[62:63]
	v_add_f64_e32 v[2:3], v[2:3], v[72:73]
	s_delay_alu instid0(VALU_DEP_2) | instskip(NEXT) | instid1(VALU_DEP_1)
	v_fmac_f64_e32 v[64:65], v[66:67], v[60:61]
	v_add_f64_e32 v[12:13], v[64:65], v[12:13]
	ds_load_b128 v[64:67], v80 offset:8544
	s_wait_dscnt 0x0
	v_mul_f64_e32 v[72:73], v[66:67], v[70:71]
	v_mul_f64_e32 v[70:71], v[64:65], v[70:71]
	s_delay_alu instid0(VALU_DEP_2) | instskip(NEXT) | instid1(VALU_DEP_2)
	v_fma_f64 v[72:73], v[64:65], v[68:69], -v[72:73]
	v_fmac_f64_e32 v[70:71], v[66:67], v[68:69]
	v_mul_f64_e32 v[68:69], v[66:67], v[62:63]
	v_mul_f64_e32 v[62:63], v[64:65], v[62:63]
	s_delay_alu instid0(VALU_DEP_4) | instskip(NEXT) | instid1(VALU_DEP_4)
	v_add_f64_e32 v[18:19], v[18:19], v[72:73]
	v_add_f64_e32 v[58:59], v[70:71], v[58:59]
	s_delay_alu instid0(VALU_DEP_4) | instskip(NEXT) | instid1(VALU_DEP_4)
	v_fma_f64 v[68:69], v[64:65], v[60:61], -v[68:69]
	v_fmac_f64_e32 v[62:63], v[66:67], v[60:61]
	s_delay_alu instid0(VALU_DEP_2)
	v_add_f64_e32 v[14:15], v[14:15], v[68:69]
	ds_load_b128 v[64:67], v80 offset:368
	ds_load_b128 v[68:71], v26 offset:11776
	v_add_f64_e32 v[16:17], v[62:63], v[16:17]
	s_wait_dscnt 0x0
	v_mul_f64_e32 v[60:61], v[66:67], v[70:71]
	v_mul_f64_e32 v[62:63], v[64:65], v[70:71]
	s_delay_alu instid0(VALU_DEP_2) | instskip(NEXT) | instid1(VALU_DEP_2)
	v_fma_f64 v[60:61], v[64:65], v[68:69], -v[60:61]
	v_fmac_f64_e32 v[62:63], v[66:67], v[68:69]
	s_delay_alu instid0(VALU_DEP_2) | instskip(NEXT) | instid1(VALU_DEP_2)
	v_add_f64_e32 v[60:61], v[8:9], v[60:61]
	v_add_f64_e32 v[62:63], v[62:63], v[10:11]
	ds_load_b128 v[8:11], v26 offset:12032
	s_wait_dscnt 0x0
	v_mul_f64_e32 v[72:73], v[66:67], v[10:11]
	s_delay_alu instid0(VALU_DEP_1) | instskip(SKIP_1) | instid1(VALU_DEP_2)
	v_fma_f64 v[72:73], v[64:65], v[8:9], -v[72:73]
	v_mul_f64_e32 v[64:65], v[64:65], v[10:11]
	v_add_f64_e32 v[2:3], v[2:3], v[72:73]
	s_delay_alu instid0(VALU_DEP_2) | instskip(NEXT) | instid1(VALU_DEP_1)
	v_fmac_f64_e32 v[64:65], v[66:67], v[8:9]
	v_add_f64_e32 v[12:13], v[64:65], v[12:13]
	ds_load_b128 v[64:67], v80 offset:8560
	s_wait_dscnt 0x0
	v_mul_f64_e32 v[72:73], v[66:67], v[70:71]
	v_mul_f64_e32 v[70:71], v[64:65], v[70:71]
	s_delay_alu instid0(VALU_DEP_2) | instskip(NEXT) | instid1(VALU_DEP_2)
	v_fma_f64 v[72:73], v[64:65], v[68:69], -v[72:73]
	v_fmac_f64_e32 v[70:71], v[66:67], v[68:69]
	v_mul_f64_e32 v[68:69], v[66:67], v[10:11]
	v_mul_f64_e32 v[10:11], v[64:65], v[10:11]
	s_delay_alu instid0(VALU_DEP_4) | instskip(NEXT) | instid1(VALU_DEP_4)
	v_add_f64_e32 v[18:19], v[18:19], v[72:73]
	v_add_f64_e32 v[58:59], v[70:71], v[58:59]
	s_delay_alu instid0(VALU_DEP_4) | instskip(NEXT) | instid1(VALU_DEP_4)
	v_fma_f64 v[68:69], v[64:65], v[8:9], -v[68:69]
	v_fmac_f64_e32 v[10:11], v[66:67], v[8:9]
	s_delay_alu instid0(VALU_DEP_2)
	v_add_f64_e32 v[14:15], v[14:15], v[68:69]
	ds_load_b128 v[64:67], v80 offset:384
	ds_load_b128 v[68:71], v26 offset:12288
	v_add_f64_e32 v[16:17], v[10:11], v[16:17]
	s_wait_dscnt 0x0
	v_mul_f64_e32 v[8:9], v[66:67], v[70:71]
	v_mul_f64_e32 v[10:11], v[64:65], v[70:71]
	s_delay_alu instid0(VALU_DEP_2) | instskip(NEXT) | instid1(VALU_DEP_2)
	v_fma_f64 v[8:9], v[64:65], v[68:69], -v[8:9]
	v_fmac_f64_e32 v[10:11], v[66:67], v[68:69]
	s_delay_alu instid0(VALU_DEP_2) | instskip(NEXT) | instid1(VALU_DEP_2)
	v_add_f64_e32 v[8:9], v[60:61], v[8:9]
	v_add_f64_e32 v[10:11], v[10:11], v[62:63]
	ds_load_b128 v[60:63], v26 offset:12544
	s_wait_dscnt 0x0
	v_mul_f64_e32 v[72:73], v[66:67], v[62:63]
	s_delay_alu instid0(VALU_DEP_1) | instskip(SKIP_1) | instid1(VALU_DEP_2)
	v_fma_f64 v[72:73], v[64:65], v[60:61], -v[72:73]
	v_mul_f64_e32 v[64:65], v[64:65], v[62:63]
	v_add_f64_e32 v[2:3], v[2:3], v[72:73]
	s_delay_alu instid0(VALU_DEP_2) | instskip(NEXT) | instid1(VALU_DEP_1)
	v_fmac_f64_e32 v[64:65], v[66:67], v[60:61]
	v_add_f64_e32 v[12:13], v[64:65], v[12:13]
	ds_load_b128 v[64:67], v80 offset:8576
	s_wait_dscnt 0x0
	v_mul_f64_e32 v[72:73], v[66:67], v[70:71]
	v_mul_f64_e32 v[70:71], v[64:65], v[70:71]
	s_delay_alu instid0(VALU_DEP_2) | instskip(NEXT) | instid1(VALU_DEP_2)
	v_fma_f64 v[72:73], v[64:65], v[68:69], -v[72:73]
	v_fmac_f64_e32 v[70:71], v[66:67], v[68:69]
	v_mul_f64_e32 v[68:69], v[66:67], v[62:63]
	v_mul_f64_e32 v[62:63], v[64:65], v[62:63]
	s_delay_alu instid0(VALU_DEP_4) | instskip(NEXT) | instid1(VALU_DEP_4)
	v_add_f64_e32 v[18:19], v[18:19], v[72:73]
	v_add_f64_e32 v[58:59], v[70:71], v[58:59]
	s_delay_alu instid0(VALU_DEP_4) | instskip(NEXT) | instid1(VALU_DEP_4)
	v_fma_f64 v[68:69], v[64:65], v[60:61], -v[68:69]
	v_fmac_f64_e32 v[62:63], v[66:67], v[60:61]
	s_delay_alu instid0(VALU_DEP_2)
	v_add_f64_e32 v[14:15], v[14:15], v[68:69]
	ds_load_b128 v[64:67], v80 offset:400
	ds_load_b128 v[68:71], v26 offset:12800
	v_add_f64_e32 v[16:17], v[62:63], v[16:17]
	s_wait_dscnt 0x0
	v_mul_f64_e32 v[60:61], v[66:67], v[70:71]
	v_mul_f64_e32 v[62:63], v[64:65], v[70:71]
	s_delay_alu instid0(VALU_DEP_2) | instskip(NEXT) | instid1(VALU_DEP_2)
	v_fma_f64 v[60:61], v[64:65], v[68:69], -v[60:61]
	v_fmac_f64_e32 v[62:63], v[66:67], v[68:69]
	s_delay_alu instid0(VALU_DEP_2) | instskip(NEXT) | instid1(VALU_DEP_2)
	v_add_f64_e32 v[60:61], v[8:9], v[60:61]
	v_add_f64_e32 v[62:63], v[62:63], v[10:11]
	ds_load_b128 v[8:11], v26 offset:13056
	s_wait_dscnt 0x0
	v_mul_f64_e32 v[72:73], v[66:67], v[10:11]
	s_delay_alu instid0(VALU_DEP_1) | instskip(SKIP_1) | instid1(VALU_DEP_2)
	v_fma_f64 v[72:73], v[64:65], v[8:9], -v[72:73]
	v_mul_f64_e32 v[64:65], v[64:65], v[10:11]
	v_add_f64_e32 v[2:3], v[2:3], v[72:73]
	s_delay_alu instid0(VALU_DEP_2) | instskip(NEXT) | instid1(VALU_DEP_1)
	v_fmac_f64_e32 v[64:65], v[66:67], v[8:9]
	v_add_f64_e32 v[12:13], v[64:65], v[12:13]
	ds_load_b128 v[64:67], v80 offset:8592
	s_wait_dscnt 0x0
	v_mul_f64_e32 v[72:73], v[66:67], v[70:71]
	v_mul_f64_e32 v[70:71], v[64:65], v[70:71]
	s_delay_alu instid0(VALU_DEP_2) | instskip(NEXT) | instid1(VALU_DEP_2)
	v_fma_f64 v[72:73], v[64:65], v[68:69], -v[72:73]
	v_fmac_f64_e32 v[70:71], v[66:67], v[68:69]
	v_mul_f64_e32 v[68:69], v[66:67], v[10:11]
	v_mul_f64_e32 v[10:11], v[64:65], v[10:11]
	s_delay_alu instid0(VALU_DEP_4) | instskip(NEXT) | instid1(VALU_DEP_4)
	v_add_f64_e32 v[18:19], v[18:19], v[72:73]
	v_add_f64_e32 v[58:59], v[70:71], v[58:59]
	s_delay_alu instid0(VALU_DEP_4) | instskip(NEXT) | instid1(VALU_DEP_4)
	v_fma_f64 v[68:69], v[64:65], v[8:9], -v[68:69]
	v_fmac_f64_e32 v[10:11], v[66:67], v[8:9]
	s_delay_alu instid0(VALU_DEP_2)
	v_add_f64_e32 v[14:15], v[14:15], v[68:69]
	ds_load_b128 v[64:67], v80 offset:416
	ds_load_b128 v[68:71], v26 offset:13312
	v_add_f64_e32 v[16:17], v[10:11], v[16:17]
	s_wait_dscnt 0x0
	v_mul_f64_e32 v[8:9], v[66:67], v[70:71]
	v_mul_f64_e32 v[10:11], v[64:65], v[70:71]
	s_delay_alu instid0(VALU_DEP_2) | instskip(NEXT) | instid1(VALU_DEP_2)
	v_fma_f64 v[8:9], v[64:65], v[68:69], -v[8:9]
	v_fmac_f64_e32 v[10:11], v[66:67], v[68:69]
	s_delay_alu instid0(VALU_DEP_2) | instskip(NEXT) | instid1(VALU_DEP_2)
	v_add_f64_e32 v[8:9], v[60:61], v[8:9]
	v_add_f64_e32 v[10:11], v[10:11], v[62:63]
	ds_load_b128 v[60:63], v26 offset:13568
	s_wait_dscnt 0x0
	v_mul_f64_e32 v[72:73], v[66:67], v[62:63]
	s_delay_alu instid0(VALU_DEP_1) | instskip(SKIP_1) | instid1(VALU_DEP_2)
	v_fma_f64 v[72:73], v[64:65], v[60:61], -v[72:73]
	v_mul_f64_e32 v[64:65], v[64:65], v[62:63]
	v_add_f64_e32 v[2:3], v[2:3], v[72:73]
	s_delay_alu instid0(VALU_DEP_2) | instskip(NEXT) | instid1(VALU_DEP_1)
	v_fmac_f64_e32 v[64:65], v[66:67], v[60:61]
	v_add_f64_e32 v[12:13], v[64:65], v[12:13]
	ds_load_b128 v[64:67], v80 offset:8608
	s_wait_dscnt 0x0
	v_mul_f64_e32 v[72:73], v[66:67], v[70:71]
	v_mul_f64_e32 v[70:71], v[64:65], v[70:71]
	s_delay_alu instid0(VALU_DEP_2) | instskip(NEXT) | instid1(VALU_DEP_2)
	v_fma_f64 v[72:73], v[64:65], v[68:69], -v[72:73]
	v_fmac_f64_e32 v[70:71], v[66:67], v[68:69]
	v_mul_f64_e32 v[68:69], v[66:67], v[62:63]
	v_mul_f64_e32 v[62:63], v[64:65], v[62:63]
	s_delay_alu instid0(VALU_DEP_4) | instskip(NEXT) | instid1(VALU_DEP_4)
	v_add_f64_e32 v[18:19], v[18:19], v[72:73]
	v_add_f64_e32 v[58:59], v[70:71], v[58:59]
	s_delay_alu instid0(VALU_DEP_4) | instskip(NEXT) | instid1(VALU_DEP_4)
	v_fma_f64 v[68:69], v[64:65], v[60:61], -v[68:69]
	v_fmac_f64_e32 v[62:63], v[66:67], v[60:61]
	s_delay_alu instid0(VALU_DEP_2)
	v_add_f64_e32 v[14:15], v[14:15], v[68:69]
	ds_load_b128 v[64:67], v80 offset:432
	ds_load_b128 v[68:71], v26 offset:13824
	v_add_f64_e32 v[16:17], v[62:63], v[16:17]
	s_wait_dscnt 0x0
	v_mul_f64_e32 v[60:61], v[66:67], v[70:71]
	v_mul_f64_e32 v[62:63], v[64:65], v[70:71]
	s_delay_alu instid0(VALU_DEP_2) | instskip(NEXT) | instid1(VALU_DEP_2)
	v_fma_f64 v[60:61], v[64:65], v[68:69], -v[60:61]
	v_fmac_f64_e32 v[62:63], v[66:67], v[68:69]
	s_delay_alu instid0(VALU_DEP_2) | instskip(NEXT) | instid1(VALU_DEP_2)
	v_add_f64_e32 v[60:61], v[8:9], v[60:61]
	v_add_f64_e32 v[62:63], v[62:63], v[10:11]
	ds_load_b128 v[8:11], v26 offset:14080
	s_wait_dscnt 0x0
	v_mul_f64_e32 v[72:73], v[66:67], v[10:11]
	s_delay_alu instid0(VALU_DEP_1) | instskip(SKIP_1) | instid1(VALU_DEP_2)
	v_fma_f64 v[72:73], v[64:65], v[8:9], -v[72:73]
	v_mul_f64_e32 v[64:65], v[64:65], v[10:11]
	v_add_f64_e32 v[2:3], v[2:3], v[72:73]
	s_delay_alu instid0(VALU_DEP_2) | instskip(NEXT) | instid1(VALU_DEP_1)
	v_fmac_f64_e32 v[64:65], v[66:67], v[8:9]
	v_add_f64_e32 v[12:13], v[64:65], v[12:13]
	ds_load_b128 v[64:67], v80 offset:8624
	s_wait_dscnt 0x0
	v_mul_f64_e32 v[72:73], v[66:67], v[70:71]
	v_mul_f64_e32 v[70:71], v[64:65], v[70:71]
	s_delay_alu instid0(VALU_DEP_2) | instskip(NEXT) | instid1(VALU_DEP_2)
	v_fma_f64 v[72:73], v[64:65], v[68:69], -v[72:73]
	v_fmac_f64_e32 v[70:71], v[66:67], v[68:69]
	v_mul_f64_e32 v[68:69], v[66:67], v[10:11]
	v_mul_f64_e32 v[10:11], v[64:65], v[10:11]
	s_delay_alu instid0(VALU_DEP_4) | instskip(NEXT) | instid1(VALU_DEP_4)
	v_add_f64_e32 v[18:19], v[18:19], v[72:73]
	v_add_f64_e32 v[58:59], v[70:71], v[58:59]
	s_delay_alu instid0(VALU_DEP_4) | instskip(NEXT) | instid1(VALU_DEP_4)
	v_fma_f64 v[68:69], v[64:65], v[8:9], -v[68:69]
	v_fmac_f64_e32 v[10:11], v[66:67], v[8:9]
	ds_load_b128 v[64:67], v80 offset:448
	ds_load_b128 v[70:73], v26 offset:14336
	;; [unrolled: 1-line block ×3, first 2 shown]
	s_wait_dscnt 0x1
	v_mul_f64_e32 v[8:9], v[66:67], v[72:73]
	v_add_f64_e32 v[14:15], v[14:15], v[68:69]
	v_add_f64_e32 v[16:17], v[10:11], v[16:17]
	v_mul_f64_e32 v[10:11], v[64:65], v[72:73]
	s_delay_alu instid0(VALU_DEP_4) | instskip(NEXT) | instid1(VALU_DEP_2)
	v_fma_f64 v[8:9], v[64:65], v[70:71], -v[8:9]
	v_fmac_f64_e32 v[10:11], v[66:67], v[70:71]
	s_delay_alu instid0(VALU_DEP_2) | instskip(SKIP_2) | instid1(VALU_DEP_3)
	v_add_f64_e32 v[8:9], v[60:61], v[8:9]
	s_wait_dscnt 0x0
	v_mul_f64_e32 v[60:61], v[66:67], v[76:77]
	v_add_f64_e32 v[10:11], v[10:11], v[62:63]
	v_mul_f64_e32 v[62:63], v[64:65], v[76:77]
	s_delay_alu instid0(VALU_DEP_3) | instskip(NEXT) | instid1(VALU_DEP_2)
	v_fma_f64 v[60:61], v[64:65], v[74:75], -v[60:61]
	v_fmac_f64_e32 v[62:63], v[66:67], v[74:75]
	ds_load_b128 v[64:67], v80 offset:8640
	v_add_f64_e32 v[2:3], v[2:3], v[60:61]
	v_add_f64_e32 v[68:69], v[62:63], v[12:13]
	s_wait_dscnt 0x0
	v_mul_f64_e32 v[12:13], v[66:67], v[72:73]
	v_mul_f64_e32 v[62:63], v[64:65], v[72:73]
	s_delay_alu instid0(VALU_DEP_2) | instskip(NEXT) | instid1(VALU_DEP_2)
	v_fma_f64 v[12:13], v[64:65], v[70:71], -v[12:13]
	v_fmac_f64_e32 v[62:63], v[66:67], v[70:71]
	s_delay_alu instid0(VALU_DEP_2) | instskip(SKIP_1) | instid1(VALU_DEP_3)
	v_add_f64_e32 v[60:61], v[18:19], v[12:13]
	v_mul_f64_e32 v[12:13], v[66:67], v[76:77]
	v_add_f64_e32 v[62:63], v[62:63], v[58:59]
	v_mul_f64_e32 v[58:59], v[64:65], v[76:77]
	s_delay_alu instid0(VALU_DEP_3) | instskip(NEXT) | instid1(VALU_DEP_2)
	v_fma_f64 v[12:13], v[64:65], v[74:75], -v[12:13]
	v_fmac_f64_e32 v[58:59], v[66:67], v[74:75]
	s_delay_alu instid0(VALU_DEP_2)
	v_add_f64_e32 v[18:19], v[14:15], v[12:13]
	ds_load_b128 v[70:73], v80 offset:464
	ds_load_b128 v[12:15], v26 offset:14848
	v_add_f64_e32 v[58:59], v[58:59], v[16:17]
	s_wait_dscnt 0x0
	v_mul_f64_e32 v[16:17], v[72:73], v[14:15]
	v_mul_f64_e32 v[66:67], v[70:71], v[14:15]
	s_delay_alu instid0(VALU_DEP_2) | instskip(NEXT) | instid1(VALU_DEP_2)
	v_fma_f64 v[16:17], v[70:71], v[12:13], -v[16:17]
	v_fmac_f64_e32 v[66:67], v[72:73], v[12:13]
	s_delay_alu instid0(VALU_DEP_2) | instskip(NEXT) | instid1(VALU_DEP_2)
	v_add_f64_e32 v[64:65], v[8:9], v[16:17]
	v_add_f64_e32 v[66:67], v[66:67], v[10:11]
	ds_load_b128 v[8:11], v26 offset:15104
	s_wait_dscnt 0x0
	v_mul_f64_e32 v[16:17], v[72:73], v[10:11]
	s_delay_alu instid0(VALU_DEP_1) | instskip(SKIP_1) | instid1(VALU_DEP_2)
	v_fma_f64 v[16:17], v[70:71], v[8:9], -v[16:17]
	v_mul_f64_e32 v[70:71], v[70:71], v[10:11]
	v_add_f64_e32 v[2:3], v[2:3], v[16:17]
	s_delay_alu instid0(VALU_DEP_2) | instskip(NEXT) | instid1(VALU_DEP_1)
	v_fmac_f64_e32 v[70:71], v[72:73], v[8:9]
	v_add_f64_e32 v[16:17], v[70:71], v[68:69]
	ds_load_b128 v[68:71], v80 offset:8656
	s_wait_dscnt 0x0
	v_mul_f64_e32 v[72:73], v[70:71], v[14:15]
	v_mul_f64_e32 v[14:15], v[68:69], v[14:15]
	s_delay_alu instid0(VALU_DEP_2) | instskip(NEXT) | instid1(VALU_DEP_2)
	v_fma_f64 v[72:73], v[68:69], v[12:13], -v[72:73]
	v_fmac_f64_e32 v[14:15], v[70:71], v[12:13]
	s_delay_alu instid0(VALU_DEP_2) | instskip(SKIP_2) | instid1(VALU_DEP_4)
	v_add_f64_e32 v[12:13], v[60:61], v[72:73]
	v_mul_f64_e32 v[60:61], v[70:71], v[10:11]
	v_mul_f64_e32 v[10:11], v[68:69], v[10:11]
	v_add_f64_e32 v[14:15], v[14:15], v[62:63]
	s_delay_alu instid0(VALU_DEP_3) | instskip(NEXT) | instid1(VALU_DEP_3)
	v_fma_f64 v[60:61], v[68:69], v[8:9], -v[60:61]
	v_fmac_f64_e32 v[10:11], v[70:71], v[8:9]
	s_delay_alu instid0(VALU_DEP_2)
	v_add_f64_e32 v[18:19], v[18:19], v[60:61]
	ds_load_b128 v[60:63], v80 offset:480
	ds_load_b128 v[68:71], v26 offset:15360
	v_add_f64_e32 v[58:59], v[10:11], v[58:59]
	s_wait_dscnt 0x0
	v_mul_f64_e32 v[8:9], v[62:63], v[70:71]
	v_mul_f64_e32 v[10:11], v[60:61], v[70:71]
	s_delay_alu instid0(VALU_DEP_2) | instskip(NEXT) | instid1(VALU_DEP_2)
	v_fma_f64 v[8:9], v[60:61], v[68:69], -v[8:9]
	v_fmac_f64_e32 v[10:11], v[62:63], v[68:69]
	s_delay_alu instid0(VALU_DEP_2) | instskip(NEXT) | instid1(VALU_DEP_2)
	v_add_f64_e32 v[8:9], v[64:65], v[8:9]
	v_add_f64_e32 v[10:11], v[10:11], v[66:67]
	ds_load_b128 v[64:67], v26 offset:15616
	s_wait_dscnt 0x0
	v_mul_f64_e32 v[72:73], v[62:63], v[66:67]
	v_mul_f64_e32 v[74:75], v[60:61], v[66:67]
	s_delay_alu instid0(VALU_DEP_2) | instskip(NEXT) | instid1(VALU_DEP_2)
	v_fma_f64 v[72:73], v[60:61], v[64:65], -v[72:73]
	v_fmac_f64_e32 v[74:75], v[62:63], v[64:65]
	s_delay_alu instid0(VALU_DEP_2) | instskip(NEXT) | instid1(VALU_DEP_2)
	v_add_f64_e32 v[60:61], v[2:3], v[72:73]
	v_add_f64_e32 v[16:17], v[74:75], v[16:17]
	ds_load_b128 v[72:75], v80 offset:8672
	s_wait_dscnt 0x0
	v_mul_f64_e32 v[2:3], v[74:75], v[70:71]
	v_mul_f64_e32 v[62:63], v[72:73], v[70:71]
	s_delay_alu instid0(VALU_DEP_2) | instskip(NEXT) | instid1(VALU_DEP_2)
	v_fma_f64 v[2:3], v[72:73], v[68:69], -v[2:3]
	v_fmac_f64_e32 v[62:63], v[74:75], v[68:69]
	s_delay_alu instid0(VALU_DEP_2) | instskip(SKIP_2) | instid1(VALU_DEP_4)
	v_add_f64_e32 v[68:69], v[12:13], v[2:3]
	v_mul_f64_e32 v[12:13], v[72:73], v[66:67]
	v_mul_f64_e32 v[2:3], v[74:75], v[66:67]
	v_add_f64_e32 v[70:71], v[62:63], v[14:15]
	s_delay_alu instid0(VALU_DEP_3) | instskip(NEXT) | instid1(VALU_DEP_3)
	v_fmac_f64_e32 v[12:13], v[74:75], v[64:65]
	v_fma_f64 v[2:3], v[72:73], v[64:65], -v[2:3]
	s_delay_alu instid0(VALU_DEP_2)
	v_add_f64_e32 v[66:67], v[12:13], v[58:59]
	ds_load_b128 v[72:75], v80 offset:496
	ds_load_b128 v[12:15], v26 offset:15872
	v_add_f64_e32 v[2:3], v[18:19], v[2:3]
	s_wait_dscnt 0x0
	v_mul_f64_e32 v[18:19], v[74:75], v[14:15]
	v_mul_f64_e32 v[58:59], v[72:73], v[14:15]
	s_delay_alu instid0(VALU_DEP_2) | instskip(NEXT) | instid1(VALU_DEP_2)
	v_fma_f64 v[18:19], v[72:73], v[12:13], -v[18:19]
	v_fmac_f64_e32 v[58:59], v[74:75], v[12:13]
	s_delay_alu instid0(VALU_DEP_2) | instskip(NEXT) | instid1(VALU_DEP_2)
	v_add_f64_e32 v[62:63], v[8:9], v[18:19]
	v_add_f64_e32 v[64:65], v[58:59], v[10:11]
	ds_load_b128 v[8:11], v26 offset:16128
	s_wait_dscnt 0x0
	v_mul_f64_e32 v[18:19], v[74:75], v[10:11]
	s_delay_alu instid0(VALU_DEP_1) | instskip(SKIP_1) | instid1(VALU_DEP_2)
	v_fma_f64 v[18:19], v[72:73], v[8:9], -v[18:19]
	v_mul_f64_e32 v[72:73], v[72:73], v[10:11]
	v_add_f64_e32 v[58:59], v[60:61], v[18:19]
	s_delay_alu instid0(VALU_DEP_2) | instskip(NEXT) | instid1(VALU_DEP_1)
	v_fmac_f64_e32 v[72:73], v[74:75], v[8:9]
	v_add_f64_e32 v[60:61], v[72:73], v[16:17]
	ds_load_b128 v[16:19], v80 offset:8688
	s_wait_dscnt 0x0
	s_barrier_signal -1
	s_barrier_wait -1
	v_mul_f64_e32 v[72:73], v[18:19], v[14:15]
	v_mul_f64_e32 v[14:15], v[16:17], v[14:15]
	s_delay_alu instid0(VALU_DEP_2) | instskip(NEXT) | instid1(VALU_DEP_2)
	v_fma_f64 v[72:73], v[16:17], v[12:13], -v[72:73]
	v_fmac_f64_e32 v[14:15], v[18:19], v[12:13]
	v_mul_f64_e32 v[12:13], v[18:19], v[10:11]
	v_mul_f64_e32 v[10:11], v[16:17], v[10:11]
	s_delay_alu instid0(VALU_DEP_4) | instskip(NEXT) | instid1(VALU_DEP_4)
	v_add_f64_e32 v[72:73], v[68:69], v[72:73]
	v_add_f64_e32 v[68:69], v[14:15], v[70:71]
	s_delay_alu instid0(VALU_DEP_4) | instskip(NEXT) | instid1(VALU_DEP_4)
	v_fma_f64 v[12:13], v[16:17], v[8:9], -v[12:13]
	v_fmac_f64_e32 v[10:11], v[18:19], v[8:9]
	s_delay_alu instid0(VALU_DEP_2) | instskip(NEXT) | instid1(VALU_DEP_2)
	v_add_f64_e32 v[70:71], v[2:3], v[12:13]
	v_add_f64_e32 v[66:67], v[10:11], v[66:67]
	s_cbranch_scc1 .LBB114_59
.LBB114_11:                             ;   Parent Loop BB114_4 Depth=1
                                        ;     Parent Loop BB114_8 Depth=2
                                        ; =>    This Inner Loop Header: Depth=3
	v_add_nc_u64_e32 v[12:13], s[46:47], v[24:25]
	v_cmp_eq_u64_e64 s7, s[46:47], v[32:33]
	v_add_nc_u64_e32 v[8:9], s[38:39], v[46:47]
	s_delay_alu instid0(VALU_DEP_3) | instskip(SKIP_3) | instid1(SALU_CYCLE_1)
	v_cmp_le_i64_e64 s6, s[42:43], v[12:13]
	v_cmp_gt_i64_e64 s5, v[12:13], v[22:23]
	s_and_b32 s56, s52, s7
	s_or_b32 s7, s6, s5
	s_or_b32 s7, s7, s56
	s_delay_alu instid0(SALU_CYCLE_1) | instskip(NEXT) | instid1(SALU_CYCLE_1)
	s_nor_b32 s7, s0, s7
	s_and_saveexec_b32 s8, s7
	s_delay_alu instid0(SALU_CYCLE_1)
	s_xor_b32 s7, exec_lo, s8
	s_cbranch_execz .LBB114_13
; %bb.12:                               ;   in Loop: Header=BB114_11 Depth=3
	global_load_b128 v[14:17], v[8:9], off offset:-256
	s_wait_loadcnt 0x0
	ds_store_2addr_b64 v81, v[14:15], v[16:17] offset1:1
.LBB114_13:                             ;   in Loop: Header=BB114_11 Depth=3
	s_wait_xcnt 0x0
	s_or_saveexec_b32 s7, s7
	s_xor_b32 s55, s56, -1
	s_xor_b32 exec_lo, exec_lo, s7
	s_cbranch_execz .LBB114_19
; %bb.14:                               ;   in Loop: Header=BB114_11 Depth=3
	s_and_saveexec_b32 s8, s55
	s_delay_alu instid0(SALU_CYCLE_1)
	s_xor_b32 s8, exec_lo, s8
; %bb.15:                               ;   in Loop: Header=BB114_11 Depth=3
	v_dual_mov_b32 v14, v0 :: v_dual_mov_b32 v15, v0
	v_dual_mov_b32 v16, v0 :: v_dual_mov_b32 v17, v0
	ds_store_b128 v81, v[14:17]
; %bb.16:                               ;   in Loop: Header=BB114_11 Depth=3
	s_and_not1_saveexec_b32 s8, s8
; %bb.17:                               ;   in Loop: Header=BB114_11 Depth=3
	v_dual_mov_b32 v2, v0 :: v_dual_mov_b32 v3, v0
	ds_store_b128 v81, v[0:3]
; %bb.18:                               ;   in Loop: Header=BB114_11 Depth=3
	s_or_b32 exec_lo, exec_lo, s8
.LBB114_19:                             ;   in Loop: Header=BB114_11 Depth=3
	s_delay_alu instid0(SALU_CYCLE_1)
	s_or_b32 exec_lo, exec_lo, s7
	v_cmp_eq_u64_e64 s7, s[46:47], v[36:37]
	v_cmp_lt_i64_e64 s8, v[30:31], v[12:13]
	v_add_nc_u64_e32 v[10:11], s[38:39], v[48:49]
	s_and_b32 s7, s52, s7
	s_or_b32 s6, s6, s8
	s_delay_alu instid0(SALU_CYCLE_1) | instskip(NEXT) | instid1(SALU_CYCLE_1)
	s_or_b32 s6, s6, s7
	s_nor_b32 s6, s3, s6
	s_delay_alu instid0(SALU_CYCLE_1) | instskip(NEXT) | instid1(SALU_CYCLE_1)
	s_and_saveexec_b32 s8, s6
	s_xor_b32 s6, exec_lo, s8
	s_cbranch_execz .LBB114_21
; %bb.20:                               ;   in Loop: Header=BB114_11 Depth=3
	global_load_b128 v[14:17], v[10:11], off
	v_add_nc_u32_e32 v2, 0x100, v81
	s_wait_loadcnt 0x0
	ds_store_2addr_b64 v2, v[14:15], v[16:17] offset1:1
.LBB114_21:                             ;   in Loop: Header=BB114_11 Depth=3
	s_wait_xcnt 0x0
	s_and_not1_saveexec_b32 s6, s6
	s_cbranch_execz .LBB114_27
; %bb.22:                               ;   in Loop: Header=BB114_11 Depth=3
	s_xor_b32 s7, s7, -1
	s_delay_alu instid0(SALU_CYCLE_1) | instskip(NEXT) | instid1(SALU_CYCLE_1)
	s_and_saveexec_b32 s8, s7
	s_xor_b32 s7, exec_lo, s8
; %bb.23:                               ;   in Loop: Header=BB114_11 Depth=3
	v_dual_mov_b32 v14, v0 :: v_dual_mov_b32 v15, v0
	v_dual_mov_b32 v16, v0 :: v_dual_mov_b32 v17, v0
	ds_store_b128 v81, v[14:17] offset:256
; %bb.24:                               ;   in Loop: Header=BB114_11 Depth=3
	s_and_not1_saveexec_b32 s7, s7
; %bb.25:                               ;   in Loop: Header=BB114_11 Depth=3
	v_dual_mov_b32 v2, v0 :: v_dual_mov_b32 v3, v0
	ds_store_b128 v81, v[0:3] offset:256
; %bb.26:                               ;   in Loop: Header=BB114_11 Depth=3
	s_or_b32 exec_lo, exec_lo, s7
.LBB114_27:                             ;   in Loop: Header=BB114_11 Depth=3
	s_delay_alu instid0(SALU_CYCLE_1) | instskip(SKIP_2) | instid1(VALU_DEP_2)
	s_or_b32 exec_lo, exec_lo, s6
	v_add_nc_u64_e32 v[2:3], 16, v[12:13]
	v_cmp_eq_u64_e64 s7, s[46:47], v[38:39]
	v_cmp_le_i64_e64 s6, s[42:43], v[2:3]
	v_cmp_gt_i64_e64 s8, v[2:3], v[22:23]
	s_and_b32 s57, s52, s7
	s_or_b32 s7, s6, s8
	s_delay_alu instid0(SALU_CYCLE_1) | instskip(NEXT) | instid1(SALU_CYCLE_1)
	s_or_b32 s7, s7, s57
	s_nor_b32 s7, s0, s7
	s_delay_alu instid0(SALU_CYCLE_1) | instskip(NEXT) | instid1(SALU_CYCLE_1)
	s_and_saveexec_b32 s8, s7
	s_xor_b32 s7, exec_lo, s8
	s_cbranch_execz .LBB114_29
; %bb.28:                               ;   in Loop: Header=BB114_11 Depth=3
	global_load_b128 v[12:15], v[8:9], off
	v_add_nc_u32_e32 v2, 0x2000, v81
	s_wait_loadcnt 0x0
	ds_store_2addr_b64 v2, v[12:13], v[14:15] offset1:1
.LBB114_29:                             ;   in Loop: Header=BB114_11 Depth=3
	s_wait_xcnt 0x0
	s_and_not1_saveexec_b32 s7, s7
	s_cbranch_execz .LBB114_35
; %bb.30:                               ;   in Loop: Header=BB114_11 Depth=3
	s_xor_b32 s8, s57, -1
	s_delay_alu instid0(SALU_CYCLE_1) | instskip(NEXT) | instid1(SALU_CYCLE_1)
	s_and_saveexec_b32 s57, s8
	s_xor_b32 s8, exec_lo, s57
; %bb.31:                               ;   in Loop: Header=BB114_11 Depth=3
	v_dual_mov_b32 v12, v0 :: v_dual_mov_b32 v13, v0
	v_dual_mov_b32 v14, v0 :: v_dual_mov_b32 v15, v0
	ds_store_b128 v81, v[12:15] offset:8192
; %bb.32:                               ;   in Loop: Header=BB114_11 Depth=3
	s_and_not1_saveexec_b32 s8, s8
; %bb.33:                               ;   in Loop: Header=BB114_11 Depth=3
	v_dual_mov_b32 v2, v0 :: v_dual_mov_b32 v3, v0
	ds_store_b128 v81, v[0:3] offset:8192
; %bb.34:                               ;   in Loop: Header=BB114_11 Depth=3
	s_or_b32 exec_lo, exec_lo, s8
.LBB114_35:                             ;   in Loop: Header=BB114_11 Depth=3
	s_delay_alu instid0(SALU_CYCLE_1) | instskip(SKIP_1) | instid1(SALU_CYCLE_1)
	s_or_b32 exec_lo, exec_lo, s7
	s_or_b32 s5, s6, s5
	s_or_b32 s5, s5, s56
	s_delay_alu instid0(SALU_CYCLE_1) | instskip(NEXT) | instid1(SALU_CYCLE_1)
	s_nor_b32 s5, s3, s5
	s_and_saveexec_b32 s6, s5
	s_delay_alu instid0(SALU_CYCLE_1)
	s_xor_b32 s5, exec_lo, s6
	s_cbranch_execz .LBB114_37
; %bb.36:                               ;   in Loop: Header=BB114_11 Depth=3
	global_load_b128 v[8:11], v[10:11], off offset:256
	s_wait_loadcnt 0x0
	ds_store_2addr_b64 v83, v[8:9], v[10:11] offset1:1
.LBB114_37:                             ;   in Loop: Header=BB114_11 Depth=3
	s_wait_xcnt 0x0
	s_and_not1_saveexec_b32 s5, s5
	s_cbranch_execz .LBB114_43
; %bb.38:                               ;   in Loop: Header=BB114_11 Depth=3
	s_and_saveexec_b32 s6, s55
	s_delay_alu instid0(SALU_CYCLE_1)
	s_xor_b32 s6, exec_lo, s6
; %bb.39:                               ;   in Loop: Header=BB114_11 Depth=3
	v_dual_mov_b32 v8, v0 :: v_dual_mov_b32 v9, v0
	v_dual_mov_b32 v10, v0 :: v_dual_mov_b32 v11, v0
	ds_store_b128 v81, v[8:11] offset:8448
; %bb.40:                               ;   in Loop: Header=BB114_11 Depth=3
	s_and_not1_saveexec_b32 s6, s6
; %bb.41:                               ;   in Loop: Header=BB114_11 Depth=3
	v_dual_mov_b32 v2, v0 :: v_dual_mov_b32 v3, v0
	ds_store_b128 v81, v[0:3] offset:8448
; %bb.42:                               ;   in Loop: Header=BB114_11 Depth=3
	s_or_b32 exec_lo, exec_lo, s6
.LBB114_43:                             ;   in Loop: Header=BB114_11 Depth=3
	s_delay_alu instid0(SALU_CYCLE_1) | instskip(SKIP_1) | instid1(VALU_DEP_1)
	s_or_b32 exec_lo, exec_lo, s5
	v_add_nc_u64_e32 v[2:3], s[46:47], v[20:21]
	v_cmp_gt_i64_e64 s5, s[42:43], v[2:3]
	s_and_b32 s6, vcc_lo, s5
	s_delay_alu instid0(SALU_CYCLE_1) | instskip(NEXT) | instid1(SALU_CYCLE_1)
	s_xor_b32 s6, s6, -1
	s_and_saveexec_b32 s7, s6
	s_delay_alu instid0(SALU_CYCLE_1)
	s_xor_b32 s6, exec_lo, s7
; %bb.44:                               ;   in Loop: Header=BB114_11 Depth=3
	v_dual_mov_b32 v8, v0 :: v_dual_mov_b32 v9, v0
	v_dual_mov_b32 v10, v0 :: v_dual_mov_b32 v11, v0
	ds_store_b128 v82, v[8:11]
; %bb.45:                               ;   in Loop: Header=BB114_11 Depth=3
	s_or_saveexec_b32 s6, s6
	v_add_nc_u64_e32 v[8:9], s[38:39], v[54:55]
	s_xor_b32 exec_lo, exec_lo, s6
	s_cbranch_execz .LBB114_47
; %bb.46:                               ;   in Loop: Header=BB114_11 Depth=3
	global_load_b128 v[10:13], v[8:9], off offset:-256
	s_wait_loadcnt 0x0
	ds_store_2addr_b64 v82, v[10:11], v[12:13] offset1:1
.LBB114_47:                             ;   in Loop: Header=BB114_11 Depth=3
	s_wait_xcnt 0x0
	s_or_b32 exec_lo, exec_lo, s6
	v_cmp_gt_i64_e64 s6, s[20:21], v[2:3]
	s_and_b32 s7, vcc_lo, s6
	s_delay_alu instid0(SALU_CYCLE_1) | instskip(NEXT) | instid1(SALU_CYCLE_1)
	s_xor_b32 s7, s7, -1
	s_and_saveexec_b32 s8, s7
	s_delay_alu instid0(SALU_CYCLE_1)
	s_xor_b32 s7, exec_lo, s8
; %bb.48:                               ;   in Loop: Header=BB114_11 Depth=3
	v_dual_mov_b32 v8, v0 :: v_dual_mov_b32 v9, v0
	v_dual_mov_b32 v10, v0 :: v_dual_mov_b32 v11, v0
	ds_store_b128 v82, v[8:11] offset:256
                                        ; implicit-def: $vgpr8_vgpr9
; %bb.49:                               ;   in Loop: Header=BB114_11 Depth=3
	s_and_not1_saveexec_b32 s7, s7
	s_cbranch_execz .LBB114_51
; %bb.50:                               ;   in Loop: Header=BB114_11 Depth=3
	global_load_b128 v[8:11], v[8:9], off
	s_wait_loadcnt 0x0
	ds_store_2addr_b64 v84, v[8:9], v[10:11] offset1:1
.LBB114_51:                             ;   in Loop: Header=BB114_11 Depth=3
	s_wait_xcnt 0x0
	s_or_b32 exec_lo, exec_lo, s7
	s_and_b32 s5, s4, s5
	s_delay_alu instid0(SALU_CYCLE_1) | instskip(NEXT) | instid1(SALU_CYCLE_1)
	s_xor_b32 s5, s5, -1
	s_and_saveexec_b32 s7, s5
	s_delay_alu instid0(SALU_CYCLE_1)
	s_xor_b32 s5, exec_lo, s7
; %bb.52:                               ;   in Loop: Header=BB114_11 Depth=3
	v_dual_mov_b32 v8, v0 :: v_dual_mov_b32 v9, v0
	v_dual_mov_b32 v10, v0 :: v_dual_mov_b32 v11, v0
	ds_store_b128 v82, v[8:11] offset:8192
; %bb.53:                               ;   in Loop: Header=BB114_11 Depth=3
	s_or_saveexec_b32 s5, s5
	v_add_nc_u64_e32 v[2:3], s[38:39], v[56:57]
	s_xor_b32 exec_lo, exec_lo, s5
	s_cbranch_execz .LBB114_55
; %bb.54:                               ;   in Loop: Header=BB114_11 Depth=3
	global_load_b128 v[8:11], v[2:3], off offset:-256
	s_wait_loadcnt 0x0
	ds_store_2addr_b64 v85, v[8:9], v[10:11] offset1:1
.LBB114_55:                             ;   in Loop: Header=BB114_11 Depth=3
	s_wait_xcnt 0x0
	s_or_b32 exec_lo, exec_lo, s5
	s_and_b32 s5, s4, s6
	s_delay_alu instid0(SALU_CYCLE_1) | instskip(NEXT) | instid1(SALU_CYCLE_1)
	s_xor_b32 s5, s5, -1
	s_and_saveexec_b32 s6, s5
	s_delay_alu instid0(SALU_CYCLE_1)
	s_xor_b32 s5, exec_lo, s6
; %bb.56:                               ;   in Loop: Header=BB114_11 Depth=3
	v_dual_mov_b32 v8, v0 :: v_dual_mov_b32 v9, v0
	v_dual_mov_b32 v10, v0 :: v_dual_mov_b32 v11, v0
                                        ; implicit-def: $vgpr2_vgpr3
	ds_store_b128 v82, v[8:11] offset:8448
; %bb.57:                               ;   in Loop: Header=BB114_11 Depth=3
	s_and_not1_saveexec_b32 s5, s5
	s_cbranch_execz .LBB114_10
; %bb.58:                               ;   in Loop: Header=BB114_11 Depth=3
	global_load_b128 v[8:11], v[2:3], off
	s_wait_loadcnt 0x0
	ds_store_2addr_b64 v86, v[8:9], v[10:11] offset1:1
	s_branch .LBB114_10
.LBB114_59:                             ;   in Loop: Header=BB114_8 Depth=2
	s_delay_alu instid0(VALU_DEP_1) | instskip(SKIP_2) | instid1(VALU_DEP_2)
	v_mul_u64_e32 v[2:3], s[28:29], v[52:53]
	v_cmp_gt_i32_e32 vcc_lo, s10, v52
	s_and_b32 s5, s1, vcc_lo
	v_lshl_add_u64 v[2:3], v[2:3], 4, s[26:27]
	s_and_saveexec_b32 s4, s5
	s_cbranch_execz .LBB114_61
; %bb.60:                               ;   in Loop: Header=BB114_8 Depth=2
	s_delay_alu instid0(VALU_DEP_1)
	v_lshl_add_u64 v[12:13], v[22:23], 4, v[2:3]
	v_mul_f64_e32 v[14:15], v[6:7], v[64:65]
	v_mul_f64_e32 v[16:17], v[4:5], v[64:65]
	global_load_b128 v[8:11], v[12:13], off
	v_fma_f64 v[14:15], v[4:5], v[62:63], -v[14:15]
	v_fmac_f64_e32 v[16:17], v[6:7], v[62:63]
	s_wait_loadcnt 0x0
	s_delay_alu instid0(VALU_DEP_2) | instskip(NEXT) | instid1(VALU_DEP_2)
	v_add_f64_e32 v[8:9], v[8:9], v[14:15]
	v_add_f64_e32 v[10:11], v[16:17], v[10:11]
	global_store_b128 v[12:13], v[8:11], off
.LBB114_61:                             ;   in Loop: Header=BB114_8 Depth=2
	s_wait_xcnt 0x0
	s_or_b32 exec_lo, exec_lo, s4
	s_and_b32 s5, s2, vcc_lo
	s_delay_alu instid0(SALU_CYCLE_1)
	s_and_saveexec_b32 s4, s5
	s_cbranch_execz .LBB114_63
; %bb.62:                               ;   in Loop: Header=BB114_8 Depth=2
	v_lshl_add_u64 v[2:3], v[28:29], 4, v[2:3]
	v_mul_f64_e32 v[12:13], v[6:7], v[60:61]
	v_mul_f64_e32 v[14:15], v[4:5], v[60:61]
	global_load_b128 v[8:11], v[2:3], off
	v_fma_f64 v[12:13], v[4:5], v[58:59], -v[12:13]
	v_fmac_f64_e32 v[14:15], v[6:7], v[58:59]
	s_wait_loadcnt 0x0
	s_delay_alu instid0(VALU_DEP_2) | instskip(NEXT) | instid1(VALU_DEP_2)
	v_add_f64_e32 v[8:9], v[8:9], v[12:13]
	v_add_f64_e32 v[10:11], v[14:15], v[10:11]
	global_store_b128 v[2:3], v[8:11], off
.LBB114_63:                             ;   in Loop: Header=BB114_8 Depth=2
	s_wait_xcnt 0x0
	s_or_b32 exec_lo, exec_lo, s4
	v_add_nc_u32_e32 v2, 16, v52
	s_delay_alu instid0(VALU_DEP_1) | instskip(SKIP_1) | instid1(VALU_DEP_2)
	v_ashrrev_i32_e32 v3, 31, v2
	v_cmp_gt_i32_e32 vcc_lo, s10, v2
	v_mul_u64_e32 v[8:9], s[28:29], v[2:3]
	s_and_b32 s5, s1, vcc_lo
	s_delay_alu instid0(VALU_DEP_1)
	v_lshl_add_u64 v[2:3], v[8:9], 4, s[26:27]
	s_and_saveexec_b32 s4, s5
	s_cbranch_execz .LBB114_65
; %bb.64:                               ;   in Loop: Header=BB114_8 Depth=2
	s_delay_alu instid0(VALU_DEP_1)
	v_lshl_add_u64 v[12:13], v[22:23], 4, v[2:3]
	v_mul_f64_e32 v[14:15], v[6:7], v[68:69]
	v_mul_f64_e32 v[16:17], v[4:5], v[68:69]
	global_load_b128 v[8:11], v[12:13], off
	v_fma_f64 v[14:15], v[4:5], v[72:73], -v[14:15]
	v_fmac_f64_e32 v[16:17], v[6:7], v[72:73]
	s_wait_loadcnt 0x0
	s_delay_alu instid0(VALU_DEP_2) | instskip(NEXT) | instid1(VALU_DEP_2)
	v_add_f64_e32 v[8:9], v[8:9], v[14:15]
	v_add_f64_e32 v[10:11], v[16:17], v[10:11]
	global_store_b128 v[12:13], v[8:11], off
.LBB114_65:                             ;   in Loop: Header=BB114_8 Depth=2
	s_wait_xcnt 0x0
	s_or_b32 exec_lo, exec_lo, s4
	s_and_b32 s5, s2, vcc_lo
	s_delay_alu instid0(SALU_CYCLE_1)
	s_and_saveexec_b32 s4, s5
	s_cbranch_execz .LBB114_7
; %bb.66:                               ;   in Loop: Header=BB114_8 Depth=2
	v_lshl_add_u64 v[2:3], v[28:29], 4, v[2:3]
	v_mul_f64_e32 v[12:13], v[6:7], v[66:67]
	v_mul_f64_e32 v[14:15], v[4:5], v[66:67]
	global_load_b128 v[8:11], v[2:3], off
	v_fma_f64 v[12:13], v[4:5], v[70:71], -v[12:13]
	v_fmac_f64_e32 v[14:15], v[6:7], v[70:71]
	s_wait_loadcnt 0x0
	s_delay_alu instid0(VALU_DEP_2) | instskip(NEXT) | instid1(VALU_DEP_2)
	v_add_f64_e32 v[8:9], v[8:9], v[12:13]
	v_add_f64_e32 v[10:11], v[14:15], v[10:11]
	global_store_b128 v[2:3], v[8:11], off
	s_branch .LBB114_7
.LBB114_67:
	s_sendmsg sendmsg(MSG_DEALLOC_VGPRS)
	s_endpgm
	.section	.rodata,"a",@progbits
	.p2align	6, 0x0
	.amdhsa_kernel _ZL30rocblas_trmm_outofplace_kernelI19rocblas_complex_numIdELi32ELi2ELb1ELb1ELb1ELb0EPKS1_S2_S1_Ev17rocblas_diagonal_iiT6_lPT7_lllS7_lllPT8_llli
		.amdhsa_group_segment_fixed_size 32768
		.amdhsa_private_segment_fixed_size 0
		.amdhsa_kernarg_size 392
		.amdhsa_user_sgpr_count 2
		.amdhsa_user_sgpr_dispatch_ptr 0
		.amdhsa_user_sgpr_queue_ptr 0
		.amdhsa_user_sgpr_kernarg_segment_ptr 1
		.amdhsa_user_sgpr_dispatch_id 0
		.amdhsa_user_sgpr_kernarg_preload_length 0
		.amdhsa_user_sgpr_kernarg_preload_offset 0
		.amdhsa_user_sgpr_private_segment_size 0
		.amdhsa_wavefront_size32 1
		.amdhsa_uses_dynamic_stack 0
		.amdhsa_enable_private_segment 0
		.amdhsa_system_sgpr_workgroup_id_x 1
		.amdhsa_system_sgpr_workgroup_id_y 1
		.amdhsa_system_sgpr_workgroup_id_z 1
		.amdhsa_system_sgpr_workgroup_info 0
		.amdhsa_system_vgpr_workitem_id 1
		.amdhsa_next_free_vgpr 100
		.amdhsa_next_free_sgpr 58
		.amdhsa_named_barrier_count 0
		.amdhsa_reserve_vcc 1
		.amdhsa_float_round_mode_32 0
		.amdhsa_float_round_mode_16_64 0
		.amdhsa_float_denorm_mode_32 3
		.amdhsa_float_denorm_mode_16_64 3
		.amdhsa_fp16_overflow 0
		.amdhsa_memory_ordered 1
		.amdhsa_forward_progress 1
		.amdhsa_inst_pref_size 67
		.amdhsa_round_robin_scheduling 0
		.amdhsa_exception_fp_ieee_invalid_op 0
		.amdhsa_exception_fp_denorm_src 0
		.amdhsa_exception_fp_ieee_div_zero 0
		.amdhsa_exception_fp_ieee_overflow 0
		.amdhsa_exception_fp_ieee_underflow 0
		.amdhsa_exception_fp_ieee_inexact 0
		.amdhsa_exception_int_div_zero 0
	.end_amdhsa_kernel
	.section	.text._ZL30rocblas_trmm_outofplace_kernelI19rocblas_complex_numIdELi32ELi2ELb1ELb1ELb1ELb0EPKS1_S2_S1_Ev17rocblas_diagonal_iiT6_lPT7_lllS7_lllPT8_llli,"axG",@progbits,_ZL30rocblas_trmm_outofplace_kernelI19rocblas_complex_numIdELi32ELi2ELb1ELb1ELb1ELb0EPKS1_S2_S1_Ev17rocblas_diagonal_iiT6_lPT7_lllS7_lllPT8_llli,comdat
.Lfunc_end114:
	.size	_ZL30rocblas_trmm_outofplace_kernelI19rocblas_complex_numIdELi32ELi2ELb1ELb1ELb1ELb0EPKS1_S2_S1_Ev17rocblas_diagonal_iiT6_lPT7_lllS7_lllPT8_llli, .Lfunc_end114-_ZL30rocblas_trmm_outofplace_kernelI19rocblas_complex_numIdELi32ELi2ELb1ELb1ELb1ELb0EPKS1_S2_S1_Ev17rocblas_diagonal_iiT6_lPT7_lllS7_lllPT8_llli
                                        ; -- End function
	.set _ZL30rocblas_trmm_outofplace_kernelI19rocblas_complex_numIdELi32ELi2ELb1ELb1ELb1ELb0EPKS1_S2_S1_Ev17rocblas_diagonal_iiT6_lPT7_lllS7_lllPT8_llli.num_vgpr, 100
	.set _ZL30rocblas_trmm_outofplace_kernelI19rocblas_complex_numIdELi32ELi2ELb1ELb1ELb1ELb0EPKS1_S2_S1_Ev17rocblas_diagonal_iiT6_lPT7_lllS7_lllPT8_llli.num_agpr, 0
	.set _ZL30rocblas_trmm_outofplace_kernelI19rocblas_complex_numIdELi32ELi2ELb1ELb1ELb1ELb0EPKS1_S2_S1_Ev17rocblas_diagonal_iiT6_lPT7_lllS7_lllPT8_llli.numbered_sgpr, 58
	.set _ZL30rocblas_trmm_outofplace_kernelI19rocblas_complex_numIdELi32ELi2ELb1ELb1ELb1ELb0EPKS1_S2_S1_Ev17rocblas_diagonal_iiT6_lPT7_lllS7_lllPT8_llli.num_named_barrier, 0
	.set _ZL30rocblas_trmm_outofplace_kernelI19rocblas_complex_numIdELi32ELi2ELb1ELb1ELb1ELb0EPKS1_S2_S1_Ev17rocblas_diagonal_iiT6_lPT7_lllS7_lllPT8_llli.private_seg_size, 0
	.set _ZL30rocblas_trmm_outofplace_kernelI19rocblas_complex_numIdELi32ELi2ELb1ELb1ELb1ELb0EPKS1_S2_S1_Ev17rocblas_diagonal_iiT6_lPT7_lllS7_lllPT8_llli.uses_vcc, 1
	.set _ZL30rocblas_trmm_outofplace_kernelI19rocblas_complex_numIdELi32ELi2ELb1ELb1ELb1ELb0EPKS1_S2_S1_Ev17rocblas_diagonal_iiT6_lPT7_lllS7_lllPT8_llli.uses_flat_scratch, 0
	.set _ZL30rocblas_trmm_outofplace_kernelI19rocblas_complex_numIdELi32ELi2ELb1ELb1ELb1ELb0EPKS1_S2_S1_Ev17rocblas_diagonal_iiT6_lPT7_lllS7_lllPT8_llli.has_dyn_sized_stack, 0
	.set _ZL30rocblas_trmm_outofplace_kernelI19rocblas_complex_numIdELi32ELi2ELb1ELb1ELb1ELb0EPKS1_S2_S1_Ev17rocblas_diagonal_iiT6_lPT7_lllS7_lllPT8_llli.has_recursion, 0
	.set _ZL30rocblas_trmm_outofplace_kernelI19rocblas_complex_numIdELi32ELi2ELb1ELb1ELb1ELb0EPKS1_S2_S1_Ev17rocblas_diagonal_iiT6_lPT7_lllS7_lllPT8_llli.has_indirect_call, 0
	.section	.AMDGPU.csdata,"",@progbits
; Kernel info:
; codeLenInByte = 8516
; TotalNumSgprs: 60
; NumVgprs: 100
; ScratchSize: 0
; MemoryBound: 0
; FloatMode: 240
; IeeeMode: 1
; LDSByteSize: 32768 bytes/workgroup (compile time only)
; SGPRBlocks: 0
; VGPRBlocks: 6
; NumSGPRsForWavesPerEU: 60
; NumVGPRsForWavesPerEU: 100
; NamedBarCnt: 0
; Occupancy: 9
; WaveLimiterHint : 0
; COMPUTE_PGM_RSRC2:SCRATCH_EN: 0
; COMPUTE_PGM_RSRC2:USER_SGPR: 2
; COMPUTE_PGM_RSRC2:TRAP_HANDLER: 0
; COMPUTE_PGM_RSRC2:TGID_X_EN: 1
; COMPUTE_PGM_RSRC2:TGID_Y_EN: 1
; COMPUTE_PGM_RSRC2:TGID_Z_EN: 1
; COMPUTE_PGM_RSRC2:TIDIG_COMP_CNT: 1
	.section	.text._ZL30rocblas_trmm_outofplace_kernelI19rocblas_complex_numIdELi32ELi2ELb1ELb1ELb1ELb0ES1_KS1_S1_Ev17rocblas_diagonal_iiT6_lPT7_lllS6_lllPT8_llli,"axG",@progbits,_ZL30rocblas_trmm_outofplace_kernelI19rocblas_complex_numIdELi32ELi2ELb1ELb1ELb1ELb0ES1_KS1_S1_Ev17rocblas_diagonal_iiT6_lPT7_lllS6_lllPT8_llli,comdat
	.globl	_ZL30rocblas_trmm_outofplace_kernelI19rocblas_complex_numIdELi32ELi2ELb1ELb1ELb1ELb0ES1_KS1_S1_Ev17rocblas_diagonal_iiT6_lPT7_lllS6_lllPT8_llli ; -- Begin function _ZL30rocblas_trmm_outofplace_kernelI19rocblas_complex_numIdELi32ELi2ELb1ELb1ELb1ELb0ES1_KS1_S1_Ev17rocblas_diagonal_iiT6_lPT7_lllS6_lllPT8_llli
	.p2align	8
	.type	_ZL30rocblas_trmm_outofplace_kernelI19rocblas_complex_numIdELi32ELi2ELb1ELb1ELb1ELb0ES1_KS1_S1_Ev17rocblas_diagonal_iiT6_lPT7_lllS6_lllPT8_llli,@function
_ZL30rocblas_trmm_outofplace_kernelI19rocblas_complex_numIdELi32ELi2ELb1ELb1ELb1ELb0ES1_KS1_S1_Ev17rocblas_diagonal_iiT6_lPT7_lllS6_lllPT8_llli: ; @_ZL30rocblas_trmm_outofplace_kernelI19rocblas_complex_numIdELi32ELi2ELb1ELb1ELb1ELb0ES1_KS1_S1_Ev17rocblas_diagonal_iiT6_lPT7_lllS6_lllPT8_llli
; %bb.0:
	s_load_b32 s33, s[0:1], 0x88
	s_bfe_u32 s2, ttmp6, 0x40014
	s_lshr_b32 s3, ttmp7, 16
	s_add_co_i32 s2, s2, 1
	s_bfe_u32 s5, ttmp6, 0x40008
	s_mul_i32 s4, s3, s2
	s_getreg_b32 s2, hwreg(HW_REG_IB_STS2, 6, 4)
	s_add_co_i32 s5, s5, s4
	s_cmp_eq_u32 s2, 0
	s_cselect_b32 s34, s3, s5
	s_wait_kmcnt 0x0
	s_cmp_ge_u32 s34, s33
	s_cbranch_scc1 .LBB115_66
; %bb.1:
	s_load_b128 s[28:31], s[0:1], 0x10
	s_wait_kmcnt 0x0
	v_cmp_eq_f64_e64 s3, s[28:29], 0
	v_cmp_eq_f64_e64 s4, s[30:31], 0
	s_and_b32 s3, s3, s4
	s_delay_alu instid0(SALU_CYCLE_1)
	s_and_b32 vcc_lo, exec_lo, s3
	s_cbranch_vccnz .LBB115_66
; %bb.2:
	s_clause 0x1
	s_load_b96 s[36:38], s[0:1], 0x0
	s_load_b512 s[4:19], s[0:1], 0x28
	s_bfe_u32 s20, ttmp6, 0x4000c
	s_bfe_u32 s22, ttmp6, 0x40010
	s_and_b32 s21, ttmp7, 0xffff
	s_add_co_i32 s20, s20, 1
	s_add_co_i32 s22, s22, 1
	s_and_b32 s3, ttmp6, 15
	s_bfe_u32 s23, ttmp6, 0x40004
	s_mul_i32 s20, ttmp9, s20
	s_mul_i32 s22, s21, s22
	s_add_co_i32 s3, s3, s20
	s_add_co_i32 s23, s23, s22
	v_and_b32_e32 v16, 0x3ff, v0
	s_add_nc_u64 s[40:41], s[0:1], 0x90
	v_bfe_u32 v0, v0, 10, 10
	s_mov_b32 s35, 0
	s_delay_alu instid0(VALU_DEP_2) | instskip(SKIP_2) | instid1(VALU_DEP_1)
	v_dual_mov_b32 v2, 0 :: v_dual_lshlrev_b32 v20, 4, v16
	s_wait_kmcnt 0x0
	s_add_co_i32 s24, s38, -1
	v_dual_lshlrev_b32 v3, 9, v0 :: v_dual_mov_b32 v17, v2
	s_ashr_i32 s25, s24, 31
	v_mov_b32_e32 v1, v2
	s_lshr_b32 s25, s25, 27
	s_delay_alu instid0(VALU_DEP_2)
	v_dual_mov_b32 v11, v2 :: v_dual_add_nc_u32 v70, 0x4000, v3
	s_add_co_i32 s24, s24, s25
	v_mov_b32_e32 v21, v2
	s_ashr_i32 s39, s24, 5
	s_cmp_eq_u32 s2, 0
	v_dual_add_nc_u32 v71, v20, v3 :: v_dual_lshlrev_b32 v10, 4, v0
	s_cselect_b32 s48, s21, s23
	s_cselect_b32 s2, ttmp9, s3
	s_cmp_le_i32 s48, s39
	s_load_b256 s[20:27], s[0:1], 0x68
	s_cselect_b32 s49, -1, 0
	s_lshl_b32 s50, s2, 5
	s_cmp_gt_i32 s2, -1
	v_add_nc_u32_e32 v18, s50, v16
	s_cselect_b32 s51, -1, 0
	s_cmp_eq_u32 s36, 0x84
	s_mov_b32 s42, s37
	s_cselect_b32 s52, -1, 0
	v_ashrrev_i32_e32 v19, 31, v18
	s_wait_xcnt 0x0
	s_lshl_b64 s[0:1], s[6:7], 4
	s_lshl_b64 s[6:7], s[14:15], 4
	v_dual_add_nc_u32 v72, v70, v20 :: v_dual_add_nc_u32 v22, 16, v18
	v_mul_u64_e32 v[4:5], s[8:9], v[18:19]
	v_lshl_add_u64 v[6:7], v[18:19], 4, 0x100
	v_add_nc_u64_e32 v[24:25], 16, v[18:19]
	v_sub_nc_u64_e32 v[26:27], v[18:19], v[0:1]
	s_ashr_i32 s43, s37, 31
	v_add_nc_u32_e32 v73, 0x100, v71
	v_mad_nc_u64_u32 v[8:9], s8, v6, s[0:1]
	s_wait_kmcnt 0x0
	s_lshl_b64 s[2:3], s[22:23], 4
	v_add_nc_u32_e32 v74, 0x2000, v71
	s_add_nc_u64 s[14:15], s[20:21], s[2:3]
	s_add_nc_u64 s[2:3], s[12:13], s[6:7]
	v_add_nc_u64_e32 v[30:31], 16, v[26:27]
	v_add_nc_u64_e32 v[32:33], -16, v[26:27]
	v_add_nc_u32_e32 v75, 0x2100, v71
	v_add_nc_u32_e32 v76, 0x100, v72
	v_add_nc_u32_e32 v77, 0x2000, v72
	v_add_nc_u32_e32 v78, 0x2100, v72
	v_mad_u32 v3, s9, v6, v9
	v_lshl_add_u32 v79, s48, 5, v0
	v_ashrrev_i32_e32 v23, 31, v22
	s_mov_b32 s44, s38
	s_ashr_i32 s45, s38, 31
	s_add_nc_u64 s[20:21], s[42:43], -16
	s_lshl_b64 s[12:13], s[18:19], 4
	s_lshl_b64 s[18:19], s[16:17], 4
	;; [unrolled: 1-line block ×3, first 2 shown]
	s_delay_alu instid0(VALU_DEP_3)
	v_mad_u32 v9, s8, v7, v3
	v_add_nc_u64_e32 v[6:7], s[2:3], v[20:21]
	v_cmp_le_i64_e64 s3, s[42:43], v[24:25]
	v_cmp_gt_i32_e64 s2, s37, v22
	v_lshl_add_u64 v[4:5], v[4:5], 4, s[0:1]
	v_cmp_le_i32_e64 s0, s37, v18
	v_cmp_gt_i32_e64 s1, s37, v18
	v_mov_b32_e32 v3, 0x3ff00000
	v_add_nc_u64_e32 v[28:29], 0x100, v[6:7]
	v_add_nc_u64_e32 v[4:5], v[4:5], v[10:11]
	;; [unrolled: 1-line block ×3, first 2 shown]
	s_delay_alu instid0(VALU_DEP_2) | instskip(NEXT) | instid1(VALU_DEP_2)
	v_add_nc_u64_e32 v[4:5], s[4:5], v[4:5]
	v_add_nc_u64_e32 v[34:35], s[4:5], v[8:9]
	s_delay_alu instid0(VALU_DEP_2)
	v_add_nc_u64_e32 v[36:37], 0x100, v[4:5]
	s_branch .LBB115_4
.LBB115_3:                              ;   in Loop: Header=BB115_4 Depth=1
	s_add_co_i32 s34, s34, 0x10000
	s_delay_alu instid0(SALU_CYCLE_1)
	s_cmp_ge_u32 s34, s33
	s_cbranch_scc1 .LBB115_66
.LBB115_4:                              ; =>This Loop Header: Depth=1
                                        ;     Child Loop BB115_7 Depth 2
                                        ;       Child Loop BB115_10 Depth 3
	s_and_not1_b32 vcc_lo, exec_lo, s49
	s_cbranch_vccnz .LBB115_3
; %bb.5:                                ;   in Loop: Header=BB115_4 Depth=1
	s_load_b32 s9, s[40:41], 0x4
	v_mad_nc_u64_u32 v[38:39], s12, s34, v[28:29]
	s_delay_alu instid0(VALU_DEP_2)
	v_mad_nc_u64_u32 v[40:41], s10, s34, v[36:37]
	v_mad_nc_u64_u32 v[42:43], s10, s34, v[34:35]
	s_mul_i32 s6, s11, s34
	s_mul_u64 s[4:5], s[26:27], s[34:35]
	v_mov_b32_e32 v44, v79
	s_lshl_b64 s[4:5], s[4:5], 4
	s_mov_b32 s54, s48
	s_add_nc_u64 s[22:23], s[14:15], s[4:5]
	s_delay_alu instid0(VALU_DEP_4) | instskip(NEXT) | instid1(VALU_DEP_3)
	v_mad_u32 v39, s13, s34, v39
	v_dual_add_nc_u32 v41, s6, v41 :: v_dual_add_nc_u32 v43, s6, v43
	s_wait_kmcnt 0x0
	s_lshl_b32 s53, s9, 5
	s_branch .LBB115_7
.LBB115_6:                              ;   in Loop: Header=BB115_7 Depth=2
	s_wait_xcnt 0x0
	s_or_b32 exec_lo, exec_lo, s4
	v_add_nc_u32_e32 v44, s53, v44
	s_add_co_i32 s54, s9, s54
	s_delay_alu instid0(SALU_CYCLE_1)
	s_cmp_gt_i32 s54, s39
	s_cbranch_scc1 .LBB115_3
.LBB115_7:                              ;   Parent Loop BB115_4 Depth=1
                                        ; =>  This Loop Header: Depth=2
                                        ;       Child Loop BB115_10 Depth 3
	v_lshl_add_u32 v46, s54, 5, v0
	v_mov_b64_e32 v[56:57], 0
	v_mov_b64_e32 v[58:59], 0
	;; [unrolled: 1-line block ×8, first 2 shown]
	v_ashrrev_i32_e32 v47, 31, v46
	s_and_not1_b32 vcc_lo, exec_lo, s51
	s_cbranch_vccnz .LBB115_58
; %bb.8:                                ;   in Loop: Header=BB115_7 Depth=2
	v_ashrrev_i32_e32 v45, 31, v44
	v_mad_nc_u64_u32 v[48:49], s18, v44, v[38:39]
	v_sub_nc_u64_e32 v[6:7], s[44:45], v[46:47]
	v_mov_b64_e32 v[60:61], 0
	v_mov_b64_e32 v[68:69], 0
	v_lshl_add_u64 v[4:5], v[44:45], 4, 0x100
	v_mov_b64_e32 v[64:65], 0
	v_mov_b64_e32 v[66:67], 0
	;; [unrolled: 1-line block ×3, first 2 shown]
	v_cmp_lt_i64_e64 s4, 16, v[6:7]
	v_mad_nc_u64_u32 v[50:51], s16, v4, v[38:39]
	v_mov_b64_e32 v[52:53], 0
	v_mad_u32 v8, s19, v44, v49
	v_mov_b64_e32 v[58:59], 0
	v_mov_b64_e32 v[56:57], 0
	s_mov_b64 s[36:37], 0
	s_mov_b64 s[46:47], 0
	v_cmp_lt_i64_e32 vcc_lo, 0, v[6:7]
	v_mad_u32 v4, s17, v4, v51
	v_mad_u32 v49, s18, v45, v8
	s_delay_alu instid0(VALU_DEP_2)
	v_mad_u32 v51, s16, v5, v4
	s_branch .LBB115_10
.LBB115_9:                              ;   in Loop: Header=BB115_10 Depth=3
	s_wait_xcnt 0x0
	s_or_b32 exec_lo, exec_lo, s5
	s_wait_dscnt 0x0
	s_barrier_signal -1
	s_barrier_wait -1
	ds_load_b128 v[80:83], v70
	ds_load_b128 v[12:15], v70 offset:16
	ds_load_b128 v[8:11], v70 offset:32
	;; [unrolled: 1-line block ×3, first 2 shown]
	ds_load_b128 v[84:87], v20
	s_add_nc_u64 s[46:47], s[46:47], 32
	s_add_nc_u64 s[36:37], s[36:37], 0x200
	s_sub_co_i32 s5, s46, 32
	s_delay_alu instid0(SALU_CYCLE_1) | instskip(SKIP_3) | instid1(VALU_DEP_2)
	s_cmp_ge_i32 s5, s50
	s_wait_dscnt 0x0
	v_mul_f64_e32 v[88:89], v[80:81], v[86:87]
	v_mul_f64_e32 v[62:63], v[82:83], v[86:87]
	v_fmac_f64_e32 v[88:89], v[82:83], v[84:85]
	s_delay_alu instid0(VALU_DEP_2) | instskip(NEXT) | instid1(VALU_DEP_2)
	v_fma_f64 v[62:63], v[80:81], v[84:85], -v[62:63]
	v_add_f64_e32 v[92:93], v[88:89], v[58:59]
	ds_load_b128 v[88:91], v20 offset:256
	v_add_f64_e32 v[62:63], v[56:57], v[62:63]
	s_wait_dscnt 0x0
	v_mul_f64_e32 v[56:57], v[82:83], v[90:91]
	v_mul_f64_e32 v[58:59], v[80:81], v[90:91]
	s_delay_alu instid0(VALU_DEP_2) | instskip(NEXT) | instid1(VALU_DEP_2)
	v_fma_f64 v[56:57], v[80:81], v[88:89], -v[56:57]
	v_fmac_f64_e32 v[58:59], v[82:83], v[88:89]
	ds_load_b128 v[80:83], v20 offset:768
	v_add_f64_e32 v[94:95], v[52:53], v[56:57]
	v_add_f64_e32 v[96:97], v[58:59], v[54:55]
	ds_load_b128 v[52:55], v70 offset:8192
	s_wait_dscnt 0x0
	v_mul_f64_e32 v[56:57], v[54:55], v[86:87]
	v_mul_f64_e32 v[58:59], v[52:53], v[86:87]
	s_delay_alu instid0(VALU_DEP_2) | instskip(NEXT) | instid1(VALU_DEP_2)
	v_fma_f64 v[56:57], v[52:53], v[84:85], -v[56:57]
	v_fmac_f64_e32 v[58:59], v[54:55], v[84:85]
	v_mul_f64_e32 v[84:85], v[12:13], v[82:83]
	s_delay_alu instid0(VALU_DEP_3) | instskip(NEXT) | instid1(VALU_DEP_3)
	v_add_f64_e32 v[56:57], v[66:67], v[56:57]
	v_add_f64_e32 v[58:59], v[58:59], v[64:65]
	v_mul_f64_e32 v[64:65], v[54:55], v[90:91]
	v_mul_f64_e32 v[66:67], v[52:53], v[90:91]
	v_fmac_f64_e32 v[84:85], v[14:15], v[80:81]
	s_delay_alu instid0(VALU_DEP_3) | instskip(NEXT) | instid1(VALU_DEP_3)
	v_fma_f64 v[64:65], v[52:53], v[88:89], -v[64:65]
	v_fmac_f64_e32 v[66:67], v[54:55], v[88:89]
	s_delay_alu instid0(VALU_DEP_2) | instskip(NEXT) | instid1(VALU_DEP_2)
	v_add_f64_e32 v[52:53], v[68:69], v[64:65]
	v_add_f64_e32 v[54:55], v[66:67], v[60:61]
	ds_load_b128 v[64:67], v20 offset:512
	s_wait_dscnt 0x0
	v_mul_f64_e32 v[60:61], v[14:15], v[66:67]
	v_mul_f64_e32 v[68:69], v[12:13], v[66:67]
	s_delay_alu instid0(VALU_DEP_2) | instskip(NEXT) | instid1(VALU_DEP_2)
	v_fma_f64 v[60:61], v[12:13], v[64:65], -v[60:61]
	v_fmac_f64_e32 v[68:69], v[14:15], v[64:65]
	s_delay_alu instid0(VALU_DEP_2) | instskip(NEXT) | instid1(VALU_DEP_2)
	v_add_f64_e32 v[60:61], v[62:63], v[60:61]
	v_add_f64_e32 v[62:63], v[68:69], v[92:93]
	v_mul_f64_e32 v[68:69], v[14:15], v[82:83]
	v_add_f64_e32 v[14:15], v[84:85], v[96:97]
	ds_load_b128 v[84:87], v70 offset:8208
	v_fma_f64 v[68:69], v[12:13], v[80:81], -v[68:69]
	s_delay_alu instid0(VALU_DEP_1) | instskip(SKIP_3) | instid1(VALU_DEP_2)
	v_add_f64_e32 v[12:13], v[94:95], v[68:69]
	s_wait_dscnt 0x0
	v_mul_f64_e32 v[68:69], v[86:87], v[66:67]
	v_mul_f64_e32 v[66:67], v[84:85], v[66:67]
	v_fma_f64 v[68:69], v[84:85], v[64:65], -v[68:69]
	s_delay_alu instid0(VALU_DEP_2) | instskip(SKIP_1) | instid1(VALU_DEP_3)
	v_fmac_f64_e32 v[66:67], v[86:87], v[64:65]
	v_mul_f64_e32 v[64:65], v[86:87], v[82:83]
	v_add_f64_e32 v[56:57], v[56:57], v[68:69]
	s_delay_alu instid0(VALU_DEP_3) | instskip(SKIP_1) | instid1(VALU_DEP_4)
	v_add_f64_e32 v[58:59], v[66:67], v[58:59]
	v_mul_f64_e32 v[66:67], v[84:85], v[82:83]
	v_fma_f64 v[64:65], v[84:85], v[80:81], -v[64:65]
	s_delay_alu instid0(VALU_DEP_2) | instskip(NEXT) | instid1(VALU_DEP_2)
	v_fmac_f64_e32 v[66:67], v[86:87], v[80:81]
	v_add_f64_e32 v[68:69], v[52:53], v[64:65]
	s_delay_alu instid0(VALU_DEP_2) | instskip(SKIP_4) | instid1(VALU_DEP_2)
	v_add_f64_e32 v[80:81], v[66:67], v[54:55]
	ds_load_b128 v[52:55], v20 offset:1024
	s_wait_dscnt 0x0
	v_mul_f64_e32 v[64:65], v[10:11], v[54:55]
	v_mul_f64_e32 v[66:67], v[8:9], v[54:55]
	v_fma_f64 v[64:65], v[8:9], v[52:53], -v[64:65]
	s_delay_alu instid0(VALU_DEP_2) | instskip(NEXT) | instid1(VALU_DEP_2)
	v_fmac_f64_e32 v[66:67], v[10:11], v[52:53]
	v_add_f64_e32 v[82:83], v[60:61], v[64:65]
	s_delay_alu instid0(VALU_DEP_2) | instskip(SKIP_3) | instid1(VALU_DEP_1)
	v_add_f64_e32 v[84:85], v[66:67], v[62:63]
	ds_load_b128 v[64:67], v20 offset:1280
	s_wait_dscnt 0x0
	v_mul_f64_e32 v[60:61], v[10:11], v[66:67]
	v_fma_f64 v[60:61], v[8:9], v[64:65], -v[60:61]
	v_mul_f64_e32 v[8:9], v[8:9], v[66:67]
	s_delay_alu instid0(VALU_DEP_2) | instskip(NEXT) | instid1(VALU_DEP_2)
	v_add_f64_e32 v[86:87], v[12:13], v[60:61]
	v_fmac_f64_e32 v[8:9], v[10:11], v[64:65]
	s_delay_alu instid0(VALU_DEP_1) | instskip(SKIP_4) | instid1(VALU_DEP_2)
	v_add_f64_e32 v[88:89], v[8:9], v[14:15]
	ds_load_b128 v[8:11], v70 offset:8224
	s_wait_dscnt 0x0
	v_mul_f64_e32 v[12:13], v[10:11], v[54:55]
	v_mul_f64_e32 v[14:15], v[8:9], v[54:55]
	v_fma_f64 v[12:13], v[8:9], v[52:53], -v[12:13]
	s_delay_alu instid0(VALU_DEP_2) | instskip(NEXT) | instid1(VALU_DEP_2)
	v_fmac_f64_e32 v[14:15], v[10:11], v[52:53]
	v_add_f64_e32 v[60:61], v[56:57], v[12:13]
	v_mul_f64_e32 v[12:13], v[10:11], v[66:67]
	s_delay_alu instid0(VALU_DEP_3) | instskip(NEXT) | instid1(VALU_DEP_2)
	v_add_f64_e32 v[62:63], v[14:15], v[58:59]
	v_fma_f64 v[12:13], v[8:9], v[64:65], -v[12:13]
	v_mul_f64_e32 v[8:9], v[8:9], v[66:67]
	s_delay_alu instid0(VALU_DEP_2) | instskip(NEXT) | instid1(VALU_DEP_2)
	v_add_f64_e32 v[56:57], v[68:69], v[12:13]
	v_fmac_f64_e32 v[8:9], v[10:11], v[64:65]
	ds_load_b128 v[12:15], v20 offset:1536
	s_wait_dscnt 0x0
	v_mul_f64_e32 v[10:11], v[4:5], v[14:15]
	v_add_f64_e32 v[58:59], v[8:9], v[80:81]
	v_mul_f64_e32 v[8:9], v[6:7], v[14:15]
	s_delay_alu instid0(VALU_DEP_3) | instskip(NEXT) | instid1(VALU_DEP_2)
	v_fmac_f64_e32 v[10:11], v[6:7], v[12:13]
	v_fma_f64 v[8:9], v[4:5], v[12:13], -v[8:9]
	s_delay_alu instid0(VALU_DEP_2) | instskip(NEXT) | instid1(VALU_DEP_2)
	v_add_f64_e32 v[54:55], v[10:11], v[84:85]
	v_add_f64_e32 v[52:53], v[82:83], v[8:9]
	ds_load_b128 v[8:11], v20 offset:1792
	s_wait_dscnt 0x0
	v_mul_f64_e32 v[64:65], v[6:7], v[10:11]
	v_mul_f64_e32 v[66:67], v[4:5], v[10:11]
	s_delay_alu instid0(VALU_DEP_2) | instskip(NEXT) | instid1(VALU_DEP_2)
	v_fma_f64 v[64:65], v[4:5], v[8:9], -v[64:65]
	v_fmac_f64_e32 v[66:67], v[6:7], v[8:9]
	s_delay_alu instid0(VALU_DEP_2) | instskip(NEXT) | instid1(VALU_DEP_2)
	v_add_f64_e32 v[4:5], v[86:87], v[64:65]
	v_add_f64_e32 v[6:7], v[66:67], v[88:89]
	ds_load_b128 v[64:67], v70 offset:8240
	s_wait_dscnt 0x0
	v_mul_f64_e32 v[68:69], v[66:67], v[14:15]
	v_mul_f64_e32 v[14:15], v[64:65], v[14:15]
	s_delay_alu instid0(VALU_DEP_2) | instskip(NEXT) | instid1(VALU_DEP_2)
	v_fma_f64 v[68:69], v[64:65], v[12:13], -v[68:69]
	v_fmac_f64_e32 v[14:15], v[66:67], v[12:13]
	v_mul_f64_e32 v[12:13], v[66:67], v[10:11]
	v_mul_f64_e32 v[10:11], v[64:65], v[10:11]
	s_delay_alu instid0(VALU_DEP_4) | instskip(NEXT) | instid1(VALU_DEP_4)
	v_add_f64_e32 v[60:61], v[60:61], v[68:69]
	v_add_f64_e32 v[62:63], v[14:15], v[62:63]
	s_delay_alu instid0(VALU_DEP_4) | instskip(NEXT) | instid1(VALU_DEP_4)
	v_fma_f64 v[12:13], v[64:65], v[8:9], -v[12:13]
	v_fmac_f64_e32 v[10:11], v[66:67], v[8:9]
	s_delay_alu instid0(VALU_DEP_2) | instskip(NEXT) | instid1(VALU_DEP_2)
	v_add_f64_e32 v[56:57], v[56:57], v[12:13]
	v_add_f64_e32 v[58:59], v[10:11], v[58:59]
	ds_load_b128 v[8:11], v70 offset:64
	ds_load_b128 v[12:15], v20 offset:2048
	s_wait_dscnt 0x0
	v_mul_f64_e32 v[64:65], v[10:11], v[14:15]
	v_mul_f64_e32 v[66:67], v[8:9], v[14:15]
	s_delay_alu instid0(VALU_DEP_2) | instskip(NEXT) | instid1(VALU_DEP_2)
	v_fma_f64 v[64:65], v[8:9], v[12:13], -v[64:65]
	v_fmac_f64_e32 v[66:67], v[10:11], v[12:13]
	s_delay_alu instid0(VALU_DEP_2) | instskip(NEXT) | instid1(VALU_DEP_2)
	v_add_f64_e32 v[64:65], v[52:53], v[64:65]
	v_add_f64_e32 v[66:67], v[66:67], v[54:55]
	ds_load_b128 v[52:55], v20 offset:2304
	s_wait_dscnt 0x0
	v_mul_f64_e32 v[68:69], v[10:11], v[54:55]
	s_delay_alu instid0(VALU_DEP_1) | instskip(SKIP_1) | instid1(VALU_DEP_2)
	v_fma_f64 v[68:69], v[8:9], v[52:53], -v[68:69]
	v_mul_f64_e32 v[8:9], v[8:9], v[54:55]
	v_add_f64_e32 v[68:69], v[4:5], v[68:69]
	s_delay_alu instid0(VALU_DEP_2) | instskip(NEXT) | instid1(VALU_DEP_1)
	v_fmac_f64_e32 v[8:9], v[10:11], v[52:53]
	v_add_f64_e32 v[80:81], v[8:9], v[6:7]
	ds_load_b128 v[4:7], v70 offset:8256
	s_wait_dscnt 0x0
	v_mul_f64_e32 v[8:9], v[6:7], v[14:15]
	v_mul_f64_e32 v[10:11], v[4:5], v[14:15]
	s_delay_alu instid0(VALU_DEP_2) | instskip(NEXT) | instid1(VALU_DEP_2)
	v_fma_f64 v[8:9], v[4:5], v[12:13], -v[8:9]
	v_fmac_f64_e32 v[10:11], v[6:7], v[12:13]
	s_delay_alu instid0(VALU_DEP_2) | instskip(SKIP_1) | instid1(VALU_DEP_3)
	v_add_f64_e32 v[12:13], v[60:61], v[8:9]
	v_mul_f64_e32 v[8:9], v[6:7], v[54:55]
	v_add_f64_e32 v[14:15], v[10:11], v[62:63]
	s_delay_alu instid0(VALU_DEP_2) | instskip(SKIP_1) | instid1(VALU_DEP_2)
	v_fma_f64 v[8:9], v[4:5], v[52:53], -v[8:9]
	v_mul_f64_e32 v[4:5], v[4:5], v[54:55]
	v_add_f64_e32 v[8:9], v[56:57], v[8:9]
	s_delay_alu instid0(VALU_DEP_2)
	v_fmac_f64_e32 v[4:5], v[6:7], v[52:53]
	ds_load_b128 v[52:55], v70 offset:80
	ds_load_b128 v[60:63], v20 offset:2560
	s_wait_dscnt 0x0
	v_mul_f64_e32 v[6:7], v[52:53], v[62:63]
	v_add_f64_e32 v[10:11], v[4:5], v[58:59]
	v_mul_f64_e32 v[4:5], v[54:55], v[62:63]
	s_delay_alu instid0(VALU_DEP_3) | instskip(NEXT) | instid1(VALU_DEP_2)
	v_fmac_f64_e32 v[6:7], v[54:55], v[60:61]
	v_fma_f64 v[4:5], v[52:53], v[60:61], -v[4:5]
	s_delay_alu instid0(VALU_DEP_2) | instskip(NEXT) | instid1(VALU_DEP_2)
	v_add_f64_e32 v[58:59], v[6:7], v[66:67]
	v_add_f64_e32 v[56:57], v[64:65], v[4:5]
	ds_load_b128 v[4:7], v20 offset:2816
	s_wait_dscnt 0x0
	v_mul_f64_e32 v[64:65], v[54:55], v[6:7]
	v_mul_f64_e32 v[66:67], v[52:53], v[6:7]
	s_delay_alu instid0(VALU_DEP_2) | instskip(NEXT) | instid1(VALU_DEP_2)
	v_fma_f64 v[64:65], v[52:53], v[4:5], -v[64:65]
	v_fmac_f64_e32 v[66:67], v[54:55], v[4:5]
	s_delay_alu instid0(VALU_DEP_2) | instskip(NEXT) | instid1(VALU_DEP_2)
	v_add_f64_e32 v[52:53], v[68:69], v[64:65]
	v_add_f64_e32 v[54:55], v[66:67], v[80:81]
	ds_load_b128 v[64:67], v70 offset:8272
	s_wait_dscnt 0x0
	v_mul_f64_e32 v[68:69], v[66:67], v[62:63]
	v_mul_f64_e32 v[62:63], v[64:65], v[62:63]
	s_delay_alu instid0(VALU_DEP_2) | instskip(NEXT) | instid1(VALU_DEP_2)
	v_fma_f64 v[68:69], v[64:65], v[60:61], -v[68:69]
	v_fmac_f64_e32 v[62:63], v[66:67], v[60:61]
	v_mul_f64_e32 v[60:61], v[66:67], v[6:7]
	v_mul_f64_e32 v[6:7], v[64:65], v[6:7]
	s_delay_alu instid0(VALU_DEP_4) | instskip(NEXT) | instid1(VALU_DEP_4)
	v_add_f64_e32 v[12:13], v[12:13], v[68:69]
	v_add_f64_e32 v[14:15], v[62:63], v[14:15]
	s_delay_alu instid0(VALU_DEP_4) | instskip(NEXT) | instid1(VALU_DEP_4)
	v_fma_f64 v[60:61], v[64:65], v[4:5], -v[60:61]
	v_fmac_f64_e32 v[6:7], v[66:67], v[4:5]
	s_delay_alu instid0(VALU_DEP_2) | instskip(NEXT) | instid1(VALU_DEP_2)
	v_add_f64_e32 v[60:61], v[8:9], v[60:61]
	v_add_f64_e32 v[62:63], v[6:7], v[10:11]
	ds_load_b128 v[4:7], v70 offset:96
	ds_load_b128 v[8:11], v20 offset:3072
	s_wait_dscnt 0x0
	v_mul_f64_e32 v[64:65], v[6:7], v[10:11]
	v_mul_f64_e32 v[66:67], v[4:5], v[10:11]
	s_delay_alu instid0(VALU_DEP_2) | instskip(NEXT) | instid1(VALU_DEP_2)
	v_fma_f64 v[64:65], v[4:5], v[8:9], -v[64:65]
	v_fmac_f64_e32 v[66:67], v[6:7], v[8:9]
	s_delay_alu instid0(VALU_DEP_2) | instskip(NEXT) | instid1(VALU_DEP_2)
	v_add_f64_e32 v[64:65], v[56:57], v[64:65]
	v_add_f64_e32 v[66:67], v[66:67], v[58:59]
	ds_load_b128 v[56:59], v20 offset:3328
	s_wait_dscnt 0x0
	v_mul_f64_e32 v[68:69], v[6:7], v[58:59]
	s_delay_alu instid0(VALU_DEP_1) | instskip(SKIP_1) | instid1(VALU_DEP_2)
	v_fma_f64 v[68:69], v[4:5], v[56:57], -v[68:69]
	v_mul_f64_e32 v[4:5], v[4:5], v[58:59]
	v_add_f64_e32 v[68:69], v[52:53], v[68:69]
	s_delay_alu instid0(VALU_DEP_2) | instskip(NEXT) | instid1(VALU_DEP_1)
	v_fmac_f64_e32 v[4:5], v[6:7], v[56:57]
	v_add_f64_e32 v[80:81], v[4:5], v[54:55]
	ds_load_b128 v[4:7], v70 offset:8288
	s_wait_dscnt 0x0
	v_mul_f64_e32 v[52:53], v[6:7], v[10:11]
	v_mul_f64_e32 v[10:11], v[4:5], v[10:11]
	s_delay_alu instid0(VALU_DEP_2) | instskip(NEXT) | instid1(VALU_DEP_2)
	v_fma_f64 v[52:53], v[4:5], v[8:9], -v[52:53]
	v_fmac_f64_e32 v[10:11], v[6:7], v[8:9]
	v_mul_f64_e32 v[8:9], v[6:7], v[58:59]
	s_delay_alu instid0(VALU_DEP_3) | instskip(NEXT) | instid1(VALU_DEP_3)
	v_add_f64_e32 v[12:13], v[12:13], v[52:53]
	v_add_f64_e32 v[14:15], v[10:11], v[14:15]
	s_delay_alu instid0(VALU_DEP_3) | instskip(SKIP_1) | instid1(VALU_DEP_2)
	v_fma_f64 v[8:9], v[4:5], v[56:57], -v[8:9]
	v_mul_f64_e32 v[4:5], v[4:5], v[58:59]
	v_add_f64_e32 v[8:9], v[60:61], v[8:9]
	s_delay_alu instid0(VALU_DEP_2) | instskip(NEXT) | instid1(VALU_DEP_1)
	v_fmac_f64_e32 v[4:5], v[6:7], v[56:57]
	v_add_f64_e32 v[10:11], v[4:5], v[62:63]
	ds_load_b128 v[52:55], v70 offset:112
	ds_load_b128 v[60:63], v20 offset:3584
	s_wait_dscnt 0x0
	v_mul_f64_e32 v[4:5], v[54:55], v[62:63]
	v_mul_f64_e32 v[6:7], v[52:53], v[62:63]
	s_delay_alu instid0(VALU_DEP_2) | instskip(NEXT) | instid1(VALU_DEP_2)
	v_fma_f64 v[4:5], v[52:53], v[60:61], -v[4:5]
	v_fmac_f64_e32 v[6:7], v[54:55], v[60:61]
	s_delay_alu instid0(VALU_DEP_2) | instskip(NEXT) | instid1(VALU_DEP_2)
	v_add_f64_e32 v[56:57], v[64:65], v[4:5]
	v_add_f64_e32 v[58:59], v[6:7], v[66:67]
	ds_load_b128 v[4:7], v20 offset:3840
	s_wait_dscnt 0x0
	v_mul_f64_e32 v[64:65], v[54:55], v[6:7]
	v_mul_f64_e32 v[66:67], v[52:53], v[6:7]
	s_delay_alu instid0(VALU_DEP_2) | instskip(NEXT) | instid1(VALU_DEP_2)
	v_fma_f64 v[64:65], v[52:53], v[4:5], -v[64:65]
	v_fmac_f64_e32 v[66:67], v[54:55], v[4:5]
	s_delay_alu instid0(VALU_DEP_2) | instskip(NEXT) | instid1(VALU_DEP_2)
	v_add_f64_e32 v[52:53], v[68:69], v[64:65]
	v_add_f64_e32 v[54:55], v[66:67], v[80:81]
	ds_load_b128 v[64:67], v70 offset:8304
	s_wait_dscnt 0x0
	v_mul_f64_e32 v[68:69], v[66:67], v[62:63]
	v_mul_f64_e32 v[62:63], v[64:65], v[62:63]
	s_delay_alu instid0(VALU_DEP_2) | instskip(NEXT) | instid1(VALU_DEP_2)
	v_fma_f64 v[68:69], v[64:65], v[60:61], -v[68:69]
	v_fmac_f64_e32 v[62:63], v[66:67], v[60:61]
	v_mul_f64_e32 v[60:61], v[66:67], v[6:7]
	v_mul_f64_e32 v[6:7], v[64:65], v[6:7]
	s_delay_alu instid0(VALU_DEP_4) | instskip(NEXT) | instid1(VALU_DEP_4)
	v_add_f64_e32 v[12:13], v[12:13], v[68:69]
	v_add_f64_e32 v[14:15], v[62:63], v[14:15]
	s_delay_alu instid0(VALU_DEP_4) | instskip(NEXT) | instid1(VALU_DEP_4)
	v_fma_f64 v[60:61], v[64:65], v[4:5], -v[60:61]
	v_fmac_f64_e32 v[6:7], v[66:67], v[4:5]
	s_delay_alu instid0(VALU_DEP_2) | instskip(NEXT) | instid1(VALU_DEP_2)
	v_add_f64_e32 v[60:61], v[8:9], v[60:61]
	v_add_f64_e32 v[62:63], v[6:7], v[10:11]
	ds_load_b128 v[4:7], v70 offset:128
	ds_load_b128 v[8:11], v20 offset:4096
	s_wait_dscnt 0x0
	v_mul_f64_e32 v[64:65], v[6:7], v[10:11]
	v_mul_f64_e32 v[66:67], v[4:5], v[10:11]
	s_delay_alu instid0(VALU_DEP_2) | instskip(NEXT) | instid1(VALU_DEP_2)
	v_fma_f64 v[64:65], v[4:5], v[8:9], -v[64:65]
	v_fmac_f64_e32 v[66:67], v[6:7], v[8:9]
	s_delay_alu instid0(VALU_DEP_2) | instskip(NEXT) | instid1(VALU_DEP_2)
	v_add_f64_e32 v[64:65], v[56:57], v[64:65]
	v_add_f64_e32 v[66:67], v[66:67], v[58:59]
	ds_load_b128 v[56:59], v20 offset:4352
	s_wait_dscnt 0x0
	v_mul_f64_e32 v[68:69], v[6:7], v[58:59]
	s_delay_alu instid0(VALU_DEP_1) | instskip(SKIP_1) | instid1(VALU_DEP_2)
	v_fma_f64 v[68:69], v[4:5], v[56:57], -v[68:69]
	v_mul_f64_e32 v[4:5], v[4:5], v[58:59]
	v_add_f64_e32 v[68:69], v[52:53], v[68:69]
	s_delay_alu instid0(VALU_DEP_2) | instskip(NEXT) | instid1(VALU_DEP_1)
	v_fmac_f64_e32 v[4:5], v[6:7], v[56:57]
	v_add_f64_e32 v[80:81], v[4:5], v[54:55]
	ds_load_b128 v[4:7], v70 offset:8320
	s_wait_dscnt 0x0
	v_mul_f64_e32 v[52:53], v[6:7], v[10:11]
	v_mul_f64_e32 v[10:11], v[4:5], v[10:11]
	s_delay_alu instid0(VALU_DEP_2) | instskip(NEXT) | instid1(VALU_DEP_2)
	v_fma_f64 v[52:53], v[4:5], v[8:9], -v[52:53]
	v_fmac_f64_e32 v[10:11], v[6:7], v[8:9]
	v_mul_f64_e32 v[8:9], v[6:7], v[58:59]
	s_delay_alu instid0(VALU_DEP_3) | instskip(NEXT) | instid1(VALU_DEP_3)
	v_add_f64_e32 v[12:13], v[12:13], v[52:53]
	v_add_f64_e32 v[14:15], v[10:11], v[14:15]
	s_delay_alu instid0(VALU_DEP_3) | instskip(SKIP_1) | instid1(VALU_DEP_2)
	v_fma_f64 v[8:9], v[4:5], v[56:57], -v[8:9]
	v_mul_f64_e32 v[4:5], v[4:5], v[58:59]
	v_add_f64_e32 v[8:9], v[60:61], v[8:9]
	s_delay_alu instid0(VALU_DEP_2) | instskip(NEXT) | instid1(VALU_DEP_1)
	v_fmac_f64_e32 v[4:5], v[6:7], v[56:57]
	v_add_f64_e32 v[10:11], v[4:5], v[62:63]
	ds_load_b128 v[52:55], v70 offset:144
	ds_load_b128 v[60:63], v20 offset:4608
	s_wait_dscnt 0x0
	v_mul_f64_e32 v[4:5], v[54:55], v[62:63]
	v_mul_f64_e32 v[6:7], v[52:53], v[62:63]
	s_delay_alu instid0(VALU_DEP_2) | instskip(NEXT) | instid1(VALU_DEP_2)
	v_fma_f64 v[4:5], v[52:53], v[60:61], -v[4:5]
	v_fmac_f64_e32 v[6:7], v[54:55], v[60:61]
	s_delay_alu instid0(VALU_DEP_2) | instskip(NEXT) | instid1(VALU_DEP_2)
	v_add_f64_e32 v[56:57], v[64:65], v[4:5]
	v_add_f64_e32 v[58:59], v[6:7], v[66:67]
	ds_load_b128 v[4:7], v20 offset:4864
	s_wait_dscnt 0x0
	v_mul_f64_e32 v[64:65], v[54:55], v[6:7]
	v_mul_f64_e32 v[66:67], v[52:53], v[6:7]
	s_delay_alu instid0(VALU_DEP_2) | instskip(NEXT) | instid1(VALU_DEP_2)
	v_fma_f64 v[64:65], v[52:53], v[4:5], -v[64:65]
	v_fmac_f64_e32 v[66:67], v[54:55], v[4:5]
	s_delay_alu instid0(VALU_DEP_2) | instskip(NEXT) | instid1(VALU_DEP_2)
	v_add_f64_e32 v[52:53], v[68:69], v[64:65]
	v_add_f64_e32 v[54:55], v[66:67], v[80:81]
	ds_load_b128 v[64:67], v70 offset:8336
	s_wait_dscnt 0x0
	v_mul_f64_e32 v[68:69], v[66:67], v[62:63]
	v_mul_f64_e32 v[62:63], v[64:65], v[62:63]
	s_delay_alu instid0(VALU_DEP_2) | instskip(NEXT) | instid1(VALU_DEP_2)
	v_fma_f64 v[68:69], v[64:65], v[60:61], -v[68:69]
	v_fmac_f64_e32 v[62:63], v[66:67], v[60:61]
	v_mul_f64_e32 v[60:61], v[66:67], v[6:7]
	v_mul_f64_e32 v[6:7], v[64:65], v[6:7]
	s_delay_alu instid0(VALU_DEP_4) | instskip(NEXT) | instid1(VALU_DEP_4)
	v_add_f64_e32 v[12:13], v[12:13], v[68:69]
	v_add_f64_e32 v[14:15], v[62:63], v[14:15]
	s_delay_alu instid0(VALU_DEP_4) | instskip(NEXT) | instid1(VALU_DEP_4)
	v_fma_f64 v[60:61], v[64:65], v[4:5], -v[60:61]
	v_fmac_f64_e32 v[6:7], v[66:67], v[4:5]
	s_delay_alu instid0(VALU_DEP_2) | instskip(NEXT) | instid1(VALU_DEP_2)
	v_add_f64_e32 v[60:61], v[8:9], v[60:61]
	v_add_f64_e32 v[62:63], v[6:7], v[10:11]
	ds_load_b128 v[4:7], v70 offset:160
	ds_load_b128 v[8:11], v20 offset:5120
	s_wait_dscnt 0x0
	v_mul_f64_e32 v[64:65], v[6:7], v[10:11]
	v_mul_f64_e32 v[66:67], v[4:5], v[10:11]
	s_delay_alu instid0(VALU_DEP_2) | instskip(NEXT) | instid1(VALU_DEP_2)
	v_fma_f64 v[64:65], v[4:5], v[8:9], -v[64:65]
	v_fmac_f64_e32 v[66:67], v[6:7], v[8:9]
	s_delay_alu instid0(VALU_DEP_2) | instskip(NEXT) | instid1(VALU_DEP_2)
	v_add_f64_e32 v[64:65], v[56:57], v[64:65]
	v_add_f64_e32 v[66:67], v[66:67], v[58:59]
	ds_load_b128 v[56:59], v20 offset:5376
	s_wait_dscnt 0x0
	v_mul_f64_e32 v[68:69], v[6:7], v[58:59]
	s_delay_alu instid0(VALU_DEP_1) | instskip(SKIP_1) | instid1(VALU_DEP_2)
	v_fma_f64 v[68:69], v[4:5], v[56:57], -v[68:69]
	v_mul_f64_e32 v[4:5], v[4:5], v[58:59]
	v_add_f64_e32 v[68:69], v[52:53], v[68:69]
	s_delay_alu instid0(VALU_DEP_2) | instskip(NEXT) | instid1(VALU_DEP_1)
	v_fmac_f64_e32 v[4:5], v[6:7], v[56:57]
	v_add_f64_e32 v[80:81], v[4:5], v[54:55]
	ds_load_b128 v[4:7], v70 offset:8352
	s_wait_dscnt 0x0
	v_mul_f64_e32 v[52:53], v[6:7], v[10:11]
	v_mul_f64_e32 v[10:11], v[4:5], v[10:11]
	s_delay_alu instid0(VALU_DEP_2) | instskip(NEXT) | instid1(VALU_DEP_2)
	v_fma_f64 v[52:53], v[4:5], v[8:9], -v[52:53]
	v_fmac_f64_e32 v[10:11], v[6:7], v[8:9]
	v_mul_f64_e32 v[8:9], v[6:7], v[58:59]
	s_delay_alu instid0(VALU_DEP_3) | instskip(NEXT) | instid1(VALU_DEP_3)
	v_add_f64_e32 v[12:13], v[12:13], v[52:53]
	v_add_f64_e32 v[14:15], v[10:11], v[14:15]
	s_delay_alu instid0(VALU_DEP_3) | instskip(SKIP_1) | instid1(VALU_DEP_2)
	v_fma_f64 v[8:9], v[4:5], v[56:57], -v[8:9]
	v_mul_f64_e32 v[4:5], v[4:5], v[58:59]
	v_add_f64_e32 v[8:9], v[60:61], v[8:9]
	s_delay_alu instid0(VALU_DEP_2) | instskip(NEXT) | instid1(VALU_DEP_1)
	v_fmac_f64_e32 v[4:5], v[6:7], v[56:57]
	v_add_f64_e32 v[10:11], v[4:5], v[62:63]
	ds_load_b128 v[52:55], v70 offset:176
	ds_load_b128 v[60:63], v20 offset:5632
	s_wait_dscnt 0x0
	v_mul_f64_e32 v[4:5], v[54:55], v[62:63]
	v_mul_f64_e32 v[6:7], v[52:53], v[62:63]
	s_delay_alu instid0(VALU_DEP_2) | instskip(NEXT) | instid1(VALU_DEP_2)
	v_fma_f64 v[4:5], v[52:53], v[60:61], -v[4:5]
	v_fmac_f64_e32 v[6:7], v[54:55], v[60:61]
	s_delay_alu instid0(VALU_DEP_2) | instskip(NEXT) | instid1(VALU_DEP_2)
	v_add_f64_e32 v[56:57], v[64:65], v[4:5]
	v_add_f64_e32 v[58:59], v[6:7], v[66:67]
	ds_load_b128 v[4:7], v20 offset:5888
	s_wait_dscnt 0x0
	v_mul_f64_e32 v[64:65], v[54:55], v[6:7]
	v_mul_f64_e32 v[66:67], v[52:53], v[6:7]
	s_delay_alu instid0(VALU_DEP_2) | instskip(NEXT) | instid1(VALU_DEP_2)
	v_fma_f64 v[64:65], v[52:53], v[4:5], -v[64:65]
	v_fmac_f64_e32 v[66:67], v[54:55], v[4:5]
	s_delay_alu instid0(VALU_DEP_2) | instskip(NEXT) | instid1(VALU_DEP_2)
	v_add_f64_e32 v[52:53], v[68:69], v[64:65]
	v_add_f64_e32 v[54:55], v[66:67], v[80:81]
	ds_load_b128 v[64:67], v70 offset:8368
	s_wait_dscnt 0x0
	v_mul_f64_e32 v[68:69], v[66:67], v[62:63]
	v_mul_f64_e32 v[62:63], v[64:65], v[62:63]
	s_delay_alu instid0(VALU_DEP_2) | instskip(NEXT) | instid1(VALU_DEP_2)
	v_fma_f64 v[68:69], v[64:65], v[60:61], -v[68:69]
	v_fmac_f64_e32 v[62:63], v[66:67], v[60:61]
	v_mul_f64_e32 v[60:61], v[66:67], v[6:7]
	v_mul_f64_e32 v[6:7], v[64:65], v[6:7]
	s_delay_alu instid0(VALU_DEP_4) | instskip(NEXT) | instid1(VALU_DEP_4)
	v_add_f64_e32 v[12:13], v[12:13], v[68:69]
	v_add_f64_e32 v[14:15], v[62:63], v[14:15]
	s_delay_alu instid0(VALU_DEP_4) | instskip(NEXT) | instid1(VALU_DEP_4)
	v_fma_f64 v[60:61], v[64:65], v[4:5], -v[60:61]
	v_fmac_f64_e32 v[6:7], v[66:67], v[4:5]
	s_delay_alu instid0(VALU_DEP_2) | instskip(NEXT) | instid1(VALU_DEP_2)
	v_add_f64_e32 v[60:61], v[8:9], v[60:61]
	v_add_f64_e32 v[62:63], v[6:7], v[10:11]
	ds_load_b128 v[4:7], v70 offset:192
	ds_load_b128 v[8:11], v20 offset:6144
	s_wait_dscnt 0x0
	v_mul_f64_e32 v[64:65], v[6:7], v[10:11]
	v_mul_f64_e32 v[66:67], v[4:5], v[10:11]
	s_delay_alu instid0(VALU_DEP_2) | instskip(NEXT) | instid1(VALU_DEP_2)
	v_fma_f64 v[64:65], v[4:5], v[8:9], -v[64:65]
	v_fmac_f64_e32 v[66:67], v[6:7], v[8:9]
	s_delay_alu instid0(VALU_DEP_2) | instskip(NEXT) | instid1(VALU_DEP_2)
	v_add_f64_e32 v[64:65], v[56:57], v[64:65]
	v_add_f64_e32 v[66:67], v[66:67], v[58:59]
	ds_load_b128 v[56:59], v20 offset:6400
	s_wait_dscnt 0x0
	v_mul_f64_e32 v[68:69], v[6:7], v[58:59]
	s_delay_alu instid0(VALU_DEP_1) | instskip(SKIP_1) | instid1(VALU_DEP_2)
	v_fma_f64 v[68:69], v[4:5], v[56:57], -v[68:69]
	v_mul_f64_e32 v[4:5], v[4:5], v[58:59]
	v_add_f64_e32 v[68:69], v[52:53], v[68:69]
	s_delay_alu instid0(VALU_DEP_2) | instskip(NEXT) | instid1(VALU_DEP_1)
	v_fmac_f64_e32 v[4:5], v[6:7], v[56:57]
	v_add_f64_e32 v[80:81], v[4:5], v[54:55]
	ds_load_b128 v[4:7], v70 offset:8384
	s_wait_dscnt 0x0
	v_mul_f64_e32 v[52:53], v[6:7], v[10:11]
	v_mul_f64_e32 v[10:11], v[4:5], v[10:11]
	s_delay_alu instid0(VALU_DEP_2) | instskip(NEXT) | instid1(VALU_DEP_2)
	v_fma_f64 v[52:53], v[4:5], v[8:9], -v[52:53]
	v_fmac_f64_e32 v[10:11], v[6:7], v[8:9]
	v_mul_f64_e32 v[8:9], v[6:7], v[58:59]
	s_delay_alu instid0(VALU_DEP_3) | instskip(NEXT) | instid1(VALU_DEP_3)
	v_add_f64_e32 v[12:13], v[12:13], v[52:53]
	v_add_f64_e32 v[14:15], v[10:11], v[14:15]
	s_delay_alu instid0(VALU_DEP_3) | instskip(SKIP_1) | instid1(VALU_DEP_2)
	v_fma_f64 v[8:9], v[4:5], v[56:57], -v[8:9]
	v_mul_f64_e32 v[4:5], v[4:5], v[58:59]
	v_add_f64_e32 v[8:9], v[60:61], v[8:9]
	s_delay_alu instid0(VALU_DEP_2) | instskip(NEXT) | instid1(VALU_DEP_1)
	v_fmac_f64_e32 v[4:5], v[6:7], v[56:57]
	v_add_f64_e32 v[10:11], v[4:5], v[62:63]
	ds_load_b128 v[52:55], v70 offset:208
	ds_load_b128 v[60:63], v20 offset:6656
	s_wait_dscnt 0x0
	v_mul_f64_e32 v[4:5], v[54:55], v[62:63]
	v_mul_f64_e32 v[6:7], v[52:53], v[62:63]
	s_delay_alu instid0(VALU_DEP_2) | instskip(NEXT) | instid1(VALU_DEP_2)
	v_fma_f64 v[4:5], v[52:53], v[60:61], -v[4:5]
	v_fmac_f64_e32 v[6:7], v[54:55], v[60:61]
	s_delay_alu instid0(VALU_DEP_2) | instskip(NEXT) | instid1(VALU_DEP_2)
	v_add_f64_e32 v[56:57], v[64:65], v[4:5]
	v_add_f64_e32 v[58:59], v[6:7], v[66:67]
	ds_load_b128 v[4:7], v20 offset:6912
	s_wait_dscnt 0x0
	v_mul_f64_e32 v[64:65], v[54:55], v[6:7]
	v_mul_f64_e32 v[66:67], v[52:53], v[6:7]
	s_delay_alu instid0(VALU_DEP_2) | instskip(NEXT) | instid1(VALU_DEP_2)
	v_fma_f64 v[64:65], v[52:53], v[4:5], -v[64:65]
	v_fmac_f64_e32 v[66:67], v[54:55], v[4:5]
	s_delay_alu instid0(VALU_DEP_2) | instskip(NEXT) | instid1(VALU_DEP_2)
	v_add_f64_e32 v[52:53], v[68:69], v[64:65]
	v_add_f64_e32 v[54:55], v[66:67], v[80:81]
	ds_load_b128 v[64:67], v70 offset:8400
	s_wait_dscnt 0x0
	v_mul_f64_e32 v[68:69], v[66:67], v[62:63]
	v_mul_f64_e32 v[62:63], v[64:65], v[62:63]
	s_delay_alu instid0(VALU_DEP_2) | instskip(NEXT) | instid1(VALU_DEP_2)
	v_fma_f64 v[68:69], v[64:65], v[60:61], -v[68:69]
	v_fmac_f64_e32 v[62:63], v[66:67], v[60:61]
	v_mul_f64_e32 v[60:61], v[66:67], v[6:7]
	v_mul_f64_e32 v[6:7], v[64:65], v[6:7]
	s_delay_alu instid0(VALU_DEP_4) | instskip(NEXT) | instid1(VALU_DEP_4)
	v_add_f64_e32 v[12:13], v[12:13], v[68:69]
	v_add_f64_e32 v[14:15], v[62:63], v[14:15]
	s_delay_alu instid0(VALU_DEP_4) | instskip(NEXT) | instid1(VALU_DEP_4)
	v_fma_f64 v[60:61], v[64:65], v[4:5], -v[60:61]
	v_fmac_f64_e32 v[6:7], v[66:67], v[4:5]
	s_delay_alu instid0(VALU_DEP_2) | instskip(NEXT) | instid1(VALU_DEP_2)
	v_add_f64_e32 v[60:61], v[8:9], v[60:61]
	v_add_f64_e32 v[62:63], v[6:7], v[10:11]
	ds_load_b128 v[4:7], v70 offset:224
	ds_load_b128 v[8:11], v20 offset:7168
	s_wait_dscnt 0x0
	v_mul_f64_e32 v[64:65], v[6:7], v[10:11]
	v_mul_f64_e32 v[66:67], v[4:5], v[10:11]
	s_delay_alu instid0(VALU_DEP_2) | instskip(NEXT) | instid1(VALU_DEP_2)
	v_fma_f64 v[64:65], v[4:5], v[8:9], -v[64:65]
	v_fmac_f64_e32 v[66:67], v[6:7], v[8:9]
	s_delay_alu instid0(VALU_DEP_2) | instskip(NEXT) | instid1(VALU_DEP_2)
	v_add_f64_e32 v[64:65], v[56:57], v[64:65]
	v_add_f64_e32 v[66:67], v[66:67], v[58:59]
	ds_load_b128 v[56:59], v20 offset:7424
	s_wait_dscnt 0x0
	v_mul_f64_e32 v[68:69], v[6:7], v[58:59]
	s_delay_alu instid0(VALU_DEP_1) | instskip(SKIP_1) | instid1(VALU_DEP_2)
	v_fma_f64 v[68:69], v[4:5], v[56:57], -v[68:69]
	v_mul_f64_e32 v[4:5], v[4:5], v[58:59]
	v_add_f64_e32 v[68:69], v[52:53], v[68:69]
	s_delay_alu instid0(VALU_DEP_2) | instskip(NEXT) | instid1(VALU_DEP_1)
	v_fmac_f64_e32 v[4:5], v[6:7], v[56:57]
	v_add_f64_e32 v[80:81], v[4:5], v[54:55]
	ds_load_b128 v[4:7], v70 offset:8416
	s_wait_dscnt 0x0
	v_mul_f64_e32 v[52:53], v[6:7], v[10:11]
	v_mul_f64_e32 v[10:11], v[4:5], v[10:11]
	s_delay_alu instid0(VALU_DEP_2) | instskip(NEXT) | instid1(VALU_DEP_2)
	v_fma_f64 v[52:53], v[4:5], v[8:9], -v[52:53]
	v_fmac_f64_e32 v[10:11], v[6:7], v[8:9]
	v_mul_f64_e32 v[8:9], v[6:7], v[58:59]
	s_delay_alu instid0(VALU_DEP_3) | instskip(NEXT) | instid1(VALU_DEP_3)
	v_add_f64_e32 v[12:13], v[12:13], v[52:53]
	v_add_f64_e32 v[14:15], v[10:11], v[14:15]
	s_delay_alu instid0(VALU_DEP_3) | instskip(SKIP_1) | instid1(VALU_DEP_2)
	v_fma_f64 v[8:9], v[4:5], v[56:57], -v[8:9]
	v_mul_f64_e32 v[4:5], v[4:5], v[58:59]
	v_add_f64_e32 v[8:9], v[60:61], v[8:9]
	s_delay_alu instid0(VALU_DEP_2) | instskip(NEXT) | instid1(VALU_DEP_1)
	v_fmac_f64_e32 v[4:5], v[6:7], v[56:57]
	v_add_f64_e32 v[10:11], v[4:5], v[62:63]
	ds_load_b128 v[52:55], v70 offset:240
	ds_load_b128 v[60:63], v20 offset:7680
	s_wait_dscnt 0x0
	v_mul_f64_e32 v[4:5], v[54:55], v[62:63]
	v_mul_f64_e32 v[6:7], v[52:53], v[62:63]
	s_delay_alu instid0(VALU_DEP_2) | instskip(NEXT) | instid1(VALU_DEP_2)
	v_fma_f64 v[4:5], v[52:53], v[60:61], -v[4:5]
	v_fmac_f64_e32 v[6:7], v[54:55], v[60:61]
	s_delay_alu instid0(VALU_DEP_2) | instskip(NEXT) | instid1(VALU_DEP_2)
	v_add_f64_e32 v[56:57], v[64:65], v[4:5]
	v_add_f64_e32 v[58:59], v[6:7], v[66:67]
	ds_load_b128 v[4:7], v20 offset:7936
	s_wait_dscnt 0x0
	v_mul_f64_e32 v[64:65], v[54:55], v[6:7]
	v_mul_f64_e32 v[66:67], v[52:53], v[6:7]
	s_delay_alu instid0(VALU_DEP_2) | instskip(NEXT) | instid1(VALU_DEP_2)
	v_fma_f64 v[64:65], v[52:53], v[4:5], -v[64:65]
	v_fmac_f64_e32 v[66:67], v[54:55], v[4:5]
	s_delay_alu instid0(VALU_DEP_2) | instskip(NEXT) | instid1(VALU_DEP_2)
	v_add_f64_e32 v[52:53], v[68:69], v[64:65]
	v_add_f64_e32 v[54:55], v[66:67], v[80:81]
	ds_load_b128 v[64:67], v70 offset:8432
	s_wait_dscnt 0x0
	v_mul_f64_e32 v[68:69], v[66:67], v[62:63]
	v_mul_f64_e32 v[62:63], v[64:65], v[62:63]
	s_delay_alu instid0(VALU_DEP_2) | instskip(NEXT) | instid1(VALU_DEP_2)
	v_fma_f64 v[68:69], v[64:65], v[60:61], -v[68:69]
	v_fmac_f64_e32 v[62:63], v[66:67], v[60:61]
	v_mul_f64_e32 v[60:61], v[66:67], v[6:7]
	v_mul_f64_e32 v[6:7], v[64:65], v[6:7]
	s_delay_alu instid0(VALU_DEP_4) | instskip(NEXT) | instid1(VALU_DEP_4)
	v_add_f64_e32 v[12:13], v[12:13], v[68:69]
	v_add_f64_e32 v[14:15], v[62:63], v[14:15]
	s_delay_alu instid0(VALU_DEP_4) | instskip(NEXT) | instid1(VALU_DEP_4)
	v_fma_f64 v[60:61], v[64:65], v[4:5], -v[60:61]
	v_fmac_f64_e32 v[6:7], v[66:67], v[4:5]
	s_delay_alu instid0(VALU_DEP_2) | instskip(NEXT) | instid1(VALU_DEP_2)
	v_add_f64_e32 v[60:61], v[8:9], v[60:61]
	v_add_f64_e32 v[62:63], v[6:7], v[10:11]
	ds_load_b128 v[4:7], v70 offset:256
	ds_load_b128 v[8:11], v20 offset:8192
	s_wait_dscnt 0x0
	v_mul_f64_e32 v[64:65], v[6:7], v[10:11]
	v_mul_f64_e32 v[66:67], v[4:5], v[10:11]
	s_delay_alu instid0(VALU_DEP_2) | instskip(NEXT) | instid1(VALU_DEP_2)
	v_fma_f64 v[64:65], v[4:5], v[8:9], -v[64:65]
	v_fmac_f64_e32 v[66:67], v[6:7], v[8:9]
	s_delay_alu instid0(VALU_DEP_2) | instskip(NEXT) | instid1(VALU_DEP_2)
	v_add_f64_e32 v[64:65], v[56:57], v[64:65]
	v_add_f64_e32 v[66:67], v[66:67], v[58:59]
	ds_load_b128 v[56:59], v20 offset:8448
	s_wait_dscnt 0x0
	v_mul_f64_e32 v[68:69], v[6:7], v[58:59]
	s_delay_alu instid0(VALU_DEP_1) | instskip(SKIP_1) | instid1(VALU_DEP_2)
	v_fma_f64 v[68:69], v[4:5], v[56:57], -v[68:69]
	v_mul_f64_e32 v[4:5], v[4:5], v[58:59]
	v_add_f64_e32 v[68:69], v[52:53], v[68:69]
	s_delay_alu instid0(VALU_DEP_2) | instskip(NEXT) | instid1(VALU_DEP_1)
	v_fmac_f64_e32 v[4:5], v[6:7], v[56:57]
	v_add_f64_e32 v[80:81], v[4:5], v[54:55]
	ds_load_b128 v[4:7], v70 offset:8448
	s_wait_dscnt 0x0
	v_mul_f64_e32 v[52:53], v[6:7], v[10:11]
	v_mul_f64_e32 v[10:11], v[4:5], v[10:11]
	s_delay_alu instid0(VALU_DEP_2) | instskip(NEXT) | instid1(VALU_DEP_2)
	v_fma_f64 v[52:53], v[4:5], v[8:9], -v[52:53]
	v_fmac_f64_e32 v[10:11], v[6:7], v[8:9]
	v_mul_f64_e32 v[8:9], v[6:7], v[58:59]
	s_delay_alu instid0(VALU_DEP_3) | instskip(NEXT) | instid1(VALU_DEP_3)
	v_add_f64_e32 v[12:13], v[12:13], v[52:53]
	v_add_f64_e32 v[14:15], v[10:11], v[14:15]
	s_delay_alu instid0(VALU_DEP_3) | instskip(SKIP_1) | instid1(VALU_DEP_2)
	v_fma_f64 v[8:9], v[4:5], v[56:57], -v[8:9]
	v_mul_f64_e32 v[4:5], v[4:5], v[58:59]
	v_add_f64_e32 v[8:9], v[60:61], v[8:9]
	s_delay_alu instid0(VALU_DEP_2) | instskip(NEXT) | instid1(VALU_DEP_1)
	v_fmac_f64_e32 v[4:5], v[6:7], v[56:57]
	v_add_f64_e32 v[10:11], v[4:5], v[62:63]
	ds_load_b128 v[52:55], v70 offset:272
	ds_load_b128 v[60:63], v20 offset:8704
	s_wait_dscnt 0x0
	v_mul_f64_e32 v[4:5], v[54:55], v[62:63]
	v_mul_f64_e32 v[6:7], v[52:53], v[62:63]
	s_delay_alu instid0(VALU_DEP_2) | instskip(NEXT) | instid1(VALU_DEP_2)
	v_fma_f64 v[4:5], v[52:53], v[60:61], -v[4:5]
	v_fmac_f64_e32 v[6:7], v[54:55], v[60:61]
	s_delay_alu instid0(VALU_DEP_2) | instskip(NEXT) | instid1(VALU_DEP_2)
	v_add_f64_e32 v[56:57], v[64:65], v[4:5]
	v_add_f64_e32 v[58:59], v[6:7], v[66:67]
	ds_load_b128 v[4:7], v20 offset:8960
	s_wait_dscnt 0x0
	v_mul_f64_e32 v[64:65], v[54:55], v[6:7]
	v_mul_f64_e32 v[66:67], v[52:53], v[6:7]
	s_delay_alu instid0(VALU_DEP_2) | instskip(NEXT) | instid1(VALU_DEP_2)
	v_fma_f64 v[64:65], v[52:53], v[4:5], -v[64:65]
	v_fmac_f64_e32 v[66:67], v[54:55], v[4:5]
	s_delay_alu instid0(VALU_DEP_2) | instskip(NEXT) | instid1(VALU_DEP_2)
	v_add_f64_e32 v[52:53], v[68:69], v[64:65]
	v_add_f64_e32 v[54:55], v[66:67], v[80:81]
	ds_load_b128 v[64:67], v70 offset:8464
	s_wait_dscnt 0x0
	v_mul_f64_e32 v[68:69], v[66:67], v[62:63]
	v_mul_f64_e32 v[62:63], v[64:65], v[62:63]
	s_delay_alu instid0(VALU_DEP_2) | instskip(NEXT) | instid1(VALU_DEP_2)
	v_fma_f64 v[68:69], v[64:65], v[60:61], -v[68:69]
	v_fmac_f64_e32 v[62:63], v[66:67], v[60:61]
	v_mul_f64_e32 v[60:61], v[66:67], v[6:7]
	v_mul_f64_e32 v[6:7], v[64:65], v[6:7]
	s_delay_alu instid0(VALU_DEP_4) | instskip(NEXT) | instid1(VALU_DEP_4)
	v_add_f64_e32 v[12:13], v[12:13], v[68:69]
	v_add_f64_e32 v[14:15], v[62:63], v[14:15]
	s_delay_alu instid0(VALU_DEP_4) | instskip(NEXT) | instid1(VALU_DEP_4)
	v_fma_f64 v[60:61], v[64:65], v[4:5], -v[60:61]
	v_fmac_f64_e32 v[6:7], v[66:67], v[4:5]
	s_delay_alu instid0(VALU_DEP_2) | instskip(NEXT) | instid1(VALU_DEP_2)
	v_add_f64_e32 v[60:61], v[8:9], v[60:61]
	v_add_f64_e32 v[62:63], v[6:7], v[10:11]
	ds_load_b128 v[4:7], v70 offset:288
	ds_load_b128 v[8:11], v20 offset:9216
	s_wait_dscnt 0x0
	v_mul_f64_e32 v[64:65], v[6:7], v[10:11]
	v_mul_f64_e32 v[66:67], v[4:5], v[10:11]
	s_delay_alu instid0(VALU_DEP_2) | instskip(NEXT) | instid1(VALU_DEP_2)
	v_fma_f64 v[64:65], v[4:5], v[8:9], -v[64:65]
	v_fmac_f64_e32 v[66:67], v[6:7], v[8:9]
	s_delay_alu instid0(VALU_DEP_2) | instskip(NEXT) | instid1(VALU_DEP_2)
	v_add_f64_e32 v[64:65], v[56:57], v[64:65]
	v_add_f64_e32 v[66:67], v[66:67], v[58:59]
	ds_load_b128 v[56:59], v20 offset:9472
	s_wait_dscnt 0x0
	v_mul_f64_e32 v[68:69], v[6:7], v[58:59]
	s_delay_alu instid0(VALU_DEP_1) | instskip(SKIP_1) | instid1(VALU_DEP_2)
	v_fma_f64 v[68:69], v[4:5], v[56:57], -v[68:69]
	v_mul_f64_e32 v[4:5], v[4:5], v[58:59]
	v_add_f64_e32 v[68:69], v[52:53], v[68:69]
	s_delay_alu instid0(VALU_DEP_2) | instskip(NEXT) | instid1(VALU_DEP_1)
	v_fmac_f64_e32 v[4:5], v[6:7], v[56:57]
	v_add_f64_e32 v[80:81], v[4:5], v[54:55]
	ds_load_b128 v[4:7], v70 offset:8480
	s_wait_dscnt 0x0
	v_mul_f64_e32 v[52:53], v[6:7], v[10:11]
	v_mul_f64_e32 v[10:11], v[4:5], v[10:11]
	s_delay_alu instid0(VALU_DEP_2) | instskip(NEXT) | instid1(VALU_DEP_2)
	v_fma_f64 v[52:53], v[4:5], v[8:9], -v[52:53]
	v_fmac_f64_e32 v[10:11], v[6:7], v[8:9]
	v_mul_f64_e32 v[8:9], v[6:7], v[58:59]
	s_delay_alu instid0(VALU_DEP_3) | instskip(NEXT) | instid1(VALU_DEP_3)
	v_add_f64_e32 v[12:13], v[12:13], v[52:53]
	v_add_f64_e32 v[14:15], v[10:11], v[14:15]
	s_delay_alu instid0(VALU_DEP_3) | instskip(SKIP_1) | instid1(VALU_DEP_2)
	v_fma_f64 v[8:9], v[4:5], v[56:57], -v[8:9]
	v_mul_f64_e32 v[4:5], v[4:5], v[58:59]
	v_add_f64_e32 v[8:9], v[60:61], v[8:9]
	s_delay_alu instid0(VALU_DEP_2) | instskip(NEXT) | instid1(VALU_DEP_1)
	v_fmac_f64_e32 v[4:5], v[6:7], v[56:57]
	v_add_f64_e32 v[10:11], v[4:5], v[62:63]
	ds_load_b128 v[52:55], v70 offset:304
	ds_load_b128 v[60:63], v20 offset:9728
	s_wait_dscnt 0x0
	v_mul_f64_e32 v[4:5], v[54:55], v[62:63]
	v_mul_f64_e32 v[6:7], v[52:53], v[62:63]
	s_delay_alu instid0(VALU_DEP_2) | instskip(NEXT) | instid1(VALU_DEP_2)
	v_fma_f64 v[4:5], v[52:53], v[60:61], -v[4:5]
	v_fmac_f64_e32 v[6:7], v[54:55], v[60:61]
	s_delay_alu instid0(VALU_DEP_2) | instskip(NEXT) | instid1(VALU_DEP_2)
	v_add_f64_e32 v[56:57], v[64:65], v[4:5]
	v_add_f64_e32 v[58:59], v[6:7], v[66:67]
	ds_load_b128 v[4:7], v20 offset:9984
	s_wait_dscnt 0x0
	v_mul_f64_e32 v[64:65], v[54:55], v[6:7]
	v_mul_f64_e32 v[66:67], v[52:53], v[6:7]
	s_delay_alu instid0(VALU_DEP_2) | instskip(NEXT) | instid1(VALU_DEP_2)
	v_fma_f64 v[64:65], v[52:53], v[4:5], -v[64:65]
	v_fmac_f64_e32 v[66:67], v[54:55], v[4:5]
	s_delay_alu instid0(VALU_DEP_2) | instskip(NEXT) | instid1(VALU_DEP_2)
	v_add_f64_e32 v[52:53], v[68:69], v[64:65]
	v_add_f64_e32 v[54:55], v[66:67], v[80:81]
	ds_load_b128 v[64:67], v70 offset:8496
	s_wait_dscnt 0x0
	v_mul_f64_e32 v[68:69], v[66:67], v[62:63]
	v_mul_f64_e32 v[62:63], v[64:65], v[62:63]
	s_delay_alu instid0(VALU_DEP_2) | instskip(NEXT) | instid1(VALU_DEP_2)
	v_fma_f64 v[68:69], v[64:65], v[60:61], -v[68:69]
	v_fmac_f64_e32 v[62:63], v[66:67], v[60:61]
	s_delay_alu instid0(VALU_DEP_2) | instskip(SKIP_2) | instid1(VALU_DEP_4)
	v_add_f64_e32 v[60:61], v[12:13], v[68:69]
	v_mul_f64_e32 v[12:13], v[66:67], v[6:7]
	v_mul_f64_e32 v[6:7], v[64:65], v[6:7]
	v_add_f64_e32 v[62:63], v[62:63], v[14:15]
	s_delay_alu instid0(VALU_DEP_3) | instskip(NEXT) | instid1(VALU_DEP_3)
	v_fma_f64 v[12:13], v[64:65], v[4:5], -v[12:13]
	v_fmac_f64_e32 v[6:7], v[66:67], v[4:5]
	s_delay_alu instid0(VALU_DEP_2) | instskip(NEXT) | instid1(VALU_DEP_2)
	v_add_f64_e32 v[64:65], v[8:9], v[12:13]
	v_add_f64_e32 v[66:67], v[6:7], v[10:11]
	ds_load_b128 v[4:7], v70 offset:320
	ds_load_b128 v[8:11], v20 offset:10240
	s_wait_dscnt 0x0
	v_mul_f64_e32 v[12:13], v[6:7], v[10:11]
	v_mul_f64_e32 v[14:15], v[4:5], v[10:11]
	s_delay_alu instid0(VALU_DEP_2) | instskip(NEXT) | instid1(VALU_DEP_2)
	v_fma_f64 v[12:13], v[4:5], v[8:9], -v[12:13]
	v_fmac_f64_e32 v[14:15], v[6:7], v[8:9]
	s_delay_alu instid0(VALU_DEP_2) | instskip(NEXT) | instid1(VALU_DEP_2)
	v_add_f64_e32 v[56:57], v[56:57], v[12:13]
	v_add_f64_e32 v[58:59], v[14:15], v[58:59]
	ds_load_b128 v[12:15], v20 offset:10496
	s_wait_dscnt 0x0
	v_mul_f64_e32 v[68:69], v[6:7], v[14:15]
	s_delay_alu instid0(VALU_DEP_1) | instskip(SKIP_1) | instid1(VALU_DEP_2)
	v_fma_f64 v[68:69], v[4:5], v[12:13], -v[68:69]
	v_mul_f64_e32 v[4:5], v[4:5], v[14:15]
	v_add_f64_e32 v[52:53], v[52:53], v[68:69]
	s_delay_alu instid0(VALU_DEP_2) | instskip(NEXT) | instid1(VALU_DEP_1)
	v_fmac_f64_e32 v[4:5], v[6:7], v[12:13]
	v_add_f64_e32 v[54:55], v[4:5], v[54:55]
	ds_load_b128 v[4:7], v70 offset:8512
	s_wait_dscnt 0x0
	v_mul_f64_e32 v[68:69], v[6:7], v[10:11]
	v_mul_f64_e32 v[10:11], v[4:5], v[10:11]
	s_delay_alu instid0(VALU_DEP_2) | instskip(NEXT) | instid1(VALU_DEP_2)
	v_fma_f64 v[68:69], v[4:5], v[8:9], -v[68:69]
	v_fmac_f64_e32 v[10:11], v[6:7], v[8:9]
	v_mul_f64_e32 v[8:9], v[6:7], v[14:15]
	s_delay_alu instid0(VALU_DEP_3) | instskip(NEXT) | instid1(VALU_DEP_3)
	v_add_f64_e32 v[60:61], v[60:61], v[68:69]
	v_add_f64_e32 v[62:63], v[10:11], v[62:63]
	s_delay_alu instid0(VALU_DEP_3) | instskip(SKIP_1) | instid1(VALU_DEP_1)
	v_fma_f64 v[8:9], v[4:5], v[12:13], -v[8:9]
	v_mul_f64_e32 v[4:5], v[4:5], v[14:15]
	v_fmac_f64_e32 v[4:5], v[6:7], v[12:13]
	s_delay_alu instid0(VALU_DEP_3) | instskip(NEXT) | instid1(VALU_DEP_2)
	v_add_f64_e32 v[12:13], v[64:65], v[8:9]
	v_add_f64_e32 v[14:15], v[4:5], v[66:67]
	ds_load_b128 v[8:11], v70 offset:336
	ds_load_b128 v[64:67], v20 offset:10752
	s_wait_dscnt 0x0
	v_mul_f64_e32 v[4:5], v[10:11], v[66:67]
	v_mul_f64_e32 v[6:7], v[8:9], v[66:67]
	s_delay_alu instid0(VALU_DEP_2) | instskip(NEXT) | instid1(VALU_DEP_2)
	v_fma_f64 v[4:5], v[8:9], v[64:65], -v[4:5]
	v_fmac_f64_e32 v[6:7], v[10:11], v[64:65]
	s_delay_alu instid0(VALU_DEP_2) | instskip(NEXT) | instid1(VALU_DEP_2)
	v_add_f64_e32 v[56:57], v[56:57], v[4:5]
	v_add_f64_e32 v[58:59], v[6:7], v[58:59]
	ds_load_b128 v[4:7], v20 offset:11008
	s_wait_dscnt 0x0
	v_mul_f64_e32 v[68:69], v[10:11], v[6:7]
	s_delay_alu instid0(VALU_DEP_1) | instskip(SKIP_1) | instid1(VALU_DEP_2)
	v_fma_f64 v[68:69], v[8:9], v[4:5], -v[68:69]
	v_mul_f64_e32 v[8:9], v[8:9], v[6:7]
	v_add_f64_e32 v[52:53], v[52:53], v[68:69]
	s_delay_alu instid0(VALU_DEP_2) | instskip(NEXT) | instid1(VALU_DEP_1)
	v_fmac_f64_e32 v[8:9], v[10:11], v[4:5]
	v_add_f64_e32 v[54:55], v[8:9], v[54:55]
	ds_load_b128 v[8:11], v70 offset:8528
	s_wait_dscnt 0x0
	v_mul_f64_e32 v[68:69], v[10:11], v[66:67]
	v_mul_f64_e32 v[66:67], v[8:9], v[66:67]
	s_delay_alu instid0(VALU_DEP_2) | instskip(NEXT) | instid1(VALU_DEP_2)
	v_fma_f64 v[68:69], v[8:9], v[64:65], -v[68:69]
	v_fmac_f64_e32 v[66:67], v[10:11], v[64:65]
	v_mul_f64_e32 v[64:65], v[10:11], v[6:7]
	v_mul_f64_e32 v[6:7], v[8:9], v[6:7]
	s_delay_alu instid0(VALU_DEP_4) | instskip(NEXT) | instid1(VALU_DEP_4)
	v_add_f64_e32 v[60:61], v[60:61], v[68:69]
	v_add_f64_e32 v[62:63], v[66:67], v[62:63]
	s_delay_alu instid0(VALU_DEP_4) | instskip(NEXT) | instid1(VALU_DEP_4)
	v_fma_f64 v[64:65], v[8:9], v[4:5], -v[64:65]
	v_fmac_f64_e32 v[6:7], v[10:11], v[4:5]
	s_delay_alu instid0(VALU_DEP_2) | instskip(NEXT) | instid1(VALU_DEP_2)
	v_add_f64_e32 v[64:65], v[12:13], v[64:65]
	v_add_f64_e32 v[66:67], v[6:7], v[14:15]
	ds_load_b128 v[4:7], v70 offset:352
	ds_load_b128 v[8:11], v20 offset:11264
	s_wait_dscnt 0x0
	v_mul_f64_e32 v[12:13], v[6:7], v[10:11]
	v_mul_f64_e32 v[14:15], v[4:5], v[10:11]
	s_delay_alu instid0(VALU_DEP_2) | instskip(NEXT) | instid1(VALU_DEP_2)
	v_fma_f64 v[12:13], v[4:5], v[8:9], -v[12:13]
	v_fmac_f64_e32 v[14:15], v[6:7], v[8:9]
	s_delay_alu instid0(VALU_DEP_2) | instskip(NEXT) | instid1(VALU_DEP_2)
	v_add_f64_e32 v[68:69], v[56:57], v[12:13]
	v_add_f64_e32 v[80:81], v[14:15], v[58:59]
	ds_load_b128 v[56:59], v20 offset:11520
	s_wait_dscnt 0x0
	v_mul_f64_e32 v[12:13], v[6:7], v[58:59]
	s_delay_alu instid0(VALU_DEP_1) | instskip(SKIP_1) | instid1(VALU_DEP_2)
	v_fma_f64 v[12:13], v[4:5], v[56:57], -v[12:13]
	v_mul_f64_e32 v[4:5], v[4:5], v[58:59]
	v_add_f64_e32 v[82:83], v[52:53], v[12:13]
	s_delay_alu instid0(VALU_DEP_2) | instskip(NEXT) | instid1(VALU_DEP_1)
	v_fmac_f64_e32 v[4:5], v[6:7], v[56:57]
	v_add_f64_e32 v[84:85], v[4:5], v[54:55]
	ds_load_b128 v[4:7], v70 offset:8544
	s_wait_dscnt 0x0
	v_mul_f64_e32 v[12:13], v[6:7], v[10:11]
	v_mul_f64_e32 v[10:11], v[4:5], v[10:11]
	s_delay_alu instid0(VALU_DEP_2) | instskip(NEXT) | instid1(VALU_DEP_2)
	v_fma_f64 v[12:13], v[4:5], v[8:9], -v[12:13]
	v_fmac_f64_e32 v[10:11], v[6:7], v[8:9]
	v_mul_f64_e32 v[8:9], v[6:7], v[58:59]
	s_delay_alu instid0(VALU_DEP_3) | instskip(NEXT) | instid1(VALU_DEP_3)
	v_add_f64_e32 v[12:13], v[60:61], v[12:13]
	v_add_f64_e32 v[14:15], v[10:11], v[62:63]
	s_delay_alu instid0(VALU_DEP_3) | instskip(SKIP_1) | instid1(VALU_DEP_2)
	v_fma_f64 v[8:9], v[4:5], v[56:57], -v[8:9]
	v_mul_f64_e32 v[4:5], v[4:5], v[58:59]
	v_add_f64_e32 v[52:53], v[64:65], v[8:9]
	s_delay_alu instid0(VALU_DEP_2) | instskip(NEXT) | instid1(VALU_DEP_1)
	v_fmac_f64_e32 v[4:5], v[6:7], v[56:57]
	v_add_f64_e32 v[54:55], v[4:5], v[66:67]
	ds_load_b128 v[56:59], v70 offset:368
	ds_load_b128 v[4:7], v20 offset:11776
	s_wait_dscnt 0x0
	v_mul_f64_e32 v[8:9], v[58:59], v[6:7]
	v_mul_f64_e32 v[10:11], v[56:57], v[6:7]
	s_delay_alu instid0(VALU_DEP_2) | instskip(NEXT) | instid1(VALU_DEP_2)
	v_fma_f64 v[8:9], v[56:57], v[4:5], -v[8:9]
	v_fmac_f64_e32 v[10:11], v[58:59], v[4:5]
	s_delay_alu instid0(VALU_DEP_2) | instskip(NEXT) | instid1(VALU_DEP_2)
	v_add_f64_e32 v[60:61], v[68:69], v[8:9]
	v_add_f64_e32 v[62:63], v[10:11], v[80:81]
	ds_load_b128 v[8:11], v20 offset:12032
	s_wait_dscnt 0x0
	v_mul_f64_e32 v[64:65], v[58:59], v[10:11]
	v_mul_f64_e32 v[66:67], v[56:57], v[10:11]
	s_delay_alu instid0(VALU_DEP_2) | instskip(NEXT) | instid1(VALU_DEP_2)
	v_fma_f64 v[64:65], v[56:57], v[8:9], -v[64:65]
	v_fmac_f64_e32 v[66:67], v[58:59], v[8:9]
	s_delay_alu instid0(VALU_DEP_2) | instskip(NEXT) | instid1(VALU_DEP_2)
	v_add_f64_e32 v[56:57], v[82:83], v[64:65]
	v_add_f64_e32 v[58:59], v[66:67], v[84:85]
	ds_load_b128 v[64:67], v70 offset:8560
	s_wait_dscnt 0x0
	v_mul_f64_e32 v[68:69], v[66:67], v[6:7]
	v_mul_f64_e32 v[6:7], v[64:65], v[6:7]
	s_delay_alu instid0(VALU_DEP_2) | instskip(NEXT) | instid1(VALU_DEP_2)
	v_fma_f64 v[68:69], v[64:65], v[4:5], -v[68:69]
	v_fmac_f64_e32 v[6:7], v[66:67], v[4:5]
	v_mul_f64_e32 v[4:5], v[66:67], v[10:11]
	s_delay_alu instid0(VALU_DEP_3) | instskip(NEXT) | instid1(VALU_DEP_3)
	v_add_f64_e32 v[68:69], v[12:13], v[68:69]
	v_add_f64_e32 v[80:81], v[6:7], v[14:15]
	v_mul_f64_e32 v[6:7], v[64:65], v[10:11]
	s_delay_alu instid0(VALU_DEP_4) | instskip(NEXT) | instid1(VALU_DEP_2)
	v_fma_f64 v[4:5], v[64:65], v[8:9], -v[4:5]
	v_fmac_f64_e32 v[6:7], v[66:67], v[8:9]
	s_delay_alu instid0(VALU_DEP_2) | instskip(NEXT) | instid1(VALU_DEP_2)
	v_add_f64_e32 v[52:53], v[52:53], v[4:5]
	v_add_f64_e32 v[54:55], v[6:7], v[54:55]
	ds_load_b128 v[4:7], v70 offset:384
	ds_load_b128 v[8:11], v20 offset:12288
	s_wait_dscnt 0x0
	v_mul_f64_e32 v[12:13], v[6:7], v[10:11]
	v_mul_f64_e32 v[14:15], v[4:5], v[10:11]
	s_delay_alu instid0(VALU_DEP_2) | instskip(NEXT) | instid1(VALU_DEP_2)
	v_fma_f64 v[12:13], v[4:5], v[8:9], -v[12:13]
	v_fmac_f64_e32 v[14:15], v[6:7], v[8:9]
	s_delay_alu instid0(VALU_DEP_2) | instskip(NEXT) | instid1(VALU_DEP_2)
	v_add_f64_e32 v[60:61], v[60:61], v[12:13]
	v_add_f64_e32 v[62:63], v[14:15], v[62:63]
	ds_load_b128 v[12:15], v20 offset:12544
	s_wait_dscnt 0x0
	v_mul_f64_e32 v[64:65], v[6:7], v[14:15]
	s_delay_alu instid0(VALU_DEP_1) | instskip(SKIP_1) | instid1(VALU_DEP_2)
	v_fma_f64 v[64:65], v[4:5], v[12:13], -v[64:65]
	v_mul_f64_e32 v[4:5], v[4:5], v[14:15]
	v_add_f64_e32 v[64:65], v[56:57], v[64:65]
	s_delay_alu instid0(VALU_DEP_2) | instskip(NEXT) | instid1(VALU_DEP_1)
	v_fmac_f64_e32 v[4:5], v[6:7], v[12:13]
	v_add_f64_e32 v[66:67], v[4:5], v[58:59]
	ds_load_b128 v[4:7], v70 offset:8576
	s_wait_dscnt 0x0
	v_mul_f64_e32 v[56:57], v[6:7], v[10:11]
	v_mul_f64_e32 v[10:11], v[4:5], v[10:11]
	s_delay_alu instid0(VALU_DEP_2) | instskip(NEXT) | instid1(VALU_DEP_2)
	v_fma_f64 v[56:57], v[4:5], v[8:9], -v[56:57]
	v_fmac_f64_e32 v[10:11], v[6:7], v[8:9]
	s_delay_alu instid0(VALU_DEP_2) | instskip(SKIP_2) | instid1(VALU_DEP_4)
	v_add_f64_e32 v[8:9], v[68:69], v[56:57]
	v_mul_f64_e32 v[56:57], v[6:7], v[14:15]
	v_mul_f64_e32 v[14:15], v[4:5], v[14:15]
	v_add_f64_e32 v[10:11], v[10:11], v[80:81]
	s_delay_alu instid0(VALU_DEP_3) | instskip(NEXT) | instid1(VALU_DEP_3)
	v_fma_f64 v[56:57], v[4:5], v[12:13], -v[56:57]
	v_fmac_f64_e32 v[14:15], v[6:7], v[12:13]
	s_delay_alu instid0(VALU_DEP_2) | instskip(NEXT) | instid1(VALU_DEP_2)
	v_add_f64_e32 v[4:5], v[52:53], v[56:57]
	v_add_f64_e32 v[6:7], v[14:15], v[54:55]
	ds_load_b128 v[12:15], v70 offset:400
	ds_load_b128 v[56:59], v20 offset:12800
	s_wait_dscnt 0x0
	v_mul_f64_e32 v[52:53], v[14:15], v[58:59]
	v_mul_f64_e32 v[54:55], v[12:13], v[58:59]
	s_delay_alu instid0(VALU_DEP_2) | instskip(NEXT) | instid1(VALU_DEP_2)
	v_fma_f64 v[52:53], v[12:13], v[56:57], -v[52:53]
	v_fmac_f64_e32 v[54:55], v[14:15], v[56:57]
	s_delay_alu instid0(VALU_DEP_2) | instskip(NEXT) | instid1(VALU_DEP_2)
	v_add_f64_e32 v[52:53], v[60:61], v[52:53]
	v_add_f64_e32 v[54:55], v[54:55], v[62:63]
	ds_load_b128 v[60:63], v20 offset:13056
	s_wait_dscnt 0x0
	v_mul_f64_e32 v[68:69], v[14:15], v[62:63]
	v_mul_f64_e32 v[80:81], v[12:13], v[62:63]
	s_delay_alu instid0(VALU_DEP_2) | instskip(NEXT) | instid1(VALU_DEP_2)
	v_fma_f64 v[68:69], v[12:13], v[60:61], -v[68:69]
	v_fmac_f64_e32 v[80:81], v[14:15], v[60:61]
	s_delay_alu instid0(VALU_DEP_2) | instskip(NEXT) | instid1(VALU_DEP_2)
	v_add_f64_e32 v[12:13], v[64:65], v[68:69]
	v_add_f64_e32 v[14:15], v[80:81], v[66:67]
	;; [unrolled: 10-line block ×3, first 2 shown]
	v_mul_f64_e32 v[8:9], v[66:67], v[62:63]
	v_mul_f64_e32 v[10:11], v[64:65], v[62:63]
	s_delay_alu instid0(VALU_DEP_2) | instskip(NEXT) | instid1(VALU_DEP_2)
	v_fma_f64 v[8:9], v[64:65], v[60:61], -v[8:9]
	v_fmac_f64_e32 v[10:11], v[66:67], v[60:61]
	s_delay_alu instid0(VALU_DEP_2) | instskip(NEXT) | instid1(VALU_DEP_2)
	v_add_f64_e32 v[60:61], v[4:5], v[8:9]
	v_add_f64_e32 v[62:63], v[10:11], v[6:7]
	ds_load_b128 v[4:7], v70 offset:416
	ds_load_b128 v[8:11], v20 offset:13312
	s_wait_dscnt 0x0
	v_mul_f64_e32 v[64:65], v[6:7], v[10:11]
	v_mul_f64_e32 v[66:67], v[4:5], v[10:11]
	s_delay_alu instid0(VALU_DEP_2) | instskip(NEXT) | instid1(VALU_DEP_2)
	v_fma_f64 v[64:65], v[4:5], v[8:9], -v[64:65]
	v_fmac_f64_e32 v[66:67], v[6:7], v[8:9]
	s_delay_alu instid0(VALU_DEP_2) | instskip(NEXT) | instid1(VALU_DEP_2)
	v_add_f64_e32 v[64:65], v[52:53], v[64:65]
	v_add_f64_e32 v[66:67], v[66:67], v[54:55]
	ds_load_b128 v[52:55], v20 offset:13568
	s_wait_dscnt 0x0
	v_mul_f64_e32 v[68:69], v[6:7], v[54:55]
	s_delay_alu instid0(VALU_DEP_1) | instskip(SKIP_1) | instid1(VALU_DEP_2)
	v_fma_f64 v[68:69], v[4:5], v[52:53], -v[68:69]
	v_mul_f64_e32 v[4:5], v[4:5], v[54:55]
	v_add_f64_e32 v[68:69], v[12:13], v[68:69]
	s_delay_alu instid0(VALU_DEP_2) | instskip(NEXT) | instid1(VALU_DEP_1)
	v_fmac_f64_e32 v[4:5], v[6:7], v[52:53]
	v_add_f64_e32 v[80:81], v[4:5], v[14:15]
	ds_load_b128 v[4:7], v70 offset:8608
	s_wait_dscnt 0x0
	v_mul_f64_e32 v[12:13], v[6:7], v[10:11]
	v_mul_f64_e32 v[10:11], v[4:5], v[10:11]
	s_delay_alu instid0(VALU_DEP_2) | instskip(NEXT) | instid1(VALU_DEP_2)
	v_fma_f64 v[12:13], v[4:5], v[8:9], -v[12:13]
	v_fmac_f64_e32 v[10:11], v[6:7], v[8:9]
	v_mul_f64_e32 v[8:9], v[6:7], v[54:55]
	s_delay_alu instid0(VALU_DEP_3) | instskip(NEXT) | instid1(VALU_DEP_3)
	v_add_f64_e32 v[12:13], v[56:57], v[12:13]
	v_add_f64_e32 v[14:15], v[10:11], v[58:59]
	s_delay_alu instid0(VALU_DEP_3) | instskip(SKIP_1) | instid1(VALU_DEP_1)
	v_fma_f64 v[8:9], v[4:5], v[52:53], -v[8:9]
	v_mul_f64_e32 v[4:5], v[4:5], v[54:55]
	v_fmac_f64_e32 v[4:5], v[6:7], v[52:53]
	s_delay_alu instid0(VALU_DEP_3) | instskip(NEXT) | instid1(VALU_DEP_2)
	v_add_f64_e32 v[52:53], v[60:61], v[8:9]
	v_add_f64_e32 v[54:55], v[4:5], v[62:63]
	ds_load_b128 v[4:7], v70 offset:432
	ds_load_b128 v[56:59], v20 offset:13824
	;; [unrolled: 1-line block ×3, first 2 shown]
	s_wait_dscnt 0x1
	v_mul_f64_e32 v[8:9], v[6:7], v[58:59]
	v_mul_f64_e32 v[10:11], v[4:5], v[58:59]
	s_delay_alu instid0(VALU_DEP_2) | instskip(NEXT) | instid1(VALU_DEP_2)
	v_fma_f64 v[8:9], v[4:5], v[56:57], -v[8:9]
	v_fmac_f64_e32 v[10:11], v[6:7], v[56:57]
	s_delay_alu instid0(VALU_DEP_2) | instskip(NEXT) | instid1(VALU_DEP_2)
	v_add_f64_e32 v[8:9], v[64:65], v[8:9]
	v_add_f64_e32 v[10:11], v[10:11], v[66:67]
	s_wait_dscnt 0x0
	v_mul_f64_e32 v[64:65], v[6:7], v[62:63]
	v_mul_f64_e32 v[66:67], v[4:5], v[62:63]
	s_delay_alu instid0(VALU_DEP_2) | instskip(NEXT) | instid1(VALU_DEP_2)
	v_fma_f64 v[64:65], v[4:5], v[60:61], -v[64:65]
	v_fmac_f64_e32 v[66:67], v[6:7], v[60:61]
	s_delay_alu instid0(VALU_DEP_2) | instskip(NEXT) | instid1(VALU_DEP_2)
	v_add_f64_e32 v[4:5], v[68:69], v[64:65]
	v_add_f64_e32 v[6:7], v[66:67], v[80:81]
	ds_load_b128 v[64:67], v70 offset:8624
	s_wait_dscnt 0x0
	v_mul_f64_e32 v[68:69], v[66:67], v[58:59]
	v_mul_f64_e32 v[58:59], v[64:65], v[58:59]
	s_delay_alu instid0(VALU_DEP_2) | instskip(NEXT) | instid1(VALU_DEP_2)
	v_fma_f64 v[68:69], v[64:65], v[56:57], -v[68:69]
	v_fmac_f64_e32 v[58:59], v[66:67], v[56:57]
	v_mul_f64_e32 v[56:57], v[66:67], v[62:63]
	s_delay_alu instid0(VALU_DEP_3) | instskip(NEXT) | instid1(VALU_DEP_3)
	v_add_f64_e32 v[12:13], v[12:13], v[68:69]
	v_add_f64_e32 v[14:15], v[58:59], v[14:15]
	v_mul_f64_e32 v[58:59], v[64:65], v[62:63]
	s_delay_alu instid0(VALU_DEP_4) | instskip(NEXT) | instid1(VALU_DEP_2)
	v_fma_f64 v[56:57], v[64:65], v[60:61], -v[56:57]
	v_fmac_f64_e32 v[58:59], v[66:67], v[60:61]
	s_delay_alu instid0(VALU_DEP_2) | instskip(NEXT) | instid1(VALU_DEP_2)
	v_add_f64_e32 v[52:53], v[52:53], v[56:57]
	v_add_f64_e32 v[54:55], v[58:59], v[54:55]
	ds_load_b128 v[56:59], v70 offset:448
	ds_load_b128 v[60:63], v20 offset:14336
	s_wait_dscnt 0x0
	v_mul_f64_e32 v[64:65], v[58:59], v[62:63]
	v_mul_f64_e32 v[66:67], v[56:57], v[62:63]
	s_delay_alu instid0(VALU_DEP_2) | instskip(NEXT) | instid1(VALU_DEP_2)
	v_fma_f64 v[64:65], v[56:57], v[60:61], -v[64:65]
	v_fmac_f64_e32 v[66:67], v[58:59], v[60:61]
	s_delay_alu instid0(VALU_DEP_2) | instskip(NEXT) | instid1(VALU_DEP_2)
	v_add_f64_e32 v[68:69], v[8:9], v[64:65]
	v_add_f64_e32 v[80:81], v[66:67], v[10:11]
	ds_load_b128 v[64:67], v20 offset:14592
	s_wait_dscnt 0x0
	v_mul_f64_e32 v[8:9], v[58:59], v[66:67]
	v_mul_f64_e32 v[10:11], v[56:57], v[66:67]
	s_delay_alu instid0(VALU_DEP_2) | instskip(NEXT) | instid1(VALU_DEP_2)
	v_fma_f64 v[8:9], v[56:57], v[64:65], -v[8:9]
	v_fmac_f64_e32 v[10:11], v[58:59], v[64:65]
	s_delay_alu instid0(VALU_DEP_2) | instskip(NEXT) | instid1(VALU_DEP_2)
	v_add_f64_e32 v[82:83], v[4:5], v[8:9]
	v_add_f64_e32 v[84:85], v[10:11], v[6:7]
	;; [unrolled: 10-line block ×3, first 2 shown]
	v_mul_f64_e32 v[12:13], v[6:7], v[66:67]
	v_mul_f64_e32 v[14:15], v[4:5], v[66:67]
	s_delay_alu instid0(VALU_DEP_2) | instskip(NEXT) | instid1(VALU_DEP_2)
	v_fma_f64 v[12:13], v[4:5], v[64:65], -v[12:13]
	v_fmac_f64_e32 v[14:15], v[6:7], v[64:65]
	s_delay_alu instid0(VALU_DEP_2) | instskip(NEXT) | instid1(VALU_DEP_2)
	v_add_f64_e32 v[4:5], v[52:53], v[12:13]
	v_add_f64_e32 v[6:7], v[14:15], v[54:55]
	ds_load_b128 v[12:15], v70 offset:464
	ds_load_b128 v[56:59], v20 offset:14848
	;; [unrolled: 1-line block ×3, first 2 shown]
	s_wait_dscnt 0x1
	v_mul_f64_e32 v[52:53], v[14:15], v[58:59]
	s_wait_dscnt 0x0
	v_mul_f64_e32 v[64:65], v[14:15], v[62:63]
	v_mul_f64_e32 v[66:67], v[12:13], v[62:63]
	;; [unrolled: 1-line block ×3, first 2 shown]
	s_delay_alu instid0(VALU_DEP_4) | instskip(NEXT) | instid1(VALU_DEP_4)
	v_fma_f64 v[52:53], v[12:13], v[56:57], -v[52:53]
	v_fma_f64 v[64:65], v[12:13], v[60:61], -v[64:65]
	s_delay_alu instid0(VALU_DEP_4) | instskip(NEXT) | instid1(VALU_DEP_4)
	v_fmac_f64_e32 v[66:67], v[14:15], v[60:61]
	v_fmac_f64_e32 v[54:55], v[14:15], v[56:57]
	s_delay_alu instid0(VALU_DEP_4) | instskip(NEXT) | instid1(VALU_DEP_4)
	v_add_f64_e32 v[52:53], v[68:69], v[52:53]
	v_add_f64_e32 v[12:13], v[82:83], v[64:65]
	s_delay_alu instid0(VALU_DEP_4)
	v_add_f64_e32 v[14:15], v[66:67], v[84:85]
	ds_load_b128 v[64:67], v70 offset:8656
	v_add_f64_e32 v[54:55], v[54:55], v[80:81]
	s_wait_dscnt 0x0
	v_mul_f64_e32 v[68:69], v[66:67], v[58:59]
	v_mul_f64_e32 v[58:59], v[64:65], v[58:59]
	s_delay_alu instid0(VALU_DEP_2) | instskip(NEXT) | instid1(VALU_DEP_2)
	v_fma_f64 v[68:69], v[64:65], v[56:57], -v[68:69]
	v_fmac_f64_e32 v[58:59], v[66:67], v[56:57]
	s_delay_alu instid0(VALU_DEP_2) | instskip(NEXT) | instid1(VALU_DEP_2)
	v_add_f64_e32 v[68:69], v[8:9], v[68:69]
	v_add_f64_e32 v[80:81], v[58:59], v[10:11]
	v_mul_f64_e32 v[8:9], v[66:67], v[62:63]
	v_mul_f64_e32 v[10:11], v[64:65], v[62:63]
	s_delay_alu instid0(VALU_DEP_2) | instskip(NEXT) | instid1(VALU_DEP_2)
	v_fma_f64 v[8:9], v[64:65], v[60:61], -v[8:9]
	v_fmac_f64_e32 v[10:11], v[66:67], v[60:61]
	s_delay_alu instid0(VALU_DEP_2) | instskip(NEXT) | instid1(VALU_DEP_2)
	v_add_f64_e32 v[60:61], v[4:5], v[8:9]
	v_add_f64_e32 v[62:63], v[10:11], v[6:7]
	ds_load_b128 v[8:11], v70 offset:480
	ds_load_b128 v[56:59], v20 offset:15360
	s_wait_dscnt 0x0
	v_mul_f64_e32 v[4:5], v[10:11], v[58:59]
	v_mul_f64_e32 v[6:7], v[8:9], v[58:59]
	s_delay_alu instid0(VALU_DEP_2) | instskip(NEXT) | instid1(VALU_DEP_2)
	v_fma_f64 v[4:5], v[8:9], v[56:57], -v[4:5]
	v_fmac_f64_e32 v[6:7], v[10:11], v[56:57]
	s_delay_alu instid0(VALU_DEP_2) | instskip(NEXT) | instid1(VALU_DEP_2)
	v_add_f64_e32 v[4:5], v[52:53], v[4:5]
	v_add_f64_e32 v[6:7], v[6:7], v[54:55]
	ds_load_b128 v[52:55], v20 offset:15616
	s_wait_dscnt 0x0
	v_mul_f64_e32 v[64:65], v[10:11], v[54:55]
	s_delay_alu instid0(VALU_DEP_1) | instskip(SKIP_1) | instid1(VALU_DEP_2)
	v_fma_f64 v[64:65], v[8:9], v[52:53], -v[64:65]
	v_mul_f64_e32 v[8:9], v[8:9], v[54:55]
	v_add_f64_e32 v[12:13], v[12:13], v[64:65]
	s_delay_alu instid0(VALU_DEP_2) | instskip(NEXT) | instid1(VALU_DEP_1)
	v_fmac_f64_e32 v[8:9], v[10:11], v[52:53]
	v_add_f64_e32 v[14:15], v[8:9], v[14:15]
	ds_load_b128 v[8:11], v70 offset:8672
	s_wait_dscnt 0x0
	v_mul_f64_e32 v[64:65], v[10:11], v[58:59]
	v_mul_f64_e32 v[58:59], v[8:9], v[58:59]
	s_delay_alu instid0(VALU_DEP_2) | instskip(NEXT) | instid1(VALU_DEP_2)
	v_fma_f64 v[64:65], v[8:9], v[56:57], -v[64:65]
	v_fmac_f64_e32 v[58:59], v[10:11], v[56:57]
	v_mul_f64_e32 v[56:57], v[10:11], v[54:55]
	s_delay_alu instid0(VALU_DEP_3) | instskip(NEXT) | instid1(VALU_DEP_3)
	v_add_f64_e32 v[64:65], v[68:69], v[64:65]
	v_add_f64_e32 v[68:69], v[58:59], v[80:81]
	s_delay_alu instid0(VALU_DEP_3) | instskip(SKIP_1) | instid1(VALU_DEP_2)
	v_fma_f64 v[56:57], v[8:9], v[52:53], -v[56:57]
	v_mul_f64_e32 v[8:9], v[8:9], v[54:55]
	v_add_f64_e32 v[60:61], v[60:61], v[56:57]
	s_delay_alu instid0(VALU_DEP_2) | instskip(NEXT) | instid1(VALU_DEP_1)
	v_fmac_f64_e32 v[8:9], v[10:11], v[52:53]
	v_add_f64_e32 v[62:63], v[8:9], v[62:63]
	ds_load_b128 v[52:55], v70 offset:496
	ds_load_b128 v[8:11], v20 offset:15872
	s_wait_dscnt 0x0
	v_mul_f64_e32 v[56:57], v[54:55], v[10:11]
	v_mul_f64_e32 v[58:59], v[52:53], v[10:11]
	s_delay_alu instid0(VALU_DEP_2) | instskip(NEXT) | instid1(VALU_DEP_2)
	v_fma_f64 v[56:57], v[52:53], v[8:9], -v[56:57]
	v_fmac_f64_e32 v[58:59], v[54:55], v[8:9]
	s_delay_alu instid0(VALU_DEP_2) | instskip(NEXT) | instid1(VALU_DEP_2)
	v_add_f64_e32 v[56:57], v[4:5], v[56:57]
	v_add_f64_e32 v[58:59], v[58:59], v[6:7]
	ds_load_b128 v[4:7], v20 offset:16128
	s_wait_dscnt 0x0
	v_mul_f64_e32 v[66:67], v[54:55], v[6:7]
	v_mul_f64_e32 v[80:81], v[52:53], v[6:7]
	s_delay_alu instid0(VALU_DEP_2) | instskip(NEXT) | instid1(VALU_DEP_2)
	v_fma_f64 v[66:67], v[52:53], v[4:5], -v[66:67]
	v_fmac_f64_e32 v[80:81], v[54:55], v[4:5]
	s_delay_alu instid0(VALU_DEP_2) | instskip(NEXT) | instid1(VALU_DEP_2)
	v_add_f64_e32 v[52:53], v[12:13], v[66:67]
	v_add_f64_e32 v[54:55], v[80:81], v[14:15]
	ds_load_b128 v[12:15], v70 offset:8688
	s_wait_dscnt 0x0
	s_barrier_signal -1
	s_barrier_wait -1
	v_mul_f64_e32 v[66:67], v[14:15], v[10:11]
	v_mul_f64_e32 v[10:11], v[12:13], v[10:11]
	s_delay_alu instid0(VALU_DEP_2) | instskip(NEXT) | instid1(VALU_DEP_2)
	v_fma_f64 v[66:67], v[12:13], v[8:9], -v[66:67]
	v_fmac_f64_e32 v[10:11], v[14:15], v[8:9]
	v_mul_f64_e32 v[8:9], v[14:15], v[6:7]
	v_mul_f64_e32 v[6:7], v[12:13], v[6:7]
	s_delay_alu instid0(VALU_DEP_4) | instskip(NEXT) | instid1(VALU_DEP_4)
	v_add_f64_e32 v[66:67], v[64:65], v[66:67]
	v_add_f64_e32 v[64:65], v[10:11], v[68:69]
	s_delay_alu instid0(VALU_DEP_4) | instskip(NEXT) | instid1(VALU_DEP_4)
	v_fma_f64 v[8:9], v[12:13], v[4:5], -v[8:9]
	v_fmac_f64_e32 v[6:7], v[14:15], v[4:5]
	s_delay_alu instid0(VALU_DEP_2) | instskip(NEXT) | instid1(VALU_DEP_2)
	v_add_f64_e32 v[68:69], v[60:61], v[8:9]
	v_add_f64_e32 v[60:61], v[6:7], v[62:63]
	s_cbranch_scc1 .LBB115_58
.LBB115_10:                             ;   Parent Loop BB115_4 Depth=1
                                        ;     Parent Loop BB115_7 Depth=2
                                        ; =>    This Inner Loop Header: Depth=3
	v_add_nc_u64_e32 v[8:9], s[46:47], v[0:1]
	v_cmp_eq_u64_e64 s7, s[46:47], v[26:27]
	v_add_nc_u64_e32 v[6:7], s[36:37], v[40:41]
	s_delay_alu instid0(VALU_DEP_3) | instskip(SKIP_3) | instid1(SALU_CYCLE_1)
	v_cmp_le_i64_e64 s6, s[42:43], v[8:9]
	v_cmp_gt_i64_e64 s5, v[8:9], v[18:19]
	s_and_b32 s56, s52, s7
	s_or_b32 s7, s6, s5
	s_or_b32 s7, s7, s56
	s_delay_alu instid0(SALU_CYCLE_1) | instskip(NEXT) | instid1(SALU_CYCLE_1)
	s_nor_b32 s7, s0, s7
	s_and_saveexec_b32 s8, s7
	s_delay_alu instid0(SALU_CYCLE_1)
	s_xor_b32 s7, exec_lo, s8
	s_cbranch_execz .LBB115_12
; %bb.11:                               ;   in Loop: Header=BB115_10 Depth=3
	global_load_b128 v[10:13], v[6:7], off offset:-256
	s_wait_loadcnt 0x0
	ds_store_2addr_b64 v71, v[10:11], v[12:13] offset1:1
.LBB115_12:                             ;   in Loop: Header=BB115_10 Depth=3
	s_wait_xcnt 0x0
	s_or_saveexec_b32 s7, s7
	s_xor_b32 s55, s56, -1
	s_xor_b32 exec_lo, exec_lo, s7
	s_cbranch_execz .LBB115_18
; %bb.13:                               ;   in Loop: Header=BB115_10 Depth=3
	s_and_saveexec_b32 s8, s55
	s_delay_alu instid0(SALU_CYCLE_1)
	s_xor_b32 s8, exec_lo, s8
; %bb.14:                               ;   in Loop: Header=BB115_10 Depth=3
	v_dual_mov_b32 v10, v2 :: v_dual_mov_b32 v11, v2
	v_dual_mov_b32 v12, v2 :: v_dual_mov_b32 v13, v2
	ds_store_b128 v71, v[10:13]
; %bb.15:                               ;   in Loop: Header=BB115_10 Depth=3
	s_and_not1_saveexec_b32 s8, s8
; %bb.16:                               ;   in Loop: Header=BB115_10 Depth=3
	v_dual_mov_b32 v4, v2 :: v_dual_mov_b32 v5, v2
	ds_store_b128 v71, v[2:5]
; %bb.17:                               ;   in Loop: Header=BB115_10 Depth=3
	s_or_b32 exec_lo, exec_lo, s8
.LBB115_18:                             ;   in Loop: Header=BB115_10 Depth=3
	s_delay_alu instid0(SALU_CYCLE_1)
	s_or_b32 exec_lo, exec_lo, s7
	v_cmp_eq_u64_e64 s7, s[46:47], v[30:31]
	v_cmp_lt_i64_e64 s8, v[24:25], v[8:9]
	v_add_nc_u64_e32 v[10:11], s[36:37], v[42:43]
	s_and_b32 s7, s52, s7
	s_or_b32 s6, s6, s8
	s_delay_alu instid0(SALU_CYCLE_1) | instskip(NEXT) | instid1(SALU_CYCLE_1)
	s_or_b32 s6, s6, s7
	s_nor_b32 s6, s3, s6
	s_delay_alu instid0(SALU_CYCLE_1) | instskip(NEXT) | instid1(SALU_CYCLE_1)
	s_and_saveexec_b32 s8, s6
	s_xor_b32 s6, exec_lo, s8
	s_cbranch_execz .LBB115_20
; %bb.19:                               ;   in Loop: Header=BB115_10 Depth=3
	global_load_b128 v[12:15], v[10:11], off
	s_wait_loadcnt 0x0
	ds_store_2addr_b64 v73, v[12:13], v[14:15] offset1:1
.LBB115_20:                             ;   in Loop: Header=BB115_10 Depth=3
	s_wait_xcnt 0x0
	s_and_not1_saveexec_b32 s6, s6
	s_cbranch_execz .LBB115_26
; %bb.21:                               ;   in Loop: Header=BB115_10 Depth=3
	s_xor_b32 s7, s7, -1
	s_delay_alu instid0(SALU_CYCLE_1) | instskip(NEXT) | instid1(SALU_CYCLE_1)
	s_and_saveexec_b32 s8, s7
	s_xor_b32 s7, exec_lo, s8
; %bb.22:                               ;   in Loop: Header=BB115_10 Depth=3
	v_dual_mov_b32 v12, v2 :: v_dual_mov_b32 v13, v2
	v_dual_mov_b32 v14, v2 :: v_dual_mov_b32 v15, v2
	ds_store_b128 v71, v[12:15] offset:256
; %bb.23:                               ;   in Loop: Header=BB115_10 Depth=3
	s_and_not1_saveexec_b32 s7, s7
; %bb.24:                               ;   in Loop: Header=BB115_10 Depth=3
	v_dual_mov_b32 v4, v2 :: v_dual_mov_b32 v5, v2
	ds_store_b128 v71, v[2:5] offset:256
; %bb.25:                               ;   in Loop: Header=BB115_10 Depth=3
	s_or_b32 exec_lo, exec_lo, s7
.LBB115_26:                             ;   in Loop: Header=BB115_10 Depth=3
	s_delay_alu instid0(SALU_CYCLE_1) | instskip(SKIP_2) | instid1(VALU_DEP_2)
	s_or_b32 exec_lo, exec_lo, s6
	v_add_nc_u64_e32 v[4:5], 16, v[8:9]
	v_cmp_eq_u64_e64 s7, s[46:47], v[32:33]
	v_cmp_le_i64_e64 s6, s[42:43], v[4:5]
	v_cmp_gt_i64_e64 s8, v[4:5], v[18:19]
	s_and_b32 s57, s52, s7
	s_or_b32 s7, s6, s8
	s_delay_alu instid0(SALU_CYCLE_1) | instskip(NEXT) | instid1(SALU_CYCLE_1)
	s_or_b32 s7, s7, s57
	s_nor_b32 s7, s0, s7
	s_delay_alu instid0(SALU_CYCLE_1) | instskip(NEXT) | instid1(SALU_CYCLE_1)
	s_and_saveexec_b32 s8, s7
	s_xor_b32 s7, exec_lo, s8
	s_cbranch_execz .LBB115_28
; %bb.27:                               ;   in Loop: Header=BB115_10 Depth=3
	global_load_b128 v[4:7], v[6:7], off
	s_wait_loadcnt 0x0
	ds_store_2addr_b64 v74, v[4:5], v[6:7] offset1:1
.LBB115_28:                             ;   in Loop: Header=BB115_10 Depth=3
	s_wait_xcnt 0x0
	s_and_not1_saveexec_b32 s7, s7
	s_cbranch_execz .LBB115_34
; %bb.29:                               ;   in Loop: Header=BB115_10 Depth=3
	s_xor_b32 s8, s57, -1
	s_delay_alu instid0(SALU_CYCLE_1) | instskip(NEXT) | instid1(SALU_CYCLE_1)
	s_and_saveexec_b32 s57, s8
	s_xor_b32 s8, exec_lo, s57
; %bb.30:                               ;   in Loop: Header=BB115_10 Depth=3
	v_dual_mov_b32 v4, v2 :: v_dual_mov_b32 v5, v2
	v_dual_mov_b32 v6, v2 :: v_dual_mov_b32 v7, v2
	ds_store_b128 v71, v[4:7] offset:8192
; %bb.31:                               ;   in Loop: Header=BB115_10 Depth=3
	s_and_not1_saveexec_b32 s8, s8
; %bb.32:                               ;   in Loop: Header=BB115_10 Depth=3
	v_dual_mov_b32 v4, v2 :: v_dual_mov_b32 v5, v2
	ds_store_b128 v71, v[2:5] offset:8192
; %bb.33:                               ;   in Loop: Header=BB115_10 Depth=3
	s_or_b32 exec_lo, exec_lo, s8
.LBB115_34:                             ;   in Loop: Header=BB115_10 Depth=3
	s_delay_alu instid0(SALU_CYCLE_1) | instskip(SKIP_1) | instid1(SALU_CYCLE_1)
	s_or_b32 exec_lo, exec_lo, s7
	s_or_b32 s5, s6, s5
	s_or_b32 s5, s5, s56
	s_delay_alu instid0(SALU_CYCLE_1) | instskip(NEXT) | instid1(SALU_CYCLE_1)
	s_nor_b32 s5, s3, s5
	s_and_saveexec_b32 s6, s5
	s_delay_alu instid0(SALU_CYCLE_1)
	s_xor_b32 s5, exec_lo, s6
	s_cbranch_execz .LBB115_36
; %bb.35:                               ;   in Loop: Header=BB115_10 Depth=3
	global_load_b128 v[4:7], v[10:11], off offset:256
	s_wait_loadcnt 0x0
	ds_store_2addr_b64 v75, v[4:5], v[6:7] offset1:1
.LBB115_36:                             ;   in Loop: Header=BB115_10 Depth=3
	s_wait_xcnt 0x0
	s_and_not1_saveexec_b32 s5, s5
	s_cbranch_execz .LBB115_42
; %bb.37:                               ;   in Loop: Header=BB115_10 Depth=3
	s_and_saveexec_b32 s6, s55
	s_delay_alu instid0(SALU_CYCLE_1)
	s_xor_b32 s6, exec_lo, s6
; %bb.38:                               ;   in Loop: Header=BB115_10 Depth=3
	v_dual_mov_b32 v4, v2 :: v_dual_mov_b32 v5, v2
	v_dual_mov_b32 v6, v2 :: v_dual_mov_b32 v7, v2
	ds_store_b128 v71, v[4:7] offset:8448
; %bb.39:                               ;   in Loop: Header=BB115_10 Depth=3
	s_and_not1_saveexec_b32 s6, s6
; %bb.40:                               ;   in Loop: Header=BB115_10 Depth=3
	v_dual_mov_b32 v4, v2 :: v_dual_mov_b32 v5, v2
	ds_store_b128 v71, v[2:5] offset:8448
; %bb.41:                               ;   in Loop: Header=BB115_10 Depth=3
	s_or_b32 exec_lo, exec_lo, s6
.LBB115_42:                             ;   in Loop: Header=BB115_10 Depth=3
	s_delay_alu instid0(SALU_CYCLE_1) | instskip(SKIP_1) | instid1(VALU_DEP_1)
	s_or_b32 exec_lo, exec_lo, s5
	v_add_nc_u64_e32 v[4:5], s[46:47], v[16:17]
	v_cmp_gt_i64_e64 s5, s[42:43], v[4:5]
	s_and_b32 s6, vcc_lo, s5
	s_delay_alu instid0(SALU_CYCLE_1) | instskip(NEXT) | instid1(SALU_CYCLE_1)
	s_xor_b32 s6, s6, -1
	s_and_saveexec_b32 s7, s6
	s_delay_alu instid0(SALU_CYCLE_1)
	s_xor_b32 s6, exec_lo, s7
; %bb.43:                               ;   in Loop: Header=BB115_10 Depth=3
	v_dual_mov_b32 v6, v2 :: v_dual_mov_b32 v7, v2
	v_dual_mov_b32 v8, v2 :: v_dual_mov_b32 v9, v2
	ds_store_b128 v72, v[6:9]
; %bb.44:                               ;   in Loop: Header=BB115_10 Depth=3
	s_or_saveexec_b32 s6, s6
	v_add_nc_u64_e32 v[6:7], s[36:37], v[48:49]
	s_xor_b32 exec_lo, exec_lo, s6
	s_cbranch_execz .LBB115_46
; %bb.45:                               ;   in Loop: Header=BB115_10 Depth=3
	global_load_b128 v[8:11], v[6:7], off offset:-256
	s_wait_loadcnt 0x0
	ds_store_2addr_b64 v72, v[8:9], v[10:11] offset1:1
.LBB115_46:                             ;   in Loop: Header=BB115_10 Depth=3
	s_wait_xcnt 0x0
	s_or_b32 exec_lo, exec_lo, s6
	v_cmp_gt_i64_e64 s6, s[20:21], v[4:5]
	s_and_b32 s7, vcc_lo, s6
	s_delay_alu instid0(SALU_CYCLE_1) | instskip(NEXT) | instid1(SALU_CYCLE_1)
	s_xor_b32 s7, s7, -1
	s_and_saveexec_b32 s8, s7
	s_delay_alu instid0(SALU_CYCLE_1)
	s_xor_b32 s7, exec_lo, s8
; %bb.47:                               ;   in Loop: Header=BB115_10 Depth=3
	v_dual_mov_b32 v4, v2 :: v_dual_mov_b32 v5, v2
	v_dual_mov_b32 v6, v2 :: v_dual_mov_b32 v7, v2
	ds_store_b128 v72, v[4:7] offset:256
                                        ; implicit-def: $vgpr6_vgpr7
; %bb.48:                               ;   in Loop: Header=BB115_10 Depth=3
	s_and_not1_saveexec_b32 s7, s7
	s_cbranch_execz .LBB115_50
; %bb.49:                               ;   in Loop: Header=BB115_10 Depth=3
	global_load_b128 v[4:7], v[6:7], off
	s_wait_loadcnt 0x0
	ds_store_2addr_b64 v76, v[4:5], v[6:7] offset1:1
.LBB115_50:                             ;   in Loop: Header=BB115_10 Depth=3
	s_wait_xcnt 0x0
	s_or_b32 exec_lo, exec_lo, s7
	s_and_b32 s5, s4, s5
	s_delay_alu instid0(SALU_CYCLE_1) | instskip(NEXT) | instid1(SALU_CYCLE_1)
	s_xor_b32 s5, s5, -1
	s_and_saveexec_b32 s7, s5
	s_delay_alu instid0(SALU_CYCLE_1)
	s_xor_b32 s5, exec_lo, s7
; %bb.51:                               ;   in Loop: Header=BB115_10 Depth=3
	v_dual_mov_b32 v4, v2 :: v_dual_mov_b32 v5, v2
	v_dual_mov_b32 v6, v2 :: v_dual_mov_b32 v7, v2
	ds_store_b128 v72, v[4:7] offset:8192
; %bb.52:                               ;   in Loop: Header=BB115_10 Depth=3
	s_or_saveexec_b32 s5, s5
	v_add_nc_u64_e32 v[4:5], s[36:37], v[50:51]
	s_xor_b32 exec_lo, exec_lo, s5
	s_cbranch_execz .LBB115_54
; %bb.53:                               ;   in Loop: Header=BB115_10 Depth=3
	global_load_b128 v[6:9], v[4:5], off offset:-256
	s_wait_loadcnt 0x0
	ds_store_2addr_b64 v77, v[6:7], v[8:9] offset1:1
.LBB115_54:                             ;   in Loop: Header=BB115_10 Depth=3
	s_wait_xcnt 0x0
	s_or_b32 exec_lo, exec_lo, s5
	s_and_b32 s5, s4, s6
	s_delay_alu instid0(SALU_CYCLE_1) | instskip(NEXT) | instid1(SALU_CYCLE_1)
	s_xor_b32 s5, s5, -1
	s_and_saveexec_b32 s6, s5
	s_delay_alu instid0(SALU_CYCLE_1)
	s_xor_b32 s5, exec_lo, s6
; %bb.55:                               ;   in Loop: Header=BB115_10 Depth=3
	v_dual_mov_b32 v4, v2 :: v_dual_mov_b32 v5, v2
	v_dual_mov_b32 v6, v2 :: v_dual_mov_b32 v7, v2
	ds_store_b128 v72, v[4:7] offset:8448
                                        ; implicit-def: $vgpr4_vgpr5
; %bb.56:                               ;   in Loop: Header=BB115_10 Depth=3
	s_and_not1_saveexec_b32 s5, s5
	s_cbranch_execz .LBB115_9
; %bb.57:                               ;   in Loop: Header=BB115_10 Depth=3
	global_load_b128 v[4:7], v[4:5], off
	s_wait_loadcnt 0x0
	ds_store_2addr_b64 v78, v[4:5], v[6:7] offset1:1
	s_branch .LBB115_9
.LBB115_58:                             ;   in Loop: Header=BB115_7 Depth=2
	s_delay_alu instid0(VALU_DEP_1) | instskip(SKIP_2) | instid1(VALU_DEP_2)
	v_mul_u64_e32 v[4:5], s[24:25], v[46:47]
	v_cmp_gt_i32_e32 vcc_lo, s38, v46
	s_and_b32 s5, s1, vcc_lo
	v_lshl_add_u64 v[4:5], v[4:5], 4, s[22:23]
	s_and_saveexec_b32 s4, s5
	s_cbranch_execz .LBB115_60
; %bb.59:                               ;   in Loop: Header=BB115_7 Depth=2
	s_delay_alu instid0(VALU_DEP_1)
	v_lshl_add_u64 v[10:11], v[18:19], 4, v[4:5]
	v_mul_f64_e32 v[12:13], s[30:31], v[58:59]
	v_mul_f64_e32 v[14:15], s[28:29], v[58:59]
	global_load_b128 v[6:9], v[10:11], off
	v_fma_f64 v[12:13], s[28:29], v[56:57], -v[12:13]
	v_fmac_f64_e32 v[14:15], s[30:31], v[56:57]
	s_wait_loadcnt 0x0
	s_delay_alu instid0(VALU_DEP_2) | instskip(NEXT) | instid1(VALU_DEP_2)
	v_add_f64_e32 v[6:7], v[6:7], v[12:13]
	v_add_f64_e32 v[8:9], v[14:15], v[8:9]
	global_store_b128 v[10:11], v[6:9], off
.LBB115_60:                             ;   in Loop: Header=BB115_7 Depth=2
	s_wait_xcnt 0x0
	s_or_b32 exec_lo, exec_lo, s4
	s_and_b32 s5, s2, vcc_lo
	s_delay_alu instid0(SALU_CYCLE_1)
	s_and_saveexec_b32 s4, s5
	s_cbranch_execz .LBB115_62
; %bb.61:                               ;   in Loop: Header=BB115_7 Depth=2
	v_lshl_add_u64 v[8:9], v[22:23], 4, v[4:5]
	v_mul_f64_e32 v[10:11], s[30:31], v[54:55]
	v_mul_f64_e32 v[12:13], s[28:29], v[54:55]
	global_load_b128 v[4:7], v[8:9], off
	v_fma_f64 v[10:11], s[28:29], v[52:53], -v[10:11]
	v_fmac_f64_e32 v[12:13], s[30:31], v[52:53]
	s_wait_loadcnt 0x0
	s_delay_alu instid0(VALU_DEP_2) | instskip(NEXT) | instid1(VALU_DEP_2)
	v_add_f64_e32 v[4:5], v[4:5], v[10:11]
	v_add_f64_e32 v[6:7], v[12:13], v[6:7]
	global_store_b128 v[8:9], v[4:7], off
.LBB115_62:                             ;   in Loop: Header=BB115_7 Depth=2
	s_wait_xcnt 0x0
	s_or_b32 exec_lo, exec_lo, s4
	v_add_nc_u32_e32 v4, 16, v46
	s_delay_alu instid0(VALU_DEP_1) | instskip(SKIP_1) | instid1(VALU_DEP_2)
	v_ashrrev_i32_e32 v5, 31, v4
	v_cmp_gt_i32_e32 vcc_lo, s38, v4
	v_mul_u64_e32 v[6:7], s[24:25], v[4:5]
	s_and_b32 s5, s1, vcc_lo
	s_delay_alu instid0(VALU_DEP_1)
	v_lshl_add_u64 v[4:5], v[6:7], 4, s[22:23]
	s_and_saveexec_b32 s4, s5
	s_cbranch_execz .LBB115_64
; %bb.63:                               ;   in Loop: Header=BB115_7 Depth=2
	s_delay_alu instid0(VALU_DEP_1)
	v_lshl_add_u64 v[10:11], v[18:19], 4, v[4:5]
	v_mul_f64_e32 v[12:13], s[30:31], v[64:65]
	v_mul_f64_e32 v[14:15], s[28:29], v[64:65]
	global_load_b128 v[6:9], v[10:11], off
	v_fma_f64 v[12:13], s[28:29], v[66:67], -v[12:13]
	v_fmac_f64_e32 v[14:15], s[30:31], v[66:67]
	s_wait_loadcnt 0x0
	s_delay_alu instid0(VALU_DEP_2) | instskip(NEXT) | instid1(VALU_DEP_2)
	v_add_f64_e32 v[6:7], v[6:7], v[12:13]
	v_add_f64_e32 v[8:9], v[14:15], v[8:9]
	global_store_b128 v[10:11], v[6:9], off
.LBB115_64:                             ;   in Loop: Header=BB115_7 Depth=2
	s_wait_xcnt 0x0
	s_or_b32 exec_lo, exec_lo, s4
	s_and_b32 s5, s2, vcc_lo
	s_delay_alu instid0(SALU_CYCLE_1)
	s_and_saveexec_b32 s4, s5
	s_cbranch_execz .LBB115_6
; %bb.65:                               ;   in Loop: Header=BB115_7 Depth=2
	v_lshl_add_u64 v[8:9], v[22:23], 4, v[4:5]
	v_mul_f64_e32 v[10:11], s[30:31], v[60:61]
	v_mul_f64_e32 v[12:13], s[28:29], v[60:61]
	global_load_b128 v[4:7], v[8:9], off
	v_fma_f64 v[10:11], s[28:29], v[68:69], -v[10:11]
	v_fmac_f64_e32 v[12:13], s[30:31], v[68:69]
	s_wait_loadcnt 0x0
	s_delay_alu instid0(VALU_DEP_2) | instskip(NEXT) | instid1(VALU_DEP_2)
	v_add_f64_e32 v[4:5], v[4:5], v[10:11]
	v_add_f64_e32 v[6:7], v[12:13], v[6:7]
	global_store_b128 v[8:9], v[4:7], off
	s_branch .LBB115_6
.LBB115_66:
	s_sendmsg sendmsg(MSG_DEALLOC_VGPRS)
	s_endpgm
	.section	.rodata,"a",@progbits
	.p2align	6, 0x0
	.amdhsa_kernel _ZL30rocblas_trmm_outofplace_kernelI19rocblas_complex_numIdELi32ELi2ELb1ELb1ELb1ELb0ES1_KS1_S1_Ev17rocblas_diagonal_iiT6_lPT7_lllS6_lllPT8_llli
		.amdhsa_group_segment_fixed_size 32768
		.amdhsa_private_segment_fixed_size 0
		.amdhsa_kernarg_size 400
		.amdhsa_user_sgpr_count 2
		.amdhsa_user_sgpr_dispatch_ptr 0
		.amdhsa_user_sgpr_queue_ptr 0
		.amdhsa_user_sgpr_kernarg_segment_ptr 1
		.amdhsa_user_sgpr_dispatch_id 0
		.amdhsa_user_sgpr_kernarg_preload_length 0
		.amdhsa_user_sgpr_kernarg_preload_offset 0
		.amdhsa_user_sgpr_private_segment_size 0
		.amdhsa_wavefront_size32 1
		.amdhsa_uses_dynamic_stack 0
		.amdhsa_enable_private_segment 0
		.amdhsa_system_sgpr_workgroup_id_x 1
		.amdhsa_system_sgpr_workgroup_id_y 1
		.amdhsa_system_sgpr_workgroup_id_z 1
		.amdhsa_system_sgpr_workgroup_info 0
		.amdhsa_system_vgpr_workitem_id 1
		.amdhsa_next_free_vgpr 98
		.amdhsa_next_free_sgpr 58
		.amdhsa_named_barrier_count 0
		.amdhsa_reserve_vcc 1
		.amdhsa_float_round_mode_32 0
		.amdhsa_float_round_mode_16_64 0
		.amdhsa_float_denorm_mode_32 3
		.amdhsa_float_denorm_mode_16_64 3
		.amdhsa_fp16_overflow 0
		.amdhsa_memory_ordered 1
		.amdhsa_forward_progress 1
		.amdhsa_inst_pref_size 67
		.amdhsa_round_robin_scheduling 0
		.amdhsa_exception_fp_ieee_invalid_op 0
		.amdhsa_exception_fp_denorm_src 0
		.amdhsa_exception_fp_ieee_div_zero 0
		.amdhsa_exception_fp_ieee_overflow 0
		.amdhsa_exception_fp_ieee_underflow 0
		.amdhsa_exception_fp_ieee_inexact 0
		.amdhsa_exception_int_div_zero 0
	.end_amdhsa_kernel
	.section	.text._ZL30rocblas_trmm_outofplace_kernelI19rocblas_complex_numIdELi32ELi2ELb1ELb1ELb1ELb0ES1_KS1_S1_Ev17rocblas_diagonal_iiT6_lPT7_lllS6_lllPT8_llli,"axG",@progbits,_ZL30rocblas_trmm_outofplace_kernelI19rocblas_complex_numIdELi32ELi2ELb1ELb1ELb1ELb0ES1_KS1_S1_Ev17rocblas_diagonal_iiT6_lPT7_lllS6_lllPT8_llli,comdat
.Lfunc_end115:
	.size	_ZL30rocblas_trmm_outofplace_kernelI19rocblas_complex_numIdELi32ELi2ELb1ELb1ELb1ELb0ES1_KS1_S1_Ev17rocblas_diagonal_iiT6_lPT7_lllS6_lllPT8_llli, .Lfunc_end115-_ZL30rocblas_trmm_outofplace_kernelI19rocblas_complex_numIdELi32ELi2ELb1ELb1ELb1ELb0ES1_KS1_S1_Ev17rocblas_diagonal_iiT6_lPT7_lllS6_lllPT8_llli
                                        ; -- End function
	.set _ZL30rocblas_trmm_outofplace_kernelI19rocblas_complex_numIdELi32ELi2ELb1ELb1ELb1ELb0ES1_KS1_S1_Ev17rocblas_diagonal_iiT6_lPT7_lllS6_lllPT8_llli.num_vgpr, 98
	.set _ZL30rocblas_trmm_outofplace_kernelI19rocblas_complex_numIdELi32ELi2ELb1ELb1ELb1ELb0ES1_KS1_S1_Ev17rocblas_diagonal_iiT6_lPT7_lllS6_lllPT8_llli.num_agpr, 0
	.set _ZL30rocblas_trmm_outofplace_kernelI19rocblas_complex_numIdELi32ELi2ELb1ELb1ELb1ELb0ES1_KS1_S1_Ev17rocblas_diagonal_iiT6_lPT7_lllS6_lllPT8_llli.numbered_sgpr, 58
	.set _ZL30rocblas_trmm_outofplace_kernelI19rocblas_complex_numIdELi32ELi2ELb1ELb1ELb1ELb0ES1_KS1_S1_Ev17rocblas_diagonal_iiT6_lPT7_lllS6_lllPT8_llli.num_named_barrier, 0
	.set _ZL30rocblas_trmm_outofplace_kernelI19rocblas_complex_numIdELi32ELi2ELb1ELb1ELb1ELb0ES1_KS1_S1_Ev17rocblas_diagonal_iiT6_lPT7_lllS6_lllPT8_llli.private_seg_size, 0
	.set _ZL30rocblas_trmm_outofplace_kernelI19rocblas_complex_numIdELi32ELi2ELb1ELb1ELb1ELb0ES1_KS1_S1_Ev17rocblas_diagonal_iiT6_lPT7_lllS6_lllPT8_llli.uses_vcc, 1
	.set _ZL30rocblas_trmm_outofplace_kernelI19rocblas_complex_numIdELi32ELi2ELb1ELb1ELb1ELb0ES1_KS1_S1_Ev17rocblas_diagonal_iiT6_lPT7_lllS6_lllPT8_llli.uses_flat_scratch, 0
	.set _ZL30rocblas_trmm_outofplace_kernelI19rocblas_complex_numIdELi32ELi2ELb1ELb1ELb1ELb0ES1_KS1_S1_Ev17rocblas_diagonal_iiT6_lPT7_lllS6_lllPT8_llli.has_dyn_sized_stack, 0
	.set _ZL30rocblas_trmm_outofplace_kernelI19rocblas_complex_numIdELi32ELi2ELb1ELb1ELb1ELb0ES1_KS1_S1_Ev17rocblas_diagonal_iiT6_lPT7_lllS6_lllPT8_llli.has_recursion, 0
	.set _ZL30rocblas_trmm_outofplace_kernelI19rocblas_complex_numIdELi32ELi2ELb1ELb1ELb1ELb0ES1_KS1_S1_Ev17rocblas_diagonal_iiT6_lPT7_lllS6_lllPT8_llli.has_indirect_call, 0
	.section	.AMDGPU.csdata,"",@progbits
; Kernel info:
; codeLenInByte = 8500
; TotalNumSgprs: 60
; NumVgprs: 98
; ScratchSize: 0
; MemoryBound: 0
; FloatMode: 240
; IeeeMode: 1
; LDSByteSize: 32768 bytes/workgroup (compile time only)
; SGPRBlocks: 0
; VGPRBlocks: 6
; NumSGPRsForWavesPerEU: 60
; NumVGPRsForWavesPerEU: 98
; NamedBarCnt: 0
; Occupancy: 9
; WaveLimiterHint : 0
; COMPUTE_PGM_RSRC2:SCRATCH_EN: 0
; COMPUTE_PGM_RSRC2:USER_SGPR: 2
; COMPUTE_PGM_RSRC2:TRAP_HANDLER: 0
; COMPUTE_PGM_RSRC2:TGID_X_EN: 1
; COMPUTE_PGM_RSRC2:TGID_Y_EN: 1
; COMPUTE_PGM_RSRC2:TGID_Z_EN: 1
; COMPUTE_PGM_RSRC2:TIDIG_COMP_CNT: 1
	.section	.text._ZL30rocblas_trmm_outofplace_kernelI19rocblas_complex_numIdELi32ELi2ELb1ELb0ELb1ELb1EPKS1_S2_S1_Ev17rocblas_diagonal_iiT6_lPT7_lllS7_lllPT8_llli,"axG",@progbits,_ZL30rocblas_trmm_outofplace_kernelI19rocblas_complex_numIdELi32ELi2ELb1ELb0ELb1ELb1EPKS1_S2_S1_Ev17rocblas_diagonal_iiT6_lPT7_lllS7_lllPT8_llli,comdat
	.globl	_ZL30rocblas_trmm_outofplace_kernelI19rocblas_complex_numIdELi32ELi2ELb1ELb0ELb1ELb1EPKS1_S2_S1_Ev17rocblas_diagonal_iiT6_lPT7_lllS7_lllPT8_llli ; -- Begin function _ZL30rocblas_trmm_outofplace_kernelI19rocblas_complex_numIdELi32ELi2ELb1ELb0ELb1ELb1EPKS1_S2_S1_Ev17rocblas_diagonal_iiT6_lPT7_lllS7_lllPT8_llli
	.p2align	8
	.type	_ZL30rocblas_trmm_outofplace_kernelI19rocblas_complex_numIdELi32ELi2ELb1ELb0ELb1ELb1EPKS1_S2_S1_Ev17rocblas_diagonal_iiT6_lPT7_lllS7_lllPT8_llli,@function
_ZL30rocblas_trmm_outofplace_kernelI19rocblas_complex_numIdELi32ELi2ELb1ELb0ELb1ELb1EPKS1_S2_S1_Ev17rocblas_diagonal_iiT6_lPT7_lllS7_lllPT8_llli: ; @_ZL30rocblas_trmm_outofplace_kernelI19rocblas_complex_numIdELi32ELi2ELb1ELb0ELb1ELb1EPKS1_S2_S1_Ev17rocblas_diagonal_iiT6_lPT7_lllS7_lllPT8_llli
; %bb.0:
	s_load_b32 s11, s[0:1], 0x80
	s_bfe_u32 s2, ttmp6, 0x40014
	s_lshr_b32 s3, ttmp7, 16
	s_add_co_i32 s2, s2, 1
	s_bfe_u32 s5, ttmp6, 0x40008
	s_mul_i32 s4, s3, s2
	s_getreg_b32 s2, hwreg(HW_REG_IB_STS2, 6, 4)
	s_add_co_i32 s5, s5, s4
	s_cmp_eq_u32 s2, 0
	s_mov_b32 s35, 0
	s_cselect_b32 s34, s3, s5
	s_wait_kmcnt 0x0
	s_cmp_ge_u32 s34, s11
	s_cbranch_scc1 .LBB116_68
; %bb.1:
	s_clause 0x1
	s_load_b96 s[8:10], s[0:1], 0x0
	s_load_b256 s[36:43], s[0:1], 0x50
	s_bfe_u32 s4, ttmp6, 0x4000c
	s_and_b32 s3, ttmp6, 15
	s_add_co_i32 s4, s4, 1
	s_bfe_u32 s5, ttmp6, 0x40010
	s_mul_i32 s4, ttmp9, s4
	s_and_b32 s6, ttmp7, 0xffff
	s_add_co_i32 s5, s5, 1
	s_add_co_i32 s3, s3, s4
	s_bfe_u32 s7, ttmp6, 0x40004
	s_mul_i32 s5, s6, s5
	v_and_b32_e32 v1, 0x3ff, v0
	s_add_co_i32 s7, s7, s5
	v_bfe_u32 v70, v0, 10, 10
	s_load_b128 s[28:31], s[0:1], 0x70
	s_delay_alu instid0(VALU_DEP_2) | instskip(NEXT) | instid1(VALU_DEP_2)
	v_dual_mov_b32 v0, 0 :: v_dual_lshlrev_b32 v71, 4, v1
	v_lshlrev_b32_e32 v10, 9, v70
	s_wait_kmcnt 0x0
	s_add_co_i32 s12, s10, -1
	s_mov_b32 s44, s10
	s_ashr_i32 s13, s12, 31
	s_delay_alu instid0(SALU_CYCLE_1)
	s_lshr_b32 s4, s13, 27
	v_add_nc_u32_e32 v72, 0x4000, v10
	s_add_co_i32 s12, s12, s4
	s_lshl_b64 s[4:5], s[42:43], 4
	s_ashr_i32 s33, s12, 5
	s_cmp_eq_u32 s2, 0
	s_load_b512 s[12:27], s[0:1], 0x10
	s_cselect_b32 s48, s6, s7
	s_cselect_b32 s2, ttmp9, s3
	s_cmp_le_i32 s48, s33
	s_add_nc_u64 s[40:41], s[40:41], s[4:5]
	s_cselect_b32 s49, -1, 0
	s_lshl_b32 s6, s2, 5
	s_delay_alu instid0(SALU_CYCLE_1)
	v_dual_add_nc_u32 v73, v72, v71 :: v_dual_add_nc_u32 v20, s6, v1
	s_sub_co_i32 s50, s9, s6
	v_add_nc_u32_e32 v74, v71, v10
	s_cmp_gt_i32 s50, 0
	s_mov_b32 s42, s9
	v_ashrrev_i32_e32 v21, 31, v20
	s_cselect_b32 s51, -1, 0
	s_cmp_eq_u32 s8, 0x84
	v_add_nc_u32_e32 v24, 16, v20
	s_cselect_b32 s52, -1, 0
	v_lshlrev_b64_e32 v[2:3], 4, v[20:21]
	v_add_nc_u32_e32 v22, s6, v70
	s_wait_kmcnt 0x0
	v_mul_u64_e32 v[6:7], s[20:21], v[20:21]
	s_lshl_b64 s[2:3], s[18:19], 4
	v_ashrrev_i32_e32 v25, 31, v24
	s_lshl_b64 s[4:5], s[26:27], 4
	v_ashrrev_i32_e32 v23, 31, v22
	v_add_nc_u64_e32 v[4:5], 0x100, v[2:3]
	s_add_nc_u64 s[4:5], s[24:25], s[4:5]
	v_add_nc_u64_e32 v[26:27], 16, v[20:21]
	v_add_nc_u64_e32 v[2:3], s[4:5], v[2:3]
	v_sub_nc_u64_e32 v[28:29], v[20:21], v[22:23]
	s_ashr_i32 s43, s9, 31
	s_add_nc_u64 s[18:19], s[0:1], 0x88
	v_mad_nc_u64_u32 v[8:9], s20, v4, s[2:3]
	v_add_nc_u32_e32 v75, 0x100, v73
	v_add_nc_u32_e32 v76, 0x2000, v73
	v_add_nc_u64_e32 v[34:35], 0x100, v[2:3]
	v_add_nc_u64_e32 v[30:31], 16, v[28:29]
	v_add_nc_u64_e32 v[32:33], -16, v[28:29]
	v_add_nc_u32_e32 v77, 0x2100, v73
	v_lshl_add_u32 v78, s48, 5, v70
	v_cmp_le_i32_e64 s0, s9, v20
	v_cmp_gt_i32_e64 s1, s9, v20
	s_ashr_i32 s45, s10, 31
	v_mad_u32 v1, s21, v4, v9
	s_lshl_b64 s[24:25], s[36:37], 4
	s_lshl_b64 s[22:23], s[22:23], 4
	v_lshl_add_u64 v[6:7], v[6:7], 4, s[2:3]
	v_cmp_le_i64_e64 s3, s[42:43], v[26:27]
	s_delay_alu instid0(VALU_DEP_3)
	v_mad_u32 v9, s20, v5, v1
	v_lshlrev_b64_e32 v[4:5], 4, v[22:23]
	v_cmp_gt_i32_e64 s2, s9, v24
	v_mov_b32_e32 v1, 0x3ff00000
	s_add_nc_u64 s[20:21], s[42:43], -16
	v_add_nc_u64_e32 v[6:7], v[6:7], v[4:5]
	v_add_nc_u64_e32 v[4:5], v[8:9], v[4:5]
	s_delay_alu instid0(VALU_DEP_2) | instskip(NEXT) | instid1(VALU_DEP_2)
	v_add_nc_u64_e32 v[36:37], s[16:17], v[6:7]
	v_add_nc_u64_e32 v[38:39], s[16:17], v[4:5]
	s_lshl_b64 s[16:17], s[38:39], 4
	s_branch .LBB116_4
.LBB116_2:                              ;   in Loop: Header=BB116_4 Depth=1
	s_add_co_i32 s34, s34, 0x10000
	s_delay_alu instid0(SALU_CYCLE_1)
	s_cmp_ge_u32 s34, s11
	s_cselect_b32 s4, -1, 0
.LBB116_3:                              ;   in Loop: Header=BB116_4 Depth=1
	s_delay_alu instid0(SALU_CYCLE_1)
	s_and_b32 vcc_lo, exec_lo, s4
	s_cbranch_vccnz .LBB116_68
.LBB116_4:                              ; =>This Loop Header: Depth=1
                                        ;     Child Loop BB116_8 Depth 2
                                        ;       Child Loop BB116_11 Depth 3
	s_mul_u64 s[4:5], s[14:15], s[34:35]
	s_delay_alu instid0(SALU_CYCLE_1) | instskip(NEXT) | instid1(SALU_CYCLE_1)
	s_lshl_b64 s[4:5], s[4:5], 4
	s_add_nc_u64 s[4:5], s[12:13], s[4:5]
	global_load_b128 v[4:7], v0, s[4:5]
	s_wait_loadcnt 0x0
	v_cmp_eq_f64_e32 vcc_lo, 0, v[4:5]
	s_wait_xcnt 0x0
	v_cmp_eq_f64_e64 s4, 0, v[6:7]
	s_and_b32 s4, vcc_lo, s4
	s_delay_alu instid0(SALU_CYCLE_1)
	s_and_b32 vcc_lo, exec_lo, s4
	s_mov_b32 s4, -1
	s_cbranch_vccnz .LBB116_3
; %bb.5:                                ;   in Loop: Header=BB116_4 Depth=1
	s_and_not1_b32 vcc_lo, exec_lo, s49
	s_cbranch_vccnz .LBB116_2
; %bb.6:                                ;   in Loop: Header=BB116_4 Depth=1
	s_load_b32 s9, s[18:19], 0x4
	v_mad_nc_u64_u32 v[40:41], s16, s34, v[34:35]
	v_mad_nc_u64_u32 v[42:43], s22, s34, v[36:37]
	v_mad_nc_u64_u32 v[44:45], s22, s34, v[38:39]
	s_mul_i32 s6, s23, s34
	s_mul_u64 s[4:5], s[30:31], s[34:35]
	v_mov_b32_e32 v46, v78
	s_lshl_b64 s[4:5], s[4:5], 4
	s_mov_b32 s54, s48
	s_add_nc_u64 s[26:27], s[40:41], s[4:5]
	s_delay_alu instid0(VALU_DEP_4) | instskip(NEXT) | instid1(VALU_DEP_3)
	v_mad_u32 v41, s17, s34, v41
	v_dual_add_nc_u32 v43, s6, v43 :: v_dual_add_nc_u32 v45, s6, v45
	s_wait_kmcnt 0x0
	s_lshl_b32 s53, s9, 5
	s_branch .LBB116_8
.LBB116_7:                              ;   in Loop: Header=BB116_8 Depth=2
	s_wait_xcnt 0x0
	s_or_b32 exec_lo, exec_lo, s4
	v_add_nc_u32_e32 v46, s53, v46
	s_add_co_i32 s54, s9, s54
	s_delay_alu instid0(SALU_CYCLE_1)
	s_cmp_gt_i32 s54, s33
	s_cbranch_scc1 .LBB116_2
.LBB116_8:                              ;   Parent Loop BB116_4 Depth=1
                                        ; =>  This Loop Header: Depth=2
                                        ;       Child Loop BB116_11 Depth 3
	v_lshl_add_u32 v48, s54, 5, v70
	s_and_not1_b32 vcc_lo, exec_lo, s51
	s_delay_alu instid0(VALU_DEP_1)
	v_ashrrev_i32_e32 v49, 31, v48
	s_cbranch_vccnz .LBB116_59
; %bb.9:                                ;   in Loop: Header=BB116_8 Depth=2
	v_ashrrev_i32_e32 v47, 31, v46
	v_mad_nc_u64_u32 v[50:51], s24, v46, v[40:41]
	s_delay_alu instid0(VALU_DEP_3)
	v_sub_nc_u64_e32 v[8:9], s[44:45], v[48:49]
	v_mov_b64_e32 v[62:63], 0
	v_mov_b64_e32 v[68:69], 0
	v_lshl_add_u64 v[2:3], v[46:47], 4, 0x100
	v_mov_b64_e32 v[64:65], 0
	v_mov_b64_e32 v[66:67], 0
	;; [unrolled: 1-line block ×3, first 2 shown]
	v_cmp_lt_i64_e64 s4, 16, v[8:9]
	v_mad_nc_u64_u32 v[52:53], s36, v2, v[40:41]
	v_mov_b64_e32 v[54:55], 0
	v_mad_u32 v10, s25, v46, v51
	v_mov_b64_e32 v[60:61], 0
	v_mov_b64_e32 v[58:59], 0
	s_mov_b64 s[38:39], 0
	s_mov_b64 s[46:47], 0
	v_cmp_lt_i64_e32 vcc_lo, 0, v[8:9]
	v_mad_u32 v2, s37, v2, v53
	v_mad_u32 v51, s24, v47, v10
	s_delay_alu instid0(VALU_DEP_2)
	v_mad_u32 v53, s36, v3, v2
	s_branch .LBB116_11
.LBB116_10:                             ;   in Loop: Header=BB116_11 Depth=3
	s_wait_xcnt 0x0
	s_or_b32 exec_lo, exec_lo, s5
	s_wait_dscnt 0x0
	s_barrier_signal -1
	s_barrier_wait -1
	ds_load_b128 v[80:83], v72
	ds_load_b128 v[16:19], v72 offset:16
	ds_load_b128 v[12:15], v72 offset:32
	;; [unrolled: 1-line block ×3, first 2 shown]
	ds_load_b128 v[84:87], v71
	s_add_nc_u64 s[46:47], s[46:47], 32
	s_add_nc_u64 s[38:39], s[38:39], 0x200
	s_cmp_ge_i32 s46, s50
	s_wait_dscnt 0x0
	v_mul_f64_e32 v[2:3], v[82:83], v[86:87]
	v_mul_f64_e32 v[88:89], v[80:81], v[86:87]
	s_delay_alu instid0(VALU_DEP_2) | instskip(NEXT) | instid1(VALU_DEP_2)
	v_fma_f64 v[2:3], v[80:81], v[84:85], -v[2:3]
	v_fmac_f64_e32 v[88:89], v[82:83], v[84:85]
	s_delay_alu instid0(VALU_DEP_2) | instskip(NEXT) | instid1(VALU_DEP_2)
	v_add_f64_e32 v[2:3], v[58:59], v[2:3]
	v_add_f64_e32 v[88:89], v[88:89], v[60:61]
	ds_load_b128 v[58:61], v71 offset:256
	s_wait_dscnt 0x0
	v_mul_f64_e32 v[90:91], v[82:83], v[60:61]
	s_delay_alu instid0(VALU_DEP_1) | instskip(SKIP_1) | instid1(VALU_DEP_2)
	v_fma_f64 v[90:91], v[80:81], v[58:59], -v[90:91]
	v_mul_f64_e32 v[80:81], v[80:81], v[60:61]
	v_add_f64_e32 v[90:91], v[54:55], v[90:91]
	s_delay_alu instid0(VALU_DEP_2) | instskip(NEXT) | instid1(VALU_DEP_1)
	v_fmac_f64_e32 v[80:81], v[82:83], v[58:59]
	v_add_f64_e32 v[92:93], v[80:81], v[56:57]
	ds_load_b128 v[80:83], v72 offset:8192
	s_wait_dscnt 0x0
	v_mul_f64_e32 v[56:57], v[80:81], v[86:87]
	v_mul_f64_e32 v[54:55], v[82:83], v[86:87]
	s_delay_alu instid0(VALU_DEP_2) | instskip(NEXT) | instid1(VALU_DEP_2)
	v_fmac_f64_e32 v[56:57], v[82:83], v[84:85]
	v_fma_f64 v[54:55], v[80:81], v[84:85], -v[54:55]
	ds_load_b128 v[84:87], v72 offset:8208
	v_add_f64_e32 v[56:57], v[56:57], v[64:65]
	v_mul_f64_e32 v[64:65], v[82:83], v[60:61]
	v_mul_f64_e32 v[60:61], v[80:81], v[60:61]
	v_add_f64_e32 v[54:55], v[66:67], v[54:55]
	s_delay_alu instid0(VALU_DEP_3) | instskip(NEXT) | instid1(VALU_DEP_3)
	v_fma_f64 v[64:65], v[80:81], v[58:59], -v[64:65]
	v_fmac_f64_e32 v[60:61], v[82:83], v[58:59]
	ds_load_b128 v[80:83], v71 offset:768
	v_add_f64_e32 v[58:59], v[68:69], v[64:65]
	ds_load_b128 v[66:69], v71 offset:512
	v_add_f64_e32 v[64:65], v[60:61], v[62:63]
	s_wait_dscnt 0x0
	v_mul_f64_e32 v[60:61], v[18:19], v[68:69]
	v_mul_f64_e32 v[62:63], v[16:17], v[68:69]
	s_delay_alu instid0(VALU_DEP_2) | instskip(NEXT) | instid1(VALU_DEP_2)
	v_fma_f64 v[60:61], v[16:17], v[66:67], -v[60:61]
	v_fmac_f64_e32 v[62:63], v[18:19], v[66:67]
	s_delay_alu instid0(VALU_DEP_2) | instskip(SKIP_1) | instid1(VALU_DEP_3)
	v_add_f64_e32 v[60:61], v[2:3], v[60:61]
	v_mul_f64_e32 v[2:3], v[18:19], v[82:83]
	v_add_f64_e32 v[62:63], v[62:63], v[88:89]
	s_delay_alu instid0(VALU_DEP_2) | instskip(SKIP_1) | instid1(VALU_DEP_2)
	v_fma_f64 v[2:3], v[16:17], v[80:81], -v[2:3]
	v_mul_f64_e32 v[16:17], v[16:17], v[82:83]
	v_add_f64_e32 v[2:3], v[90:91], v[2:3]
	s_delay_alu instid0(VALU_DEP_2) | instskip(SKIP_2) | instid1(VALU_DEP_3)
	v_fmac_f64_e32 v[16:17], v[18:19], v[80:81]
	v_mul_f64_e32 v[18:19], v[86:87], v[68:69]
	v_mul_f64_e32 v[68:69], v[84:85], v[68:69]
	v_add_f64_e32 v[16:17], v[16:17], v[92:93]
	s_delay_alu instid0(VALU_DEP_3) | instskip(NEXT) | instid1(VALU_DEP_3)
	v_fma_f64 v[18:19], v[84:85], v[66:67], -v[18:19]
	v_fmac_f64_e32 v[68:69], v[86:87], v[66:67]
	v_mul_f64_e32 v[66:67], v[84:85], v[82:83]
	s_delay_alu instid0(VALU_DEP_3) | instskip(NEXT) | instid1(VALU_DEP_3)
	v_add_f64_e32 v[18:19], v[54:55], v[18:19]
	v_add_f64_e32 v[54:55], v[68:69], v[56:57]
	v_mul_f64_e32 v[56:57], v[86:87], v[82:83]
	s_delay_alu instid0(VALU_DEP_4) | instskip(NEXT) | instid1(VALU_DEP_2)
	v_fmac_f64_e32 v[66:67], v[86:87], v[80:81]
	v_fma_f64 v[56:57], v[84:85], v[80:81], -v[56:57]
	s_delay_alu instid0(VALU_DEP_1) | instskip(NEXT) | instid1(VALU_DEP_3)
	v_add_f64_e32 v[56:57], v[58:59], v[56:57]
	v_add_f64_e32 v[58:59], v[66:67], v[64:65]
	ds_load_b128 v[64:67], v71 offset:1024
	s_wait_dscnt 0x0
	v_mul_f64_e32 v[68:69], v[14:15], v[66:67]
	v_mul_f64_e32 v[80:81], v[12:13], v[66:67]
	s_delay_alu instid0(VALU_DEP_2) | instskip(NEXT) | instid1(VALU_DEP_2)
	v_fma_f64 v[68:69], v[12:13], v[64:65], -v[68:69]
	v_fmac_f64_e32 v[80:81], v[14:15], v[64:65]
	s_delay_alu instid0(VALU_DEP_2) | instskip(NEXT) | instid1(VALU_DEP_2)
	v_add_f64_e32 v[68:69], v[60:61], v[68:69]
	v_add_f64_e32 v[80:81], v[80:81], v[62:63]
	ds_load_b128 v[60:63], v71 offset:1280
	s_wait_dscnt 0x0
	v_mul_f64_e32 v[82:83], v[14:15], v[62:63]
	s_delay_alu instid0(VALU_DEP_1) | instskip(SKIP_1) | instid1(VALU_DEP_2)
	v_fma_f64 v[82:83], v[12:13], v[60:61], -v[82:83]
	v_mul_f64_e32 v[12:13], v[12:13], v[62:63]
	v_add_f64_e32 v[2:3], v[2:3], v[82:83]
	s_delay_alu instid0(VALU_DEP_2) | instskip(NEXT) | instid1(VALU_DEP_1)
	v_fmac_f64_e32 v[12:13], v[14:15], v[60:61]
	v_add_f64_e32 v[82:83], v[12:13], v[16:17]
	ds_load_b128 v[12:15], v72 offset:8224
	s_wait_dscnt 0x0
	v_mul_f64_e32 v[16:17], v[14:15], v[66:67]
	v_mul_f64_e32 v[66:67], v[12:13], v[66:67]
	s_delay_alu instid0(VALU_DEP_2) | instskip(NEXT) | instid1(VALU_DEP_2)
	v_fma_f64 v[16:17], v[12:13], v[64:65], -v[16:17]
	v_fmac_f64_e32 v[66:67], v[14:15], v[64:65]
	s_delay_alu instid0(VALU_DEP_2) | instskip(SKIP_1) | instid1(VALU_DEP_3)
	v_add_f64_e32 v[64:65], v[18:19], v[16:17]
	v_mul_f64_e32 v[16:17], v[14:15], v[62:63]
	v_add_f64_e32 v[66:67], v[66:67], v[54:55]
	s_delay_alu instid0(VALU_DEP_2) | instskip(SKIP_1) | instid1(VALU_DEP_2)
	v_fma_f64 v[16:17], v[12:13], v[60:61], -v[16:17]
	v_mul_f64_e32 v[12:13], v[12:13], v[62:63]
	v_add_f64_e32 v[62:63], v[56:57], v[16:17]
	s_delay_alu instid0(VALU_DEP_2)
	v_fmac_f64_e32 v[12:13], v[14:15], v[60:61]
	ds_load_b128 v[16:19], v71 offset:1536
	ds_load_b128 v[54:57], v71 offset:1792
	s_wait_dscnt 0x1
	v_mul_f64_e32 v[14:15], v[8:9], v[18:19]
	v_add_f64_e32 v[84:85], v[12:13], v[58:59]
	s_wait_dscnt 0x0
	v_mul_f64_e32 v[58:59], v[10:11], v[56:57]
	v_mul_f64_e32 v[12:13], v[10:11], v[18:19]
	s_delay_alu instid0(VALU_DEP_4) | instskip(NEXT) | instid1(VALU_DEP_3)
	v_fmac_f64_e32 v[14:15], v[10:11], v[16:17]
	v_fma_f64 v[58:59], v[8:9], v[54:55], -v[58:59]
	s_delay_alu instid0(VALU_DEP_3) | instskip(SKIP_1) | instid1(VALU_DEP_4)
	v_fma_f64 v[12:13], v[8:9], v[16:17], -v[12:13]
	v_mul_f64_e32 v[8:9], v[8:9], v[56:57]
	v_add_f64_e32 v[14:15], v[14:15], v[80:81]
	s_delay_alu instid0(VALU_DEP_4)
	v_add_f64_e32 v[2:3], v[2:3], v[58:59]
	ds_load_b128 v[58:61], v72 offset:8240
	v_fmac_f64_e32 v[8:9], v[10:11], v[54:55]
	v_add_f64_e32 v[12:13], v[68:69], v[12:13]
	s_wait_dscnt 0x0
	v_mul_f64_e32 v[10:11], v[60:61], v[18:19]
	v_mul_f64_e32 v[18:19], v[58:59], v[18:19]
	s_delay_alu instid0(VALU_DEP_4) | instskip(NEXT) | instid1(VALU_DEP_3)
	v_add_f64_e32 v[8:9], v[8:9], v[82:83]
	v_fma_f64 v[10:11], v[58:59], v[16:17], -v[10:11]
	s_delay_alu instid0(VALU_DEP_3) | instskip(NEXT) | instid1(VALU_DEP_2)
	v_fmac_f64_e32 v[18:19], v[60:61], v[16:17]
	v_add_f64_e32 v[10:11], v[64:65], v[10:11]
	s_delay_alu instid0(VALU_DEP_2) | instskip(SKIP_2) | instid1(VALU_DEP_2)
	v_add_f64_e32 v[16:17], v[18:19], v[66:67]
	v_mul_f64_e32 v[18:19], v[60:61], v[56:57]
	v_mul_f64_e32 v[56:57], v[58:59], v[56:57]
	v_fma_f64 v[18:19], v[58:59], v[54:55], -v[18:19]
	s_delay_alu instid0(VALU_DEP_2) | instskip(NEXT) | instid1(VALU_DEP_2)
	v_fmac_f64_e32 v[56:57], v[60:61], v[54:55]
	v_add_f64_e32 v[18:19], v[62:63], v[18:19]
	s_delay_alu instid0(VALU_DEP_2)
	v_add_f64_e32 v[54:55], v[56:57], v[84:85]
	ds_load_b128 v[56:59], v72 offset:64
	ds_load_b128 v[60:63], v71 offset:2048
	s_wait_dscnt 0x0
	v_mul_f64_e32 v[64:65], v[58:59], v[62:63]
	v_mul_f64_e32 v[66:67], v[56:57], v[62:63]
	s_delay_alu instid0(VALU_DEP_2) | instskip(NEXT) | instid1(VALU_DEP_2)
	v_fma_f64 v[64:65], v[56:57], v[60:61], -v[64:65]
	v_fmac_f64_e32 v[66:67], v[58:59], v[60:61]
	s_delay_alu instid0(VALU_DEP_2) | instskip(NEXT) | instid1(VALU_DEP_2)
	v_add_f64_e32 v[12:13], v[12:13], v[64:65]
	v_add_f64_e32 v[68:69], v[66:67], v[14:15]
	ds_load_b128 v[64:67], v71 offset:2304
	s_wait_dscnt 0x0
	v_mul_f64_e32 v[14:15], v[58:59], v[66:67]
	s_delay_alu instid0(VALU_DEP_1) | instskip(SKIP_1) | instid1(VALU_DEP_2)
	v_fma_f64 v[14:15], v[56:57], v[64:65], -v[14:15]
	v_mul_f64_e32 v[56:57], v[56:57], v[66:67]
	v_add_f64_e32 v[2:3], v[2:3], v[14:15]
	s_delay_alu instid0(VALU_DEP_2) | instskip(NEXT) | instid1(VALU_DEP_1)
	v_fmac_f64_e32 v[56:57], v[58:59], v[64:65]
	v_add_f64_e32 v[8:9], v[56:57], v[8:9]
	ds_load_b128 v[56:59], v72 offset:8256
	s_wait_dscnt 0x0
	v_mul_f64_e32 v[14:15], v[58:59], v[62:63]
	v_mul_f64_e32 v[62:63], v[56:57], v[62:63]
	s_delay_alu instid0(VALU_DEP_2) | instskip(NEXT) | instid1(VALU_DEP_2)
	v_fma_f64 v[14:15], v[56:57], v[60:61], -v[14:15]
	v_fmac_f64_e32 v[62:63], v[58:59], v[60:61]
	s_delay_alu instid0(VALU_DEP_2) | instskip(SKIP_1) | instid1(VALU_DEP_3)
	v_add_f64_e32 v[14:15], v[10:11], v[14:15]
	v_mul_f64_e32 v[10:11], v[58:59], v[66:67]
	v_add_f64_e32 v[16:17], v[62:63], v[16:17]
	s_delay_alu instid0(VALU_DEP_2) | instskip(SKIP_1) | instid1(VALU_DEP_2)
	v_fma_f64 v[10:11], v[56:57], v[64:65], -v[10:11]
	v_mul_f64_e32 v[56:57], v[56:57], v[66:67]
	v_add_f64_e32 v[18:19], v[18:19], v[10:11]
	s_delay_alu instid0(VALU_DEP_2) | instskip(NEXT) | instid1(VALU_DEP_1)
	v_fmac_f64_e32 v[56:57], v[58:59], v[64:65]
	v_add_f64_e32 v[54:55], v[56:57], v[54:55]
	ds_load_b128 v[56:59], v72 offset:80
	ds_load_b128 v[60:63], v71 offset:2560
	s_wait_dscnt 0x0
	v_mul_f64_e32 v[10:11], v[58:59], v[62:63]
	v_mul_f64_e32 v[64:65], v[56:57], v[62:63]
	s_delay_alu instid0(VALU_DEP_2) | instskip(NEXT) | instid1(VALU_DEP_2)
	v_fma_f64 v[10:11], v[56:57], v[60:61], -v[10:11]
	v_fmac_f64_e32 v[64:65], v[58:59], v[60:61]
	s_delay_alu instid0(VALU_DEP_2) | instskip(NEXT) | instid1(VALU_DEP_2)
	v_add_f64_e32 v[10:11], v[12:13], v[10:11]
	v_add_f64_e32 v[12:13], v[64:65], v[68:69]
	ds_load_b128 v[64:67], v71 offset:2816
	s_wait_dscnt 0x0
	v_mul_f64_e32 v[68:69], v[58:59], v[66:67]
	s_delay_alu instid0(VALU_DEP_1) | instskip(SKIP_1) | instid1(VALU_DEP_2)
	v_fma_f64 v[68:69], v[56:57], v[64:65], -v[68:69]
	v_mul_f64_e32 v[56:57], v[56:57], v[66:67]
	v_add_f64_e32 v[2:3], v[2:3], v[68:69]
	s_delay_alu instid0(VALU_DEP_2) | instskip(NEXT) | instid1(VALU_DEP_1)
	v_fmac_f64_e32 v[56:57], v[58:59], v[64:65]
	v_add_f64_e32 v[8:9], v[56:57], v[8:9]
	ds_load_b128 v[56:59], v72 offset:8272
	s_wait_dscnt 0x0
	v_mul_f64_e32 v[68:69], v[58:59], v[62:63]
	v_mul_f64_e32 v[62:63], v[56:57], v[62:63]
	s_delay_alu instid0(VALU_DEP_2) | instskip(NEXT) | instid1(VALU_DEP_2)
	v_fma_f64 v[68:69], v[56:57], v[60:61], -v[68:69]
	v_fmac_f64_e32 v[62:63], v[58:59], v[60:61]
	v_mul_f64_e32 v[60:61], v[58:59], v[66:67]
	s_delay_alu instid0(VALU_DEP_3) | instskip(NEXT) | instid1(VALU_DEP_3)
	v_add_f64_e32 v[14:15], v[14:15], v[68:69]
	v_add_f64_e32 v[16:17], v[62:63], v[16:17]
	s_delay_alu instid0(VALU_DEP_3) | instskip(SKIP_1) | instid1(VALU_DEP_2)
	v_fma_f64 v[60:61], v[56:57], v[64:65], -v[60:61]
	v_mul_f64_e32 v[56:57], v[56:57], v[66:67]
	v_add_f64_e32 v[18:19], v[18:19], v[60:61]
	s_delay_alu instid0(VALU_DEP_2) | instskip(NEXT) | instid1(VALU_DEP_1)
	v_fmac_f64_e32 v[56:57], v[58:59], v[64:65]
	v_add_f64_e32 v[54:55], v[56:57], v[54:55]
	ds_load_b128 v[56:59], v72 offset:96
	ds_load_b128 v[60:63], v71 offset:3072
	s_wait_dscnt 0x0
	v_mul_f64_e32 v[64:65], v[58:59], v[62:63]
	v_mul_f64_e32 v[66:67], v[56:57], v[62:63]
	s_delay_alu instid0(VALU_DEP_2) | instskip(NEXT) | instid1(VALU_DEP_2)
	v_fma_f64 v[64:65], v[56:57], v[60:61], -v[64:65]
	v_fmac_f64_e32 v[66:67], v[58:59], v[60:61]
	s_delay_alu instid0(VALU_DEP_2) | instskip(NEXT) | instid1(VALU_DEP_2)
	v_add_f64_e32 v[64:65], v[10:11], v[64:65]
	v_add_f64_e32 v[66:67], v[66:67], v[12:13]
	ds_load_b128 v[10:13], v71 offset:3328
	s_wait_dscnt 0x0
	v_mul_f64_e32 v[68:69], v[58:59], v[12:13]
	s_delay_alu instid0(VALU_DEP_1) | instskip(SKIP_1) | instid1(VALU_DEP_2)
	v_fma_f64 v[68:69], v[56:57], v[10:11], -v[68:69]
	v_mul_f64_e32 v[56:57], v[56:57], v[12:13]
	v_add_f64_e32 v[2:3], v[2:3], v[68:69]
	s_delay_alu instid0(VALU_DEP_2) | instskip(NEXT) | instid1(VALU_DEP_1)
	v_fmac_f64_e32 v[56:57], v[58:59], v[10:11]
	v_add_f64_e32 v[8:9], v[56:57], v[8:9]
	ds_load_b128 v[56:59], v72 offset:8288
	s_wait_dscnt 0x0
	v_mul_f64_e32 v[68:69], v[58:59], v[62:63]
	v_mul_f64_e32 v[62:63], v[56:57], v[62:63]
	s_delay_alu instid0(VALU_DEP_2) | instskip(NEXT) | instid1(VALU_DEP_2)
	v_fma_f64 v[68:69], v[56:57], v[60:61], -v[68:69]
	v_fmac_f64_e32 v[62:63], v[58:59], v[60:61]
	v_mul_f64_e32 v[60:61], v[58:59], v[12:13]
	v_mul_f64_e32 v[12:13], v[56:57], v[12:13]
	s_delay_alu instid0(VALU_DEP_4) | instskip(NEXT) | instid1(VALU_DEP_4)
	v_add_f64_e32 v[14:15], v[14:15], v[68:69]
	v_add_f64_e32 v[16:17], v[62:63], v[16:17]
	s_delay_alu instid0(VALU_DEP_4) | instskip(NEXT) | instid1(VALU_DEP_4)
	v_fma_f64 v[60:61], v[56:57], v[10:11], -v[60:61]
	v_fmac_f64_e32 v[12:13], v[58:59], v[10:11]
	s_delay_alu instid0(VALU_DEP_2)
	v_add_f64_e32 v[18:19], v[18:19], v[60:61]
	ds_load_b128 v[56:59], v72 offset:112
	ds_load_b128 v[60:63], v71 offset:3584
	v_add_f64_e32 v[54:55], v[12:13], v[54:55]
	s_wait_dscnt 0x0
	v_mul_f64_e32 v[10:11], v[58:59], v[62:63]
	v_mul_f64_e32 v[12:13], v[56:57], v[62:63]
	s_delay_alu instid0(VALU_DEP_2) | instskip(NEXT) | instid1(VALU_DEP_2)
	v_fma_f64 v[10:11], v[56:57], v[60:61], -v[10:11]
	v_fmac_f64_e32 v[12:13], v[58:59], v[60:61]
	s_delay_alu instid0(VALU_DEP_2) | instskip(NEXT) | instid1(VALU_DEP_2)
	v_add_f64_e32 v[10:11], v[64:65], v[10:11]
	v_add_f64_e32 v[12:13], v[12:13], v[66:67]
	ds_load_b128 v[64:67], v71 offset:3840
	s_wait_dscnt 0x0
	v_mul_f64_e32 v[68:69], v[58:59], v[66:67]
	s_delay_alu instid0(VALU_DEP_1) | instskip(SKIP_1) | instid1(VALU_DEP_2)
	v_fma_f64 v[68:69], v[56:57], v[64:65], -v[68:69]
	v_mul_f64_e32 v[56:57], v[56:57], v[66:67]
	v_add_f64_e32 v[2:3], v[2:3], v[68:69]
	s_delay_alu instid0(VALU_DEP_2) | instskip(NEXT) | instid1(VALU_DEP_1)
	v_fmac_f64_e32 v[56:57], v[58:59], v[64:65]
	v_add_f64_e32 v[8:9], v[56:57], v[8:9]
	ds_load_b128 v[56:59], v72 offset:8304
	s_wait_dscnt 0x0
	v_mul_f64_e32 v[68:69], v[58:59], v[62:63]
	v_mul_f64_e32 v[62:63], v[56:57], v[62:63]
	s_delay_alu instid0(VALU_DEP_2) | instskip(NEXT) | instid1(VALU_DEP_2)
	v_fma_f64 v[68:69], v[56:57], v[60:61], -v[68:69]
	v_fmac_f64_e32 v[62:63], v[58:59], v[60:61]
	v_mul_f64_e32 v[60:61], v[58:59], v[66:67]
	s_delay_alu instid0(VALU_DEP_3) | instskip(NEXT) | instid1(VALU_DEP_3)
	v_add_f64_e32 v[14:15], v[14:15], v[68:69]
	v_add_f64_e32 v[16:17], v[62:63], v[16:17]
	s_delay_alu instid0(VALU_DEP_3) | instskip(SKIP_1) | instid1(VALU_DEP_2)
	v_fma_f64 v[60:61], v[56:57], v[64:65], -v[60:61]
	v_mul_f64_e32 v[56:57], v[56:57], v[66:67]
	v_add_f64_e32 v[18:19], v[18:19], v[60:61]
	s_delay_alu instid0(VALU_DEP_2) | instskip(NEXT) | instid1(VALU_DEP_1)
	v_fmac_f64_e32 v[56:57], v[58:59], v[64:65]
	v_add_f64_e32 v[54:55], v[56:57], v[54:55]
	ds_load_b128 v[56:59], v72 offset:128
	ds_load_b128 v[60:63], v71 offset:4096
	s_wait_dscnt 0x0
	v_mul_f64_e32 v[64:65], v[58:59], v[62:63]
	v_mul_f64_e32 v[66:67], v[56:57], v[62:63]
	s_delay_alu instid0(VALU_DEP_2) | instskip(NEXT) | instid1(VALU_DEP_2)
	v_fma_f64 v[64:65], v[56:57], v[60:61], -v[64:65]
	v_fmac_f64_e32 v[66:67], v[58:59], v[60:61]
	s_delay_alu instid0(VALU_DEP_2) | instskip(NEXT) | instid1(VALU_DEP_2)
	v_add_f64_e32 v[64:65], v[10:11], v[64:65]
	v_add_f64_e32 v[66:67], v[66:67], v[12:13]
	ds_load_b128 v[10:13], v71 offset:4352
	s_wait_dscnt 0x0
	v_mul_f64_e32 v[68:69], v[58:59], v[12:13]
	s_delay_alu instid0(VALU_DEP_1) | instskip(SKIP_1) | instid1(VALU_DEP_2)
	v_fma_f64 v[68:69], v[56:57], v[10:11], -v[68:69]
	v_mul_f64_e32 v[56:57], v[56:57], v[12:13]
	v_add_f64_e32 v[2:3], v[2:3], v[68:69]
	s_delay_alu instid0(VALU_DEP_2) | instskip(NEXT) | instid1(VALU_DEP_1)
	v_fmac_f64_e32 v[56:57], v[58:59], v[10:11]
	v_add_f64_e32 v[8:9], v[56:57], v[8:9]
	ds_load_b128 v[56:59], v72 offset:8320
	s_wait_dscnt 0x0
	v_mul_f64_e32 v[68:69], v[58:59], v[62:63]
	v_mul_f64_e32 v[62:63], v[56:57], v[62:63]
	s_delay_alu instid0(VALU_DEP_2) | instskip(NEXT) | instid1(VALU_DEP_2)
	v_fma_f64 v[68:69], v[56:57], v[60:61], -v[68:69]
	v_fmac_f64_e32 v[62:63], v[58:59], v[60:61]
	v_mul_f64_e32 v[60:61], v[58:59], v[12:13]
	v_mul_f64_e32 v[12:13], v[56:57], v[12:13]
	s_delay_alu instid0(VALU_DEP_4) | instskip(NEXT) | instid1(VALU_DEP_4)
	v_add_f64_e32 v[14:15], v[14:15], v[68:69]
	v_add_f64_e32 v[16:17], v[62:63], v[16:17]
	s_delay_alu instid0(VALU_DEP_4) | instskip(NEXT) | instid1(VALU_DEP_4)
	v_fma_f64 v[60:61], v[56:57], v[10:11], -v[60:61]
	v_fmac_f64_e32 v[12:13], v[58:59], v[10:11]
	s_delay_alu instid0(VALU_DEP_2)
	v_add_f64_e32 v[18:19], v[18:19], v[60:61]
	ds_load_b128 v[56:59], v72 offset:144
	ds_load_b128 v[60:63], v71 offset:4608
	v_add_f64_e32 v[54:55], v[12:13], v[54:55]
	s_wait_dscnt 0x0
	v_mul_f64_e32 v[10:11], v[58:59], v[62:63]
	v_mul_f64_e32 v[12:13], v[56:57], v[62:63]
	s_delay_alu instid0(VALU_DEP_2) | instskip(NEXT) | instid1(VALU_DEP_2)
	v_fma_f64 v[10:11], v[56:57], v[60:61], -v[10:11]
	v_fmac_f64_e32 v[12:13], v[58:59], v[60:61]
	s_delay_alu instid0(VALU_DEP_2) | instskip(NEXT) | instid1(VALU_DEP_2)
	v_add_f64_e32 v[10:11], v[64:65], v[10:11]
	v_add_f64_e32 v[12:13], v[12:13], v[66:67]
	ds_load_b128 v[64:67], v71 offset:4864
	s_wait_dscnt 0x0
	v_mul_f64_e32 v[68:69], v[58:59], v[66:67]
	s_delay_alu instid0(VALU_DEP_1) | instskip(SKIP_1) | instid1(VALU_DEP_2)
	v_fma_f64 v[68:69], v[56:57], v[64:65], -v[68:69]
	v_mul_f64_e32 v[56:57], v[56:57], v[66:67]
	v_add_f64_e32 v[2:3], v[2:3], v[68:69]
	s_delay_alu instid0(VALU_DEP_2) | instskip(NEXT) | instid1(VALU_DEP_1)
	v_fmac_f64_e32 v[56:57], v[58:59], v[64:65]
	v_add_f64_e32 v[8:9], v[56:57], v[8:9]
	ds_load_b128 v[56:59], v72 offset:8336
	s_wait_dscnt 0x0
	v_mul_f64_e32 v[68:69], v[58:59], v[62:63]
	v_mul_f64_e32 v[62:63], v[56:57], v[62:63]
	s_delay_alu instid0(VALU_DEP_2) | instskip(NEXT) | instid1(VALU_DEP_2)
	v_fma_f64 v[68:69], v[56:57], v[60:61], -v[68:69]
	v_fmac_f64_e32 v[62:63], v[58:59], v[60:61]
	v_mul_f64_e32 v[60:61], v[58:59], v[66:67]
	s_delay_alu instid0(VALU_DEP_3) | instskip(NEXT) | instid1(VALU_DEP_3)
	v_add_f64_e32 v[14:15], v[14:15], v[68:69]
	v_add_f64_e32 v[16:17], v[62:63], v[16:17]
	s_delay_alu instid0(VALU_DEP_3) | instskip(SKIP_1) | instid1(VALU_DEP_2)
	v_fma_f64 v[60:61], v[56:57], v[64:65], -v[60:61]
	v_mul_f64_e32 v[56:57], v[56:57], v[66:67]
	v_add_f64_e32 v[18:19], v[18:19], v[60:61]
	s_delay_alu instid0(VALU_DEP_2) | instskip(NEXT) | instid1(VALU_DEP_1)
	v_fmac_f64_e32 v[56:57], v[58:59], v[64:65]
	v_add_f64_e32 v[54:55], v[56:57], v[54:55]
	ds_load_b128 v[56:59], v72 offset:160
	ds_load_b128 v[60:63], v71 offset:5120
	s_wait_dscnt 0x0
	v_mul_f64_e32 v[64:65], v[58:59], v[62:63]
	v_mul_f64_e32 v[66:67], v[56:57], v[62:63]
	s_delay_alu instid0(VALU_DEP_2) | instskip(NEXT) | instid1(VALU_DEP_2)
	v_fma_f64 v[64:65], v[56:57], v[60:61], -v[64:65]
	v_fmac_f64_e32 v[66:67], v[58:59], v[60:61]
	s_delay_alu instid0(VALU_DEP_2) | instskip(NEXT) | instid1(VALU_DEP_2)
	v_add_f64_e32 v[64:65], v[10:11], v[64:65]
	v_add_f64_e32 v[66:67], v[66:67], v[12:13]
	ds_load_b128 v[10:13], v71 offset:5376
	s_wait_dscnt 0x0
	v_mul_f64_e32 v[68:69], v[58:59], v[12:13]
	s_delay_alu instid0(VALU_DEP_1) | instskip(SKIP_1) | instid1(VALU_DEP_2)
	v_fma_f64 v[68:69], v[56:57], v[10:11], -v[68:69]
	v_mul_f64_e32 v[56:57], v[56:57], v[12:13]
	v_add_f64_e32 v[2:3], v[2:3], v[68:69]
	s_delay_alu instid0(VALU_DEP_2) | instskip(NEXT) | instid1(VALU_DEP_1)
	v_fmac_f64_e32 v[56:57], v[58:59], v[10:11]
	v_add_f64_e32 v[8:9], v[56:57], v[8:9]
	ds_load_b128 v[56:59], v72 offset:8352
	s_wait_dscnt 0x0
	v_mul_f64_e32 v[68:69], v[58:59], v[62:63]
	v_mul_f64_e32 v[62:63], v[56:57], v[62:63]
	s_delay_alu instid0(VALU_DEP_2) | instskip(NEXT) | instid1(VALU_DEP_2)
	v_fma_f64 v[68:69], v[56:57], v[60:61], -v[68:69]
	v_fmac_f64_e32 v[62:63], v[58:59], v[60:61]
	v_mul_f64_e32 v[60:61], v[58:59], v[12:13]
	v_mul_f64_e32 v[12:13], v[56:57], v[12:13]
	s_delay_alu instid0(VALU_DEP_4) | instskip(NEXT) | instid1(VALU_DEP_4)
	v_add_f64_e32 v[14:15], v[14:15], v[68:69]
	v_add_f64_e32 v[16:17], v[62:63], v[16:17]
	s_delay_alu instid0(VALU_DEP_4) | instskip(NEXT) | instid1(VALU_DEP_4)
	v_fma_f64 v[60:61], v[56:57], v[10:11], -v[60:61]
	v_fmac_f64_e32 v[12:13], v[58:59], v[10:11]
	s_delay_alu instid0(VALU_DEP_2)
	v_add_f64_e32 v[18:19], v[18:19], v[60:61]
	ds_load_b128 v[56:59], v72 offset:176
	ds_load_b128 v[60:63], v71 offset:5632
	v_add_f64_e32 v[54:55], v[12:13], v[54:55]
	s_wait_dscnt 0x0
	v_mul_f64_e32 v[10:11], v[58:59], v[62:63]
	v_mul_f64_e32 v[12:13], v[56:57], v[62:63]
	s_delay_alu instid0(VALU_DEP_2) | instskip(NEXT) | instid1(VALU_DEP_2)
	v_fma_f64 v[10:11], v[56:57], v[60:61], -v[10:11]
	v_fmac_f64_e32 v[12:13], v[58:59], v[60:61]
	s_delay_alu instid0(VALU_DEP_2) | instskip(NEXT) | instid1(VALU_DEP_2)
	v_add_f64_e32 v[10:11], v[64:65], v[10:11]
	v_add_f64_e32 v[12:13], v[12:13], v[66:67]
	ds_load_b128 v[64:67], v71 offset:5888
	s_wait_dscnt 0x0
	v_mul_f64_e32 v[68:69], v[58:59], v[66:67]
	s_delay_alu instid0(VALU_DEP_1) | instskip(SKIP_1) | instid1(VALU_DEP_2)
	v_fma_f64 v[68:69], v[56:57], v[64:65], -v[68:69]
	v_mul_f64_e32 v[56:57], v[56:57], v[66:67]
	v_add_f64_e32 v[2:3], v[2:3], v[68:69]
	s_delay_alu instid0(VALU_DEP_2) | instskip(NEXT) | instid1(VALU_DEP_1)
	v_fmac_f64_e32 v[56:57], v[58:59], v[64:65]
	v_add_f64_e32 v[8:9], v[56:57], v[8:9]
	ds_load_b128 v[56:59], v72 offset:8368
	s_wait_dscnt 0x0
	v_mul_f64_e32 v[68:69], v[58:59], v[62:63]
	v_mul_f64_e32 v[62:63], v[56:57], v[62:63]
	s_delay_alu instid0(VALU_DEP_2) | instskip(NEXT) | instid1(VALU_DEP_2)
	v_fma_f64 v[68:69], v[56:57], v[60:61], -v[68:69]
	v_fmac_f64_e32 v[62:63], v[58:59], v[60:61]
	v_mul_f64_e32 v[60:61], v[58:59], v[66:67]
	s_delay_alu instid0(VALU_DEP_3) | instskip(NEXT) | instid1(VALU_DEP_3)
	v_add_f64_e32 v[14:15], v[14:15], v[68:69]
	v_add_f64_e32 v[16:17], v[62:63], v[16:17]
	s_delay_alu instid0(VALU_DEP_3) | instskip(SKIP_1) | instid1(VALU_DEP_2)
	v_fma_f64 v[60:61], v[56:57], v[64:65], -v[60:61]
	v_mul_f64_e32 v[56:57], v[56:57], v[66:67]
	v_add_f64_e32 v[18:19], v[18:19], v[60:61]
	s_delay_alu instid0(VALU_DEP_2) | instskip(NEXT) | instid1(VALU_DEP_1)
	v_fmac_f64_e32 v[56:57], v[58:59], v[64:65]
	v_add_f64_e32 v[54:55], v[56:57], v[54:55]
	ds_load_b128 v[56:59], v72 offset:192
	ds_load_b128 v[60:63], v71 offset:6144
	s_wait_dscnt 0x0
	v_mul_f64_e32 v[64:65], v[58:59], v[62:63]
	v_mul_f64_e32 v[66:67], v[56:57], v[62:63]
	s_delay_alu instid0(VALU_DEP_2) | instskip(NEXT) | instid1(VALU_DEP_2)
	v_fma_f64 v[64:65], v[56:57], v[60:61], -v[64:65]
	v_fmac_f64_e32 v[66:67], v[58:59], v[60:61]
	s_delay_alu instid0(VALU_DEP_2) | instskip(NEXT) | instid1(VALU_DEP_2)
	v_add_f64_e32 v[64:65], v[10:11], v[64:65]
	v_add_f64_e32 v[66:67], v[66:67], v[12:13]
	ds_load_b128 v[10:13], v71 offset:6400
	s_wait_dscnt 0x0
	v_mul_f64_e32 v[68:69], v[58:59], v[12:13]
	s_delay_alu instid0(VALU_DEP_1) | instskip(SKIP_1) | instid1(VALU_DEP_2)
	v_fma_f64 v[68:69], v[56:57], v[10:11], -v[68:69]
	v_mul_f64_e32 v[56:57], v[56:57], v[12:13]
	v_add_f64_e32 v[2:3], v[2:3], v[68:69]
	s_delay_alu instid0(VALU_DEP_2) | instskip(NEXT) | instid1(VALU_DEP_1)
	v_fmac_f64_e32 v[56:57], v[58:59], v[10:11]
	v_add_f64_e32 v[8:9], v[56:57], v[8:9]
	ds_load_b128 v[56:59], v72 offset:8384
	s_wait_dscnt 0x0
	v_mul_f64_e32 v[68:69], v[58:59], v[62:63]
	v_mul_f64_e32 v[62:63], v[56:57], v[62:63]
	s_delay_alu instid0(VALU_DEP_2) | instskip(NEXT) | instid1(VALU_DEP_2)
	v_fma_f64 v[68:69], v[56:57], v[60:61], -v[68:69]
	v_fmac_f64_e32 v[62:63], v[58:59], v[60:61]
	v_mul_f64_e32 v[60:61], v[58:59], v[12:13]
	v_mul_f64_e32 v[12:13], v[56:57], v[12:13]
	s_delay_alu instid0(VALU_DEP_4) | instskip(NEXT) | instid1(VALU_DEP_4)
	v_add_f64_e32 v[14:15], v[14:15], v[68:69]
	v_add_f64_e32 v[16:17], v[62:63], v[16:17]
	s_delay_alu instid0(VALU_DEP_4) | instskip(NEXT) | instid1(VALU_DEP_4)
	v_fma_f64 v[60:61], v[56:57], v[10:11], -v[60:61]
	v_fmac_f64_e32 v[12:13], v[58:59], v[10:11]
	s_delay_alu instid0(VALU_DEP_2)
	v_add_f64_e32 v[18:19], v[18:19], v[60:61]
	ds_load_b128 v[56:59], v72 offset:208
	ds_load_b128 v[60:63], v71 offset:6656
	v_add_f64_e32 v[54:55], v[12:13], v[54:55]
	s_wait_dscnt 0x0
	v_mul_f64_e32 v[10:11], v[58:59], v[62:63]
	v_mul_f64_e32 v[12:13], v[56:57], v[62:63]
	s_delay_alu instid0(VALU_DEP_2) | instskip(NEXT) | instid1(VALU_DEP_2)
	v_fma_f64 v[10:11], v[56:57], v[60:61], -v[10:11]
	v_fmac_f64_e32 v[12:13], v[58:59], v[60:61]
	s_delay_alu instid0(VALU_DEP_2) | instskip(NEXT) | instid1(VALU_DEP_2)
	v_add_f64_e32 v[10:11], v[64:65], v[10:11]
	v_add_f64_e32 v[12:13], v[12:13], v[66:67]
	ds_load_b128 v[64:67], v71 offset:6912
	s_wait_dscnt 0x0
	v_mul_f64_e32 v[68:69], v[58:59], v[66:67]
	s_delay_alu instid0(VALU_DEP_1) | instskip(SKIP_1) | instid1(VALU_DEP_2)
	v_fma_f64 v[68:69], v[56:57], v[64:65], -v[68:69]
	v_mul_f64_e32 v[56:57], v[56:57], v[66:67]
	v_add_f64_e32 v[2:3], v[2:3], v[68:69]
	s_delay_alu instid0(VALU_DEP_2) | instskip(NEXT) | instid1(VALU_DEP_1)
	v_fmac_f64_e32 v[56:57], v[58:59], v[64:65]
	v_add_f64_e32 v[8:9], v[56:57], v[8:9]
	ds_load_b128 v[56:59], v72 offset:8400
	s_wait_dscnt 0x0
	v_mul_f64_e32 v[68:69], v[58:59], v[62:63]
	v_mul_f64_e32 v[62:63], v[56:57], v[62:63]
	s_delay_alu instid0(VALU_DEP_2) | instskip(NEXT) | instid1(VALU_DEP_2)
	v_fma_f64 v[68:69], v[56:57], v[60:61], -v[68:69]
	v_fmac_f64_e32 v[62:63], v[58:59], v[60:61]
	v_mul_f64_e32 v[60:61], v[58:59], v[66:67]
	s_delay_alu instid0(VALU_DEP_3) | instskip(NEXT) | instid1(VALU_DEP_3)
	v_add_f64_e32 v[14:15], v[14:15], v[68:69]
	v_add_f64_e32 v[16:17], v[62:63], v[16:17]
	s_delay_alu instid0(VALU_DEP_3) | instskip(SKIP_1) | instid1(VALU_DEP_2)
	v_fma_f64 v[60:61], v[56:57], v[64:65], -v[60:61]
	v_mul_f64_e32 v[56:57], v[56:57], v[66:67]
	v_add_f64_e32 v[18:19], v[18:19], v[60:61]
	s_delay_alu instid0(VALU_DEP_2) | instskip(NEXT) | instid1(VALU_DEP_1)
	v_fmac_f64_e32 v[56:57], v[58:59], v[64:65]
	v_add_f64_e32 v[54:55], v[56:57], v[54:55]
	ds_load_b128 v[56:59], v72 offset:224
	ds_load_b128 v[60:63], v71 offset:7168
	s_wait_dscnt 0x0
	v_mul_f64_e32 v[64:65], v[58:59], v[62:63]
	v_mul_f64_e32 v[66:67], v[56:57], v[62:63]
	s_delay_alu instid0(VALU_DEP_2) | instskip(NEXT) | instid1(VALU_DEP_2)
	v_fma_f64 v[64:65], v[56:57], v[60:61], -v[64:65]
	v_fmac_f64_e32 v[66:67], v[58:59], v[60:61]
	s_delay_alu instid0(VALU_DEP_2) | instskip(NEXT) | instid1(VALU_DEP_2)
	v_add_f64_e32 v[64:65], v[10:11], v[64:65]
	v_add_f64_e32 v[66:67], v[66:67], v[12:13]
	ds_load_b128 v[10:13], v71 offset:7424
	s_wait_dscnt 0x0
	v_mul_f64_e32 v[68:69], v[58:59], v[12:13]
	s_delay_alu instid0(VALU_DEP_1) | instskip(SKIP_1) | instid1(VALU_DEP_2)
	v_fma_f64 v[68:69], v[56:57], v[10:11], -v[68:69]
	v_mul_f64_e32 v[56:57], v[56:57], v[12:13]
	v_add_f64_e32 v[2:3], v[2:3], v[68:69]
	s_delay_alu instid0(VALU_DEP_2) | instskip(NEXT) | instid1(VALU_DEP_1)
	v_fmac_f64_e32 v[56:57], v[58:59], v[10:11]
	v_add_f64_e32 v[8:9], v[56:57], v[8:9]
	ds_load_b128 v[56:59], v72 offset:8416
	s_wait_dscnt 0x0
	v_mul_f64_e32 v[68:69], v[58:59], v[62:63]
	v_mul_f64_e32 v[62:63], v[56:57], v[62:63]
	s_delay_alu instid0(VALU_DEP_2) | instskip(NEXT) | instid1(VALU_DEP_2)
	v_fma_f64 v[68:69], v[56:57], v[60:61], -v[68:69]
	v_fmac_f64_e32 v[62:63], v[58:59], v[60:61]
	v_mul_f64_e32 v[60:61], v[58:59], v[12:13]
	v_mul_f64_e32 v[12:13], v[56:57], v[12:13]
	s_delay_alu instid0(VALU_DEP_4) | instskip(NEXT) | instid1(VALU_DEP_4)
	v_add_f64_e32 v[14:15], v[14:15], v[68:69]
	v_add_f64_e32 v[16:17], v[62:63], v[16:17]
	s_delay_alu instid0(VALU_DEP_4) | instskip(NEXT) | instid1(VALU_DEP_4)
	v_fma_f64 v[60:61], v[56:57], v[10:11], -v[60:61]
	v_fmac_f64_e32 v[12:13], v[58:59], v[10:11]
	s_delay_alu instid0(VALU_DEP_2)
	v_add_f64_e32 v[18:19], v[18:19], v[60:61]
	ds_load_b128 v[56:59], v72 offset:240
	ds_load_b128 v[60:63], v71 offset:7680
	v_add_f64_e32 v[54:55], v[12:13], v[54:55]
	s_wait_dscnt 0x0
	v_mul_f64_e32 v[10:11], v[58:59], v[62:63]
	v_mul_f64_e32 v[12:13], v[56:57], v[62:63]
	s_delay_alu instid0(VALU_DEP_2) | instskip(NEXT) | instid1(VALU_DEP_2)
	v_fma_f64 v[10:11], v[56:57], v[60:61], -v[10:11]
	v_fmac_f64_e32 v[12:13], v[58:59], v[60:61]
	s_delay_alu instid0(VALU_DEP_2) | instskip(NEXT) | instid1(VALU_DEP_2)
	v_add_f64_e32 v[10:11], v[64:65], v[10:11]
	v_add_f64_e32 v[12:13], v[12:13], v[66:67]
	ds_load_b128 v[64:67], v71 offset:7936
	s_wait_dscnt 0x0
	v_mul_f64_e32 v[68:69], v[58:59], v[66:67]
	s_delay_alu instid0(VALU_DEP_1) | instskip(SKIP_1) | instid1(VALU_DEP_2)
	v_fma_f64 v[68:69], v[56:57], v[64:65], -v[68:69]
	v_mul_f64_e32 v[56:57], v[56:57], v[66:67]
	v_add_f64_e32 v[2:3], v[2:3], v[68:69]
	s_delay_alu instid0(VALU_DEP_2) | instskip(NEXT) | instid1(VALU_DEP_1)
	v_fmac_f64_e32 v[56:57], v[58:59], v[64:65]
	v_add_f64_e32 v[8:9], v[56:57], v[8:9]
	ds_load_b128 v[56:59], v72 offset:8432
	s_wait_dscnt 0x0
	v_mul_f64_e32 v[68:69], v[58:59], v[62:63]
	v_mul_f64_e32 v[62:63], v[56:57], v[62:63]
	s_delay_alu instid0(VALU_DEP_2) | instskip(NEXT) | instid1(VALU_DEP_2)
	v_fma_f64 v[68:69], v[56:57], v[60:61], -v[68:69]
	v_fmac_f64_e32 v[62:63], v[58:59], v[60:61]
	v_mul_f64_e32 v[60:61], v[58:59], v[66:67]
	s_delay_alu instid0(VALU_DEP_3) | instskip(NEXT) | instid1(VALU_DEP_3)
	v_add_f64_e32 v[14:15], v[14:15], v[68:69]
	v_add_f64_e32 v[16:17], v[62:63], v[16:17]
	s_delay_alu instid0(VALU_DEP_3) | instskip(SKIP_1) | instid1(VALU_DEP_2)
	v_fma_f64 v[60:61], v[56:57], v[64:65], -v[60:61]
	v_mul_f64_e32 v[56:57], v[56:57], v[66:67]
	v_add_f64_e32 v[18:19], v[18:19], v[60:61]
	s_delay_alu instid0(VALU_DEP_2) | instskip(NEXT) | instid1(VALU_DEP_1)
	v_fmac_f64_e32 v[56:57], v[58:59], v[64:65]
	v_add_f64_e32 v[54:55], v[56:57], v[54:55]
	ds_load_b128 v[56:59], v72 offset:256
	ds_load_b128 v[60:63], v71 offset:8192
	s_wait_dscnt 0x0
	v_mul_f64_e32 v[64:65], v[58:59], v[62:63]
	v_mul_f64_e32 v[66:67], v[56:57], v[62:63]
	s_delay_alu instid0(VALU_DEP_2) | instskip(NEXT) | instid1(VALU_DEP_2)
	v_fma_f64 v[64:65], v[56:57], v[60:61], -v[64:65]
	v_fmac_f64_e32 v[66:67], v[58:59], v[60:61]
	s_delay_alu instid0(VALU_DEP_2) | instskip(NEXT) | instid1(VALU_DEP_2)
	v_add_f64_e32 v[64:65], v[10:11], v[64:65]
	v_add_f64_e32 v[66:67], v[66:67], v[12:13]
	ds_load_b128 v[10:13], v71 offset:8448
	s_wait_dscnt 0x0
	v_mul_f64_e32 v[68:69], v[58:59], v[12:13]
	s_delay_alu instid0(VALU_DEP_1) | instskip(SKIP_1) | instid1(VALU_DEP_2)
	v_fma_f64 v[68:69], v[56:57], v[10:11], -v[68:69]
	v_mul_f64_e32 v[56:57], v[56:57], v[12:13]
	v_add_f64_e32 v[2:3], v[2:3], v[68:69]
	s_delay_alu instid0(VALU_DEP_2) | instskip(NEXT) | instid1(VALU_DEP_1)
	v_fmac_f64_e32 v[56:57], v[58:59], v[10:11]
	v_add_f64_e32 v[8:9], v[56:57], v[8:9]
	ds_load_b128 v[56:59], v72 offset:8448
	s_wait_dscnt 0x0
	v_mul_f64_e32 v[68:69], v[58:59], v[62:63]
	v_mul_f64_e32 v[62:63], v[56:57], v[62:63]
	s_delay_alu instid0(VALU_DEP_2) | instskip(NEXT) | instid1(VALU_DEP_2)
	v_fma_f64 v[68:69], v[56:57], v[60:61], -v[68:69]
	v_fmac_f64_e32 v[62:63], v[58:59], v[60:61]
	v_mul_f64_e32 v[60:61], v[58:59], v[12:13]
	v_mul_f64_e32 v[12:13], v[56:57], v[12:13]
	s_delay_alu instid0(VALU_DEP_4) | instskip(NEXT) | instid1(VALU_DEP_4)
	v_add_f64_e32 v[14:15], v[14:15], v[68:69]
	v_add_f64_e32 v[16:17], v[62:63], v[16:17]
	s_delay_alu instid0(VALU_DEP_4) | instskip(NEXT) | instid1(VALU_DEP_4)
	v_fma_f64 v[60:61], v[56:57], v[10:11], -v[60:61]
	v_fmac_f64_e32 v[12:13], v[58:59], v[10:11]
	s_delay_alu instid0(VALU_DEP_2)
	v_add_f64_e32 v[18:19], v[18:19], v[60:61]
	ds_load_b128 v[56:59], v72 offset:272
	ds_load_b128 v[60:63], v71 offset:8704
	v_add_f64_e32 v[54:55], v[12:13], v[54:55]
	s_wait_dscnt 0x0
	v_mul_f64_e32 v[10:11], v[58:59], v[62:63]
	v_mul_f64_e32 v[12:13], v[56:57], v[62:63]
	s_delay_alu instid0(VALU_DEP_2) | instskip(NEXT) | instid1(VALU_DEP_2)
	v_fma_f64 v[10:11], v[56:57], v[60:61], -v[10:11]
	v_fmac_f64_e32 v[12:13], v[58:59], v[60:61]
	s_delay_alu instid0(VALU_DEP_2) | instskip(NEXT) | instid1(VALU_DEP_2)
	v_add_f64_e32 v[10:11], v[64:65], v[10:11]
	v_add_f64_e32 v[12:13], v[12:13], v[66:67]
	ds_load_b128 v[64:67], v71 offset:8960
	s_wait_dscnt 0x0
	v_mul_f64_e32 v[68:69], v[58:59], v[66:67]
	s_delay_alu instid0(VALU_DEP_1) | instskip(SKIP_1) | instid1(VALU_DEP_2)
	v_fma_f64 v[68:69], v[56:57], v[64:65], -v[68:69]
	v_mul_f64_e32 v[56:57], v[56:57], v[66:67]
	v_add_f64_e32 v[2:3], v[2:3], v[68:69]
	s_delay_alu instid0(VALU_DEP_2) | instskip(NEXT) | instid1(VALU_DEP_1)
	v_fmac_f64_e32 v[56:57], v[58:59], v[64:65]
	v_add_f64_e32 v[8:9], v[56:57], v[8:9]
	ds_load_b128 v[56:59], v72 offset:8464
	s_wait_dscnt 0x0
	v_mul_f64_e32 v[68:69], v[58:59], v[62:63]
	v_mul_f64_e32 v[62:63], v[56:57], v[62:63]
	s_delay_alu instid0(VALU_DEP_2) | instskip(NEXT) | instid1(VALU_DEP_2)
	v_fma_f64 v[68:69], v[56:57], v[60:61], -v[68:69]
	v_fmac_f64_e32 v[62:63], v[58:59], v[60:61]
	v_mul_f64_e32 v[60:61], v[58:59], v[66:67]
	s_delay_alu instid0(VALU_DEP_3) | instskip(NEXT) | instid1(VALU_DEP_3)
	v_add_f64_e32 v[14:15], v[14:15], v[68:69]
	v_add_f64_e32 v[16:17], v[62:63], v[16:17]
	s_delay_alu instid0(VALU_DEP_3) | instskip(SKIP_1) | instid1(VALU_DEP_2)
	v_fma_f64 v[60:61], v[56:57], v[64:65], -v[60:61]
	v_mul_f64_e32 v[56:57], v[56:57], v[66:67]
	v_add_f64_e32 v[18:19], v[18:19], v[60:61]
	s_delay_alu instid0(VALU_DEP_2) | instskip(NEXT) | instid1(VALU_DEP_1)
	v_fmac_f64_e32 v[56:57], v[58:59], v[64:65]
	v_add_f64_e32 v[54:55], v[56:57], v[54:55]
	ds_load_b128 v[56:59], v72 offset:288
	ds_load_b128 v[60:63], v71 offset:9216
	s_wait_dscnt 0x0
	v_mul_f64_e32 v[64:65], v[58:59], v[62:63]
	v_mul_f64_e32 v[66:67], v[56:57], v[62:63]
	s_delay_alu instid0(VALU_DEP_2) | instskip(NEXT) | instid1(VALU_DEP_2)
	v_fma_f64 v[64:65], v[56:57], v[60:61], -v[64:65]
	v_fmac_f64_e32 v[66:67], v[58:59], v[60:61]
	s_delay_alu instid0(VALU_DEP_2) | instskip(NEXT) | instid1(VALU_DEP_2)
	v_add_f64_e32 v[64:65], v[10:11], v[64:65]
	v_add_f64_e32 v[66:67], v[66:67], v[12:13]
	ds_load_b128 v[10:13], v71 offset:9472
	s_wait_dscnt 0x0
	v_mul_f64_e32 v[68:69], v[58:59], v[12:13]
	s_delay_alu instid0(VALU_DEP_1) | instskip(SKIP_1) | instid1(VALU_DEP_2)
	v_fma_f64 v[68:69], v[56:57], v[10:11], -v[68:69]
	v_mul_f64_e32 v[56:57], v[56:57], v[12:13]
	v_add_f64_e32 v[2:3], v[2:3], v[68:69]
	s_delay_alu instid0(VALU_DEP_2) | instskip(NEXT) | instid1(VALU_DEP_1)
	v_fmac_f64_e32 v[56:57], v[58:59], v[10:11]
	v_add_f64_e32 v[8:9], v[56:57], v[8:9]
	ds_load_b128 v[56:59], v72 offset:8480
	s_wait_dscnt 0x0
	v_mul_f64_e32 v[68:69], v[58:59], v[62:63]
	v_mul_f64_e32 v[62:63], v[56:57], v[62:63]
	s_delay_alu instid0(VALU_DEP_2) | instskip(NEXT) | instid1(VALU_DEP_2)
	v_fma_f64 v[68:69], v[56:57], v[60:61], -v[68:69]
	v_fmac_f64_e32 v[62:63], v[58:59], v[60:61]
	v_mul_f64_e32 v[60:61], v[58:59], v[12:13]
	v_mul_f64_e32 v[12:13], v[56:57], v[12:13]
	s_delay_alu instid0(VALU_DEP_4) | instskip(NEXT) | instid1(VALU_DEP_4)
	v_add_f64_e32 v[14:15], v[14:15], v[68:69]
	v_add_f64_e32 v[16:17], v[62:63], v[16:17]
	s_delay_alu instid0(VALU_DEP_4) | instskip(NEXT) | instid1(VALU_DEP_4)
	v_fma_f64 v[60:61], v[56:57], v[10:11], -v[60:61]
	v_fmac_f64_e32 v[12:13], v[58:59], v[10:11]
	s_delay_alu instid0(VALU_DEP_2)
	v_add_f64_e32 v[18:19], v[18:19], v[60:61]
	ds_load_b128 v[56:59], v72 offset:304
	ds_load_b128 v[60:63], v71 offset:9728
	v_add_f64_e32 v[54:55], v[12:13], v[54:55]
	s_wait_dscnt 0x0
	v_mul_f64_e32 v[10:11], v[58:59], v[62:63]
	v_mul_f64_e32 v[12:13], v[56:57], v[62:63]
	s_delay_alu instid0(VALU_DEP_2) | instskip(NEXT) | instid1(VALU_DEP_2)
	v_fma_f64 v[10:11], v[56:57], v[60:61], -v[10:11]
	v_fmac_f64_e32 v[12:13], v[58:59], v[60:61]
	s_delay_alu instid0(VALU_DEP_2) | instskip(NEXT) | instid1(VALU_DEP_2)
	v_add_f64_e32 v[10:11], v[64:65], v[10:11]
	v_add_f64_e32 v[12:13], v[12:13], v[66:67]
	ds_load_b128 v[64:67], v71 offset:9984
	s_wait_dscnt 0x0
	v_mul_f64_e32 v[68:69], v[58:59], v[66:67]
	s_delay_alu instid0(VALU_DEP_1) | instskip(SKIP_1) | instid1(VALU_DEP_2)
	v_fma_f64 v[68:69], v[56:57], v[64:65], -v[68:69]
	v_mul_f64_e32 v[56:57], v[56:57], v[66:67]
	v_add_f64_e32 v[2:3], v[2:3], v[68:69]
	s_delay_alu instid0(VALU_DEP_2) | instskip(NEXT) | instid1(VALU_DEP_1)
	v_fmac_f64_e32 v[56:57], v[58:59], v[64:65]
	v_add_f64_e32 v[8:9], v[56:57], v[8:9]
	ds_load_b128 v[56:59], v72 offset:8496
	s_wait_dscnt 0x0
	v_mul_f64_e32 v[68:69], v[58:59], v[62:63]
	v_mul_f64_e32 v[62:63], v[56:57], v[62:63]
	s_delay_alu instid0(VALU_DEP_2) | instskip(NEXT) | instid1(VALU_DEP_2)
	v_fma_f64 v[68:69], v[56:57], v[60:61], -v[68:69]
	v_fmac_f64_e32 v[62:63], v[58:59], v[60:61]
	v_mul_f64_e32 v[60:61], v[58:59], v[66:67]
	s_delay_alu instid0(VALU_DEP_3) | instskip(NEXT) | instid1(VALU_DEP_3)
	v_add_f64_e32 v[14:15], v[14:15], v[68:69]
	v_add_f64_e32 v[16:17], v[62:63], v[16:17]
	s_delay_alu instid0(VALU_DEP_3) | instskip(SKIP_1) | instid1(VALU_DEP_2)
	v_fma_f64 v[60:61], v[56:57], v[64:65], -v[60:61]
	v_mul_f64_e32 v[56:57], v[56:57], v[66:67]
	v_add_f64_e32 v[18:19], v[18:19], v[60:61]
	s_delay_alu instid0(VALU_DEP_2) | instskip(NEXT) | instid1(VALU_DEP_1)
	v_fmac_f64_e32 v[56:57], v[58:59], v[64:65]
	v_add_f64_e32 v[54:55], v[56:57], v[54:55]
	ds_load_b128 v[56:59], v72 offset:320
	ds_load_b128 v[60:63], v71 offset:10240
	s_wait_dscnt 0x0
	v_mul_f64_e32 v[64:65], v[58:59], v[62:63]
	v_mul_f64_e32 v[66:67], v[56:57], v[62:63]
	s_delay_alu instid0(VALU_DEP_2) | instskip(NEXT) | instid1(VALU_DEP_2)
	v_fma_f64 v[64:65], v[56:57], v[60:61], -v[64:65]
	v_fmac_f64_e32 v[66:67], v[58:59], v[60:61]
	s_delay_alu instid0(VALU_DEP_2) | instskip(NEXT) | instid1(VALU_DEP_2)
	v_add_f64_e32 v[68:69], v[10:11], v[64:65]
	v_add_f64_e32 v[80:81], v[66:67], v[12:13]
	ds_load_b128 v[64:67], v71 offset:10496
	s_wait_dscnt 0x0
	v_mul_f64_e32 v[10:11], v[58:59], v[66:67]
	v_mul_f64_e32 v[12:13], v[56:57], v[66:67]
	s_delay_alu instid0(VALU_DEP_2) | instskip(NEXT) | instid1(VALU_DEP_2)
	v_fma_f64 v[10:11], v[56:57], v[64:65], -v[10:11]
	v_fmac_f64_e32 v[12:13], v[58:59], v[64:65]
	ds_load_b128 v[56:59], v72 offset:8512
	v_add_f64_e32 v[82:83], v[2:3], v[10:11]
	v_add_f64_e32 v[84:85], v[12:13], v[8:9]
	s_wait_dscnt 0x0
	v_mul_f64_e32 v[2:3], v[58:59], v[62:63]
	v_mul_f64_e32 v[8:9], v[56:57], v[62:63]
	s_delay_alu instid0(VALU_DEP_2) | instskip(NEXT) | instid1(VALU_DEP_2)
	v_fma_f64 v[2:3], v[56:57], v[60:61], -v[2:3]
	v_fmac_f64_e32 v[8:9], v[58:59], v[60:61]
	s_delay_alu instid0(VALU_DEP_2) | instskip(NEXT) | instid1(VALU_DEP_2)
	v_add_f64_e32 v[10:11], v[14:15], v[2:3]
	v_add_f64_e32 v[12:13], v[8:9], v[16:17]
	v_mul_f64_e32 v[2:3], v[58:59], v[66:67]
	v_mul_f64_e32 v[8:9], v[56:57], v[66:67]
	s_delay_alu instid0(VALU_DEP_2) | instskip(NEXT) | instid1(VALU_DEP_2)
	v_fma_f64 v[2:3], v[56:57], v[64:65], -v[2:3]
	v_fmac_f64_e32 v[8:9], v[58:59], v[64:65]
	ds_load_b128 v[14:17], v72 offset:336
	ds_load_b128 v[56:59], v71 offset:10752
	;; [unrolled: 1-line block ×3, first 2 shown]
	s_wait_dscnt 0x0
	v_mul_f64_e32 v[64:65], v[16:17], v[62:63]
	v_mul_f64_e32 v[66:67], v[14:15], v[62:63]
	v_add_f64_e32 v[2:3], v[18:19], v[2:3]
	v_mul_f64_e32 v[18:19], v[16:17], v[58:59]
	v_add_f64_e32 v[8:9], v[8:9], v[54:55]
	v_mul_f64_e32 v[54:55], v[14:15], v[58:59]
	v_fma_f64 v[64:65], v[14:15], v[60:61], -v[64:65]
	v_fmac_f64_e32 v[66:67], v[16:17], v[60:61]
	v_fma_f64 v[18:19], v[14:15], v[56:57], -v[18:19]
	s_delay_alu instid0(VALU_DEP_4) | instskip(NEXT) | instid1(VALU_DEP_4)
	v_fmac_f64_e32 v[54:55], v[16:17], v[56:57]
	v_add_f64_e32 v[14:15], v[82:83], v[64:65]
	s_delay_alu instid0(VALU_DEP_4)
	v_add_f64_e32 v[16:17], v[66:67], v[84:85]
	ds_load_b128 v[64:67], v72 offset:8528
	v_add_f64_e32 v[18:19], v[68:69], v[18:19]
	v_add_f64_e32 v[54:55], v[54:55], v[80:81]
	s_wait_dscnt 0x0
	v_mul_f64_e32 v[68:69], v[66:67], v[58:59]
	v_mul_f64_e32 v[58:59], v[64:65], v[58:59]
	s_delay_alu instid0(VALU_DEP_2) | instskip(NEXT) | instid1(VALU_DEP_2)
	v_fma_f64 v[68:69], v[64:65], v[56:57], -v[68:69]
	v_fmac_f64_e32 v[58:59], v[66:67], v[56:57]
	v_mul_f64_e32 v[56:57], v[64:65], v[62:63]
	s_delay_alu instid0(VALU_DEP_3) | instskip(SKIP_1) | instid1(VALU_DEP_3)
	v_add_f64_e32 v[68:69], v[10:11], v[68:69]
	v_mul_f64_e32 v[10:11], v[66:67], v[62:63]
	v_fmac_f64_e32 v[56:57], v[66:67], v[60:61]
	v_add_f64_e32 v[12:13], v[58:59], v[12:13]
	s_delay_alu instid0(VALU_DEP_3) | instskip(NEXT) | instid1(VALU_DEP_3)
	v_fma_f64 v[10:11], v[64:65], v[60:61], -v[10:11]
	v_add_f64_e32 v[64:65], v[56:57], v[8:9]
	s_delay_alu instid0(VALU_DEP_2)
	v_add_f64_e32 v[2:3], v[2:3], v[10:11]
	ds_load_b128 v[8:11], v72 offset:352
	ds_load_b128 v[56:59], v71 offset:11264
	s_wait_dscnt 0x0
	v_mul_f64_e32 v[60:61], v[10:11], v[58:59]
	v_mul_f64_e32 v[62:63], v[8:9], v[58:59]
	s_delay_alu instid0(VALU_DEP_2) | instskip(NEXT) | instid1(VALU_DEP_2)
	v_fma_f64 v[60:61], v[8:9], v[56:57], -v[60:61]
	v_fmac_f64_e32 v[62:63], v[10:11], v[56:57]
	s_delay_alu instid0(VALU_DEP_2) | instskip(NEXT) | instid1(VALU_DEP_2)
	v_add_f64_e32 v[66:67], v[18:19], v[60:61]
	v_add_f64_e32 v[80:81], v[62:63], v[54:55]
	ds_load_b128 v[60:63], v71 offset:11520
	s_wait_dscnt 0x0
	v_mul_f64_e32 v[18:19], v[10:11], v[62:63]
	s_delay_alu instid0(VALU_DEP_1) | instskip(SKIP_1) | instid1(VALU_DEP_2)
	v_fma_f64 v[18:19], v[8:9], v[60:61], -v[18:19]
	v_mul_f64_e32 v[8:9], v[8:9], v[62:63]
	v_add_f64_e32 v[82:83], v[14:15], v[18:19]
	s_delay_alu instid0(VALU_DEP_2) | instskip(NEXT) | instid1(VALU_DEP_1)
	v_fmac_f64_e32 v[8:9], v[10:11], v[60:61]
	v_add_f64_e32 v[84:85], v[8:9], v[16:17]
	ds_load_b128 v[8:11], v72 offset:8544
	s_wait_dscnt 0x0
	v_mul_f64_e32 v[16:17], v[8:9], v[58:59]
	v_mul_f64_e32 v[14:15], v[10:11], v[58:59]
	s_delay_alu instid0(VALU_DEP_2) | instskip(NEXT) | instid1(VALU_DEP_2)
	v_fmac_f64_e32 v[16:17], v[10:11], v[56:57]
	v_fma_f64 v[14:15], v[8:9], v[56:57], -v[14:15]
	s_delay_alu instid0(VALU_DEP_2) | instskip(SKIP_1) | instid1(VALU_DEP_3)
	v_add_f64_e32 v[16:17], v[16:17], v[12:13]
	v_mul_f64_e32 v[12:13], v[10:11], v[62:63]
	v_add_f64_e32 v[14:15], v[68:69], v[14:15]
	s_delay_alu instid0(VALU_DEP_2) | instskip(SKIP_1) | instid1(VALU_DEP_2)
	v_fma_f64 v[12:13], v[8:9], v[60:61], -v[12:13]
	v_mul_f64_e32 v[8:9], v[8:9], v[62:63]
	v_add_f64_e32 v[18:19], v[2:3], v[12:13]
	s_delay_alu instid0(VALU_DEP_2)
	v_fmac_f64_e32 v[8:9], v[10:11], v[60:61]
	ds_load_b128 v[56:59], v72 offset:368
	ds_load_b128 v[60:63], v71 offset:11776
	s_wait_dscnt 0x0
	v_mul_f64_e32 v[2:3], v[58:59], v[62:63]
	v_add_f64_e32 v[54:55], v[8:9], v[64:65]
	v_mul_f64_e32 v[8:9], v[56:57], v[62:63]
	s_delay_alu instid0(VALU_DEP_3) | instskip(NEXT) | instid1(VALU_DEP_2)
	v_fma_f64 v[2:3], v[56:57], v[60:61], -v[2:3]
	v_fmac_f64_e32 v[8:9], v[58:59], v[60:61]
	s_delay_alu instid0(VALU_DEP_2)
	v_add_f64_e32 v[10:11], v[66:67], v[2:3]
	ds_load_b128 v[64:67], v71 offset:12032
	v_add_f64_e32 v[12:13], v[8:9], v[80:81]
	s_wait_dscnt 0x0
	v_mul_f64_e32 v[2:3], v[58:59], v[66:67]
	v_mul_f64_e32 v[8:9], v[56:57], v[66:67]
	s_delay_alu instid0(VALU_DEP_2) | instskip(NEXT) | instid1(VALU_DEP_2)
	v_fma_f64 v[2:3], v[56:57], v[64:65], -v[2:3]
	v_fmac_f64_e32 v[8:9], v[58:59], v[64:65]
	ds_load_b128 v[56:59], v72 offset:8560
	s_wait_dscnt 0x0
	v_mul_f64_e32 v[68:69], v[58:59], v[62:63]
	v_mul_f64_e32 v[62:63], v[56:57], v[62:63]
	v_add_f64_e32 v[2:3], v[82:83], v[2:3]
	v_add_f64_e32 v[8:9], v[8:9], v[84:85]
	s_delay_alu instid0(VALU_DEP_4) | instskip(NEXT) | instid1(VALU_DEP_4)
	v_fma_f64 v[68:69], v[56:57], v[60:61], -v[68:69]
	v_fmac_f64_e32 v[62:63], v[58:59], v[60:61]
	v_mul_f64_e32 v[60:61], v[58:59], v[66:67]
	s_delay_alu instid0(VALU_DEP_3) | instskip(NEXT) | instid1(VALU_DEP_3)
	v_add_f64_e32 v[14:15], v[14:15], v[68:69]
	v_add_f64_e32 v[16:17], v[62:63], v[16:17]
	s_delay_alu instid0(VALU_DEP_3) | instskip(SKIP_1) | instid1(VALU_DEP_2)
	v_fma_f64 v[60:61], v[56:57], v[64:65], -v[60:61]
	v_mul_f64_e32 v[56:57], v[56:57], v[66:67]
	v_add_f64_e32 v[18:19], v[18:19], v[60:61]
	s_delay_alu instid0(VALU_DEP_2) | instskip(NEXT) | instid1(VALU_DEP_1)
	v_fmac_f64_e32 v[56:57], v[58:59], v[64:65]
	v_add_f64_e32 v[54:55], v[56:57], v[54:55]
	ds_load_b128 v[56:59], v72 offset:384
	ds_load_b128 v[60:63], v71 offset:12288
	s_wait_dscnt 0x0
	v_mul_f64_e32 v[64:65], v[58:59], v[62:63]
	v_mul_f64_e32 v[66:67], v[56:57], v[62:63]
	s_delay_alu instid0(VALU_DEP_2) | instskip(NEXT) | instid1(VALU_DEP_2)
	v_fma_f64 v[64:65], v[56:57], v[60:61], -v[64:65]
	v_fmac_f64_e32 v[66:67], v[58:59], v[60:61]
	s_delay_alu instid0(VALU_DEP_2) | instskip(NEXT) | instid1(VALU_DEP_2)
	v_add_f64_e32 v[68:69], v[10:11], v[64:65]
	v_add_f64_e32 v[80:81], v[66:67], v[12:13]
	ds_load_b128 v[64:67], v71 offset:12544
	s_wait_dscnt 0x0
	v_mul_f64_e32 v[10:11], v[58:59], v[66:67]
	v_mul_f64_e32 v[12:13], v[56:57], v[66:67]
	s_delay_alu instid0(VALU_DEP_2) | instskip(NEXT) | instid1(VALU_DEP_2)
	v_fma_f64 v[10:11], v[56:57], v[64:65], -v[10:11]
	v_fmac_f64_e32 v[12:13], v[58:59], v[64:65]
	ds_load_b128 v[56:59], v72 offset:8576
	v_add_f64_e32 v[82:83], v[2:3], v[10:11]
	v_add_f64_e32 v[84:85], v[12:13], v[8:9]
	s_wait_dscnt 0x0
	v_mul_f64_e32 v[2:3], v[58:59], v[62:63]
	v_mul_f64_e32 v[8:9], v[56:57], v[62:63]
	s_delay_alu instid0(VALU_DEP_2) | instskip(NEXT) | instid1(VALU_DEP_2)
	v_fma_f64 v[2:3], v[56:57], v[60:61], -v[2:3]
	v_fmac_f64_e32 v[8:9], v[58:59], v[60:61]
	s_delay_alu instid0(VALU_DEP_2) | instskip(NEXT) | instid1(VALU_DEP_2)
	v_add_f64_e32 v[10:11], v[14:15], v[2:3]
	v_add_f64_e32 v[12:13], v[8:9], v[16:17]
	v_mul_f64_e32 v[2:3], v[58:59], v[66:67]
	v_mul_f64_e32 v[8:9], v[56:57], v[66:67]
	s_delay_alu instid0(VALU_DEP_2) | instskip(NEXT) | instid1(VALU_DEP_2)
	v_fma_f64 v[2:3], v[56:57], v[64:65], -v[2:3]
	v_fmac_f64_e32 v[8:9], v[58:59], v[64:65]
	ds_load_b128 v[14:17], v72 offset:400
	ds_load_b128 v[56:59], v71 offset:12800
	;; [unrolled: 1-line block ×3, first 2 shown]
	s_wait_dscnt 0x0
	v_mul_f64_e32 v[64:65], v[16:17], v[62:63]
	v_mul_f64_e32 v[66:67], v[14:15], v[62:63]
	v_add_f64_e32 v[2:3], v[18:19], v[2:3]
	v_mul_f64_e32 v[18:19], v[16:17], v[58:59]
	v_add_f64_e32 v[8:9], v[8:9], v[54:55]
	v_mul_f64_e32 v[54:55], v[14:15], v[58:59]
	v_fma_f64 v[64:65], v[14:15], v[60:61], -v[64:65]
	v_fmac_f64_e32 v[66:67], v[16:17], v[60:61]
	v_fma_f64 v[18:19], v[14:15], v[56:57], -v[18:19]
	s_delay_alu instid0(VALU_DEP_4) | instskip(NEXT) | instid1(VALU_DEP_4)
	v_fmac_f64_e32 v[54:55], v[16:17], v[56:57]
	v_add_f64_e32 v[14:15], v[82:83], v[64:65]
	s_delay_alu instid0(VALU_DEP_4)
	v_add_f64_e32 v[16:17], v[66:67], v[84:85]
	ds_load_b128 v[64:67], v72 offset:8592
	v_add_f64_e32 v[18:19], v[68:69], v[18:19]
	v_add_f64_e32 v[54:55], v[54:55], v[80:81]
	s_wait_dscnt 0x0
	v_mul_f64_e32 v[68:69], v[66:67], v[58:59]
	v_mul_f64_e32 v[58:59], v[64:65], v[58:59]
	s_delay_alu instid0(VALU_DEP_2) | instskip(NEXT) | instid1(VALU_DEP_2)
	v_fma_f64 v[68:69], v[64:65], v[56:57], -v[68:69]
	v_fmac_f64_e32 v[58:59], v[66:67], v[56:57]
	v_mul_f64_e32 v[56:57], v[64:65], v[62:63]
	s_delay_alu instid0(VALU_DEP_3) | instskip(SKIP_1) | instid1(VALU_DEP_3)
	v_add_f64_e32 v[68:69], v[10:11], v[68:69]
	v_mul_f64_e32 v[10:11], v[66:67], v[62:63]
	v_fmac_f64_e32 v[56:57], v[66:67], v[60:61]
	v_add_f64_e32 v[12:13], v[58:59], v[12:13]
	s_delay_alu instid0(VALU_DEP_3) | instskip(NEXT) | instid1(VALU_DEP_3)
	v_fma_f64 v[10:11], v[64:65], v[60:61], -v[10:11]
	v_add_f64_e32 v[64:65], v[56:57], v[8:9]
	s_delay_alu instid0(VALU_DEP_2)
	v_add_f64_e32 v[2:3], v[2:3], v[10:11]
	ds_load_b128 v[8:11], v72 offset:416
	ds_load_b128 v[56:59], v71 offset:13312
	s_wait_dscnt 0x0
	v_mul_f64_e32 v[60:61], v[10:11], v[58:59]
	v_mul_f64_e32 v[62:63], v[8:9], v[58:59]
	s_delay_alu instid0(VALU_DEP_2) | instskip(NEXT) | instid1(VALU_DEP_2)
	v_fma_f64 v[60:61], v[8:9], v[56:57], -v[60:61]
	v_fmac_f64_e32 v[62:63], v[10:11], v[56:57]
	s_delay_alu instid0(VALU_DEP_2) | instskip(NEXT) | instid1(VALU_DEP_2)
	v_add_f64_e32 v[66:67], v[18:19], v[60:61]
	v_add_f64_e32 v[80:81], v[62:63], v[54:55]
	ds_load_b128 v[60:63], v71 offset:13568
	s_wait_dscnt 0x0
	v_mul_f64_e32 v[18:19], v[10:11], v[62:63]
	s_delay_alu instid0(VALU_DEP_1) | instskip(SKIP_1) | instid1(VALU_DEP_2)
	v_fma_f64 v[18:19], v[8:9], v[60:61], -v[18:19]
	v_mul_f64_e32 v[8:9], v[8:9], v[62:63]
	v_add_f64_e32 v[82:83], v[14:15], v[18:19]
	s_delay_alu instid0(VALU_DEP_2) | instskip(NEXT) | instid1(VALU_DEP_1)
	v_fmac_f64_e32 v[8:9], v[10:11], v[60:61]
	v_add_f64_e32 v[84:85], v[8:9], v[16:17]
	ds_load_b128 v[8:11], v72 offset:8608
	s_wait_dscnt 0x0
	v_mul_f64_e32 v[16:17], v[8:9], v[58:59]
	v_mul_f64_e32 v[14:15], v[10:11], v[58:59]
	s_delay_alu instid0(VALU_DEP_2) | instskip(NEXT) | instid1(VALU_DEP_2)
	v_fmac_f64_e32 v[16:17], v[10:11], v[56:57]
	v_fma_f64 v[14:15], v[8:9], v[56:57], -v[14:15]
	s_delay_alu instid0(VALU_DEP_2) | instskip(SKIP_1) | instid1(VALU_DEP_3)
	v_add_f64_e32 v[16:17], v[16:17], v[12:13]
	v_mul_f64_e32 v[12:13], v[10:11], v[62:63]
	v_add_f64_e32 v[14:15], v[68:69], v[14:15]
	s_delay_alu instid0(VALU_DEP_2) | instskip(SKIP_1) | instid1(VALU_DEP_2)
	v_fma_f64 v[12:13], v[8:9], v[60:61], -v[12:13]
	v_mul_f64_e32 v[8:9], v[8:9], v[62:63]
	v_add_f64_e32 v[18:19], v[2:3], v[12:13]
	s_delay_alu instid0(VALU_DEP_2)
	v_fmac_f64_e32 v[8:9], v[10:11], v[60:61]
	ds_load_b128 v[56:59], v72 offset:432
	ds_load_b128 v[60:63], v71 offset:13824
	s_wait_dscnt 0x0
	v_mul_f64_e32 v[2:3], v[58:59], v[62:63]
	v_add_f64_e32 v[54:55], v[8:9], v[64:65]
	v_mul_f64_e32 v[8:9], v[56:57], v[62:63]
	s_delay_alu instid0(VALU_DEP_3) | instskip(NEXT) | instid1(VALU_DEP_2)
	v_fma_f64 v[2:3], v[56:57], v[60:61], -v[2:3]
	v_fmac_f64_e32 v[8:9], v[58:59], v[60:61]
	s_delay_alu instid0(VALU_DEP_2)
	v_add_f64_e32 v[10:11], v[66:67], v[2:3]
	ds_load_b128 v[64:67], v71 offset:14080
	v_add_f64_e32 v[12:13], v[8:9], v[80:81]
	s_wait_dscnt 0x0
	v_mul_f64_e32 v[2:3], v[58:59], v[66:67]
	v_mul_f64_e32 v[8:9], v[56:57], v[66:67]
	s_delay_alu instid0(VALU_DEP_2) | instskip(NEXT) | instid1(VALU_DEP_2)
	v_fma_f64 v[2:3], v[56:57], v[64:65], -v[2:3]
	v_fmac_f64_e32 v[8:9], v[58:59], v[64:65]
	ds_load_b128 v[56:59], v72 offset:8624
	s_wait_dscnt 0x0
	v_mul_f64_e32 v[68:69], v[58:59], v[62:63]
	v_mul_f64_e32 v[62:63], v[56:57], v[62:63]
	v_add_f64_e32 v[2:3], v[82:83], v[2:3]
	v_add_f64_e32 v[8:9], v[8:9], v[84:85]
	s_delay_alu instid0(VALU_DEP_4) | instskip(NEXT) | instid1(VALU_DEP_4)
	v_fma_f64 v[68:69], v[56:57], v[60:61], -v[68:69]
	v_fmac_f64_e32 v[62:63], v[58:59], v[60:61]
	v_mul_f64_e32 v[60:61], v[58:59], v[66:67]
	s_delay_alu instid0(VALU_DEP_3) | instskip(NEXT) | instid1(VALU_DEP_3)
	v_add_f64_e32 v[14:15], v[14:15], v[68:69]
	v_add_f64_e32 v[16:17], v[62:63], v[16:17]
	v_mul_f64_e32 v[62:63], v[56:57], v[66:67]
	s_delay_alu instid0(VALU_DEP_4) | instskip(NEXT) | instid1(VALU_DEP_2)
	v_fma_f64 v[60:61], v[56:57], v[64:65], -v[60:61]
	v_fmac_f64_e32 v[62:63], v[58:59], v[64:65]
	s_delay_alu instid0(VALU_DEP_2) | instskip(NEXT) | instid1(VALU_DEP_2)
	v_add_f64_e32 v[56:57], v[18:19], v[60:61]
	v_add_f64_e32 v[58:59], v[62:63], v[54:55]
	ds_load_b128 v[60:63], v72 offset:448
	ds_load_b128 v[64:67], v71 offset:14336
	s_wait_dscnt 0x0
	v_mul_f64_e32 v[18:19], v[62:63], v[66:67]
	v_mul_f64_e32 v[54:55], v[60:61], v[66:67]
	s_delay_alu instid0(VALU_DEP_2) | instskip(NEXT) | instid1(VALU_DEP_2)
	v_fma_f64 v[18:19], v[60:61], v[64:65], -v[18:19]
	v_fmac_f64_e32 v[54:55], v[62:63], v[64:65]
	s_delay_alu instid0(VALU_DEP_2) | instskip(NEXT) | instid1(VALU_DEP_2)
	v_add_f64_e32 v[68:69], v[10:11], v[18:19]
	v_add_f64_e32 v[80:81], v[54:55], v[12:13]
	ds_load_b128 v[10:13], v71 offset:14592
	s_wait_dscnt 0x0
	v_mul_f64_e32 v[18:19], v[62:63], v[12:13]
	v_mul_f64_e32 v[54:55], v[60:61], v[12:13]
	s_delay_alu instid0(VALU_DEP_2) | instskip(NEXT) | instid1(VALU_DEP_2)
	v_fma_f64 v[18:19], v[60:61], v[10:11], -v[18:19]
	v_fmac_f64_e32 v[54:55], v[62:63], v[10:11]
	ds_load_b128 v[60:63], v72 offset:8640
	v_add_f64_e32 v[82:83], v[2:3], v[18:19]
	v_add_f64_e32 v[84:85], v[54:55], v[8:9]
	s_wait_dscnt 0x0
	v_mul_f64_e32 v[2:3], v[62:63], v[66:67]
	v_mul_f64_e32 v[8:9], v[60:61], v[66:67]
	s_delay_alu instid0(VALU_DEP_2) | instskip(NEXT) | instid1(VALU_DEP_2)
	v_fma_f64 v[2:3], v[60:61], v[64:65], -v[2:3]
	v_fmac_f64_e32 v[8:9], v[62:63], v[64:65]
	s_delay_alu instid0(VALU_DEP_2) | instskip(NEXT) | instid1(VALU_DEP_2)
	v_add_f64_e32 v[18:19], v[14:15], v[2:3]
	v_add_f64_e32 v[54:55], v[8:9], v[16:17]
	v_mul_f64_e32 v[2:3], v[62:63], v[12:13]
	v_mul_f64_e32 v[8:9], v[60:61], v[12:13]
	s_delay_alu instid0(VALU_DEP_2) | instskip(NEXT) | instid1(VALU_DEP_2)
	v_fma_f64 v[2:3], v[60:61], v[10:11], -v[2:3]
	v_fmac_f64_e32 v[8:9], v[62:63], v[10:11]
	s_delay_alu instid0(VALU_DEP_2) | instskip(NEXT) | instid1(VALU_DEP_2)
	v_add_f64_e32 v[2:3], v[56:57], v[2:3]
	v_add_f64_e32 v[16:17], v[8:9], v[58:59]
	ds_load_b128 v[56:59], v72 offset:464
	ds_load_b128 v[12:15], v71 offset:14848
	s_wait_dscnt 0x0
	v_mul_f64_e32 v[8:9], v[58:59], v[14:15]
	v_mul_f64_e32 v[10:11], v[56:57], v[14:15]
	s_delay_alu instid0(VALU_DEP_2) | instskip(NEXT) | instid1(VALU_DEP_2)
	v_fma_f64 v[8:9], v[56:57], v[12:13], -v[8:9]
	v_fmac_f64_e32 v[10:11], v[58:59], v[12:13]
	s_delay_alu instid0(VALU_DEP_2) | instskip(NEXT) | instid1(VALU_DEP_2)
	v_add_f64_e32 v[60:61], v[68:69], v[8:9]
	v_add_f64_e32 v[62:63], v[10:11], v[80:81]
	ds_load_b128 v[8:11], v71 offset:15104
	s_wait_dscnt 0x0
	v_mul_f64_e32 v[64:65], v[58:59], v[10:11]
	v_mul_f64_e32 v[66:67], v[56:57], v[10:11]
	s_delay_alu instid0(VALU_DEP_2) | instskip(NEXT) | instid1(VALU_DEP_2)
	v_fma_f64 v[64:65], v[56:57], v[8:9], -v[64:65]
	v_fmac_f64_e32 v[66:67], v[58:59], v[8:9]
	s_delay_alu instid0(VALU_DEP_2) | instskip(NEXT) | instid1(VALU_DEP_2)
	v_add_f64_e32 v[56:57], v[82:83], v[64:65]
	v_add_f64_e32 v[58:59], v[66:67], v[84:85]
	ds_load_b128 v[64:67], v72 offset:8656
	s_wait_dscnt 0x0
	v_mul_f64_e32 v[68:69], v[66:67], v[14:15]
	v_mul_f64_e32 v[14:15], v[64:65], v[14:15]
	s_delay_alu instid0(VALU_DEP_2) | instskip(NEXT) | instid1(VALU_DEP_2)
	v_fma_f64 v[68:69], v[64:65], v[12:13], -v[68:69]
	v_fmac_f64_e32 v[14:15], v[66:67], v[12:13]
	v_mul_f64_e32 v[12:13], v[66:67], v[10:11]
	v_mul_f64_e32 v[10:11], v[64:65], v[10:11]
	s_delay_alu instid0(VALU_DEP_4) | instskip(NEXT) | instid1(VALU_DEP_4)
	v_add_f64_e32 v[68:69], v[18:19], v[68:69]
	v_add_f64_e32 v[54:55], v[14:15], v[54:55]
	s_delay_alu instid0(VALU_DEP_4) | instskip(NEXT) | instid1(VALU_DEP_4)
	v_fma_f64 v[12:13], v[64:65], v[8:9], -v[12:13]
	v_fmac_f64_e32 v[10:11], v[66:67], v[8:9]
	s_delay_alu instid0(VALU_DEP_2)
	v_add_f64_e32 v[2:3], v[2:3], v[12:13]
	ds_load_b128 v[12:15], v72 offset:480
	ds_load_b128 v[64:67], v71 offset:15360
	v_add_f64_e32 v[80:81], v[10:11], v[16:17]
	s_wait_dscnt 0x0
	v_mul_f64_e32 v[8:9], v[14:15], v[66:67]
	v_mul_f64_e32 v[10:11], v[12:13], v[66:67]
	s_delay_alu instid0(VALU_DEP_2) | instskip(NEXT) | instid1(VALU_DEP_2)
	v_fma_f64 v[8:9], v[12:13], v[64:65], -v[8:9]
	v_fmac_f64_e32 v[10:11], v[14:15], v[64:65]
	s_delay_alu instid0(VALU_DEP_2) | instskip(NEXT) | instid1(VALU_DEP_2)
	v_add_f64_e32 v[8:9], v[60:61], v[8:9]
	v_add_f64_e32 v[10:11], v[10:11], v[62:63]
	ds_load_b128 v[60:63], v71 offset:15616
	s_wait_dscnt 0x0
	v_mul_f64_e32 v[16:17], v[14:15], v[62:63]
	s_delay_alu instid0(VALU_DEP_1) | instskip(SKIP_1) | instid1(VALU_DEP_2)
	v_fma_f64 v[16:17], v[12:13], v[60:61], -v[16:17]
	v_mul_f64_e32 v[12:13], v[12:13], v[62:63]
	v_add_f64_e32 v[16:17], v[56:57], v[16:17]
	s_delay_alu instid0(VALU_DEP_2) | instskip(NEXT) | instid1(VALU_DEP_1)
	v_fmac_f64_e32 v[12:13], v[14:15], v[60:61]
	v_add_f64_e32 v[18:19], v[12:13], v[58:59]
	ds_load_b128 v[12:15], v72 offset:8672
	s_wait_dscnt 0x0
	v_mul_f64_e32 v[56:57], v[14:15], v[66:67]
	v_mul_f64_e32 v[58:59], v[12:13], v[66:67]
	s_delay_alu instid0(VALU_DEP_2) | instskip(NEXT) | instid1(VALU_DEP_2)
	v_fma_f64 v[56:57], v[12:13], v[64:65], -v[56:57]
	v_fmac_f64_e32 v[58:59], v[14:15], v[64:65]
	s_delay_alu instid0(VALU_DEP_2) | instskip(NEXT) | instid1(VALU_DEP_2)
	v_add_f64_e32 v[64:65], v[68:69], v[56:57]
	v_add_f64_e32 v[68:69], v[58:59], v[54:55]
	v_mul_f64_e32 v[54:55], v[14:15], v[62:63]
	s_delay_alu instid0(VALU_DEP_1) | instskip(SKIP_1) | instid1(VALU_DEP_2)
	v_fma_f64 v[54:55], v[12:13], v[60:61], -v[54:55]
	v_mul_f64_e32 v[12:13], v[12:13], v[62:63]
	v_add_f64_e32 v[2:3], v[2:3], v[54:55]
	s_delay_alu instid0(VALU_DEP_2) | instskip(NEXT) | instid1(VALU_DEP_1)
	v_fmac_f64_e32 v[12:13], v[14:15], v[60:61]
	v_add_f64_e32 v[62:63], v[12:13], v[80:81]
	ds_load_b128 v[54:57], v72 offset:496
	ds_load_b128 v[12:15], v71 offset:15872
	s_wait_dscnt 0x0
	v_mul_f64_e32 v[58:59], v[56:57], v[14:15]
	v_mul_f64_e32 v[60:61], v[54:55], v[14:15]
	s_delay_alu instid0(VALU_DEP_2) | instskip(NEXT) | instid1(VALU_DEP_2)
	v_fma_f64 v[58:59], v[54:55], v[12:13], -v[58:59]
	v_fmac_f64_e32 v[60:61], v[56:57], v[12:13]
	s_delay_alu instid0(VALU_DEP_2) | instskip(NEXT) | instid1(VALU_DEP_2)
	v_add_f64_e32 v[58:59], v[8:9], v[58:59]
	v_add_f64_e32 v[60:61], v[60:61], v[10:11]
	ds_load_b128 v[8:11], v71 offset:16128
	s_wait_dscnt 0x0
	v_mul_f64_e32 v[66:67], v[56:57], v[10:11]
	v_mul_f64_e32 v[80:81], v[54:55], v[10:11]
	s_delay_alu instid0(VALU_DEP_2) | instskip(NEXT) | instid1(VALU_DEP_2)
	v_fma_f64 v[66:67], v[54:55], v[8:9], -v[66:67]
	v_fmac_f64_e32 v[80:81], v[56:57], v[8:9]
	s_delay_alu instid0(VALU_DEP_2) | instskip(NEXT) | instid1(VALU_DEP_2)
	v_add_f64_e32 v[54:55], v[16:17], v[66:67]
	v_add_f64_e32 v[56:57], v[80:81], v[18:19]
	ds_load_b128 v[16:19], v72 offset:8688
	s_wait_dscnt 0x0
	s_barrier_signal -1
	s_barrier_wait -1
	v_mul_f64_e32 v[66:67], v[18:19], v[14:15]
	v_mul_f64_e32 v[14:15], v[16:17], v[14:15]
	s_delay_alu instid0(VALU_DEP_2) | instskip(NEXT) | instid1(VALU_DEP_2)
	v_fma_f64 v[66:67], v[16:17], v[12:13], -v[66:67]
	v_fmac_f64_e32 v[14:15], v[18:19], v[12:13]
	v_mul_f64_e32 v[12:13], v[18:19], v[10:11]
	v_mul_f64_e32 v[10:11], v[16:17], v[10:11]
	s_delay_alu instid0(VALU_DEP_4) | instskip(NEXT) | instid1(VALU_DEP_4)
	v_add_f64_e32 v[66:67], v[64:65], v[66:67]
	v_add_f64_e32 v[64:65], v[14:15], v[68:69]
	s_delay_alu instid0(VALU_DEP_4) | instskip(NEXT) | instid1(VALU_DEP_4)
	v_fma_f64 v[12:13], v[16:17], v[8:9], -v[12:13]
	v_fmac_f64_e32 v[10:11], v[18:19], v[8:9]
	s_delay_alu instid0(VALU_DEP_2) | instskip(NEXT) | instid1(VALU_DEP_2)
	v_add_f64_e32 v[68:69], v[2:3], v[12:13]
	v_add_f64_e32 v[62:63], v[10:11], v[62:63]
	s_cbranch_scc1 .LBB116_60
.LBB116_11:                             ;   Parent Loop BB116_4 Depth=1
                                        ;     Parent Loop BB116_8 Depth=2
                                        ; =>    This Inner Loop Header: Depth=3
	v_add_nc_u64_e32 v[10:11], s[46:47], v[22:23]
	v_cmp_eq_u64_e64 s7, s[46:47], v[28:29]
	v_add_nc_u64_e32 v[8:9], s[38:39], v[42:43]
	s_delay_alu instid0(VALU_DEP_3) | instskip(SKIP_3) | instid1(SALU_CYCLE_1)
	v_cmp_le_i64_e64 s6, s[42:43], v[10:11]
	v_cmp_lt_i64_e64 s5, v[10:11], v[20:21]
	s_and_b32 s56, s52, s7
	s_or_b32 s7, s6, s5
	s_or_b32 s7, s7, s56
	s_delay_alu instid0(SALU_CYCLE_1) | instskip(NEXT) | instid1(SALU_CYCLE_1)
	s_nor_b32 s7, s0, s7
	s_and_saveexec_b32 s8, s7
	s_delay_alu instid0(SALU_CYCLE_1)
	s_xor_b32 s7, exec_lo, s8
	s_cbranch_execz .LBB116_13
; %bb.12:                               ;   in Loop: Header=BB116_11 Depth=3
	global_load_b128 v[12:15], v[8:9], off
	s_wait_loadcnt 0x0
	v_xor_b32_e32 v15, 0x80000000, v15
	ds_store_b128 v74, v[12:15]
.LBB116_13:                             ;   in Loop: Header=BB116_11 Depth=3
	s_wait_xcnt 0x0
	s_or_saveexec_b32 s7, s7
	s_xor_b32 s55, s56, -1
	s_xor_b32 exec_lo, exec_lo, s7
	s_cbranch_execz .LBB116_19
; %bb.14:                               ;   in Loop: Header=BB116_11 Depth=3
	s_and_saveexec_b32 s8, s55
	s_delay_alu instid0(SALU_CYCLE_1)
	s_xor_b32 s8, exec_lo, s8
; %bb.15:                               ;   in Loop: Header=BB116_11 Depth=3
	v_dual_mov_b32 v12, v0 :: v_dual_mov_b32 v13, v0
	v_dual_mov_b32 v14, v0 :: v_dual_mov_b32 v15, v0
	ds_store_b128 v74, v[12:15]
; %bb.16:                               ;   in Loop: Header=BB116_11 Depth=3
	s_and_not1_saveexec_b32 s8, s8
; %bb.17:                               ;   in Loop: Header=BB116_11 Depth=3
	v_dual_mov_b32 v2, v0 :: v_dual_mov_b32 v3, v0
	ds_store_b128 v74, v[0:3]
; %bb.18:                               ;   in Loop: Header=BB116_11 Depth=3
	s_or_b32 exec_lo, exec_lo, s8
.LBB116_19:                             ;   in Loop: Header=BB116_11 Depth=3
	s_delay_alu instid0(SALU_CYCLE_1)
	s_or_b32 exec_lo, exec_lo, s7
	v_cmp_eq_u64_e64 s7, s[46:47], v[30:31]
	v_cmp_gt_i64_e64 s8, v[26:27], v[10:11]
	v_add_nc_u64_e32 v[12:13], s[38:39], v[44:45]
	s_and_b32 s7, s52, s7
	s_or_b32 s6, s6, s8
	s_delay_alu instid0(SALU_CYCLE_1) | instskip(NEXT) | instid1(SALU_CYCLE_1)
	s_or_b32 s6, s6, s7
	s_nor_b32 s6, s3, s6
	s_delay_alu instid0(SALU_CYCLE_1) | instskip(NEXT) | instid1(SALU_CYCLE_1)
	s_and_saveexec_b32 s8, s6
	s_xor_b32 s6, exec_lo, s8
	s_cbranch_execz .LBB116_21
; %bb.20:                               ;   in Loop: Header=BB116_11 Depth=3
	global_load_b128 v[14:17], v[12:13], off
	s_wait_loadcnt 0x0
	v_xor_b32_e32 v17, 0x80000000, v17
	ds_store_b128 v74, v[14:17] offset:256
.LBB116_21:                             ;   in Loop: Header=BB116_11 Depth=3
	s_wait_xcnt 0x0
	s_and_not1_saveexec_b32 s6, s6
	s_cbranch_execz .LBB116_27
; %bb.22:                               ;   in Loop: Header=BB116_11 Depth=3
	s_xor_b32 s7, s7, -1
	s_delay_alu instid0(SALU_CYCLE_1) | instskip(NEXT) | instid1(SALU_CYCLE_1)
	s_and_saveexec_b32 s8, s7
	s_xor_b32 s7, exec_lo, s8
; %bb.23:                               ;   in Loop: Header=BB116_11 Depth=3
	v_dual_mov_b32 v14, v0 :: v_dual_mov_b32 v15, v0
	v_dual_mov_b32 v16, v0 :: v_dual_mov_b32 v17, v0
	ds_store_b128 v74, v[14:17] offset:256
; %bb.24:                               ;   in Loop: Header=BB116_11 Depth=3
	s_and_not1_saveexec_b32 s7, s7
; %bb.25:                               ;   in Loop: Header=BB116_11 Depth=3
	v_dual_mov_b32 v2, v0 :: v_dual_mov_b32 v3, v0
	ds_store_b128 v74, v[0:3] offset:256
; %bb.26:                               ;   in Loop: Header=BB116_11 Depth=3
	s_or_b32 exec_lo, exec_lo, s7
.LBB116_27:                             ;   in Loop: Header=BB116_11 Depth=3
	s_delay_alu instid0(SALU_CYCLE_1) | instskip(SKIP_2) | instid1(VALU_DEP_2)
	s_or_b32 exec_lo, exec_lo, s6
	v_add_nc_u64_e32 v[2:3], 16, v[10:11]
	v_cmp_eq_u64_e64 s7, s[46:47], v[32:33]
	v_cmp_le_i64_e64 s6, s[42:43], v[2:3]
	v_cmp_lt_i64_e64 s8, v[2:3], v[20:21]
	s_and_b32 s57, s52, s7
	s_or_b32 s7, s6, s8
	s_delay_alu instid0(SALU_CYCLE_1) | instskip(NEXT) | instid1(SALU_CYCLE_1)
	s_or_b32 s7, s7, s57
	s_nor_b32 s7, s0, s7
	s_delay_alu instid0(SALU_CYCLE_1) | instskip(NEXT) | instid1(SALU_CYCLE_1)
	s_and_saveexec_b32 s8, s7
	s_xor_b32 s7, exec_lo, s8
	s_cbranch_execz .LBB116_29
; %bb.28:                               ;   in Loop: Header=BB116_11 Depth=3
	global_load_b128 v[8:11], v[8:9], off offset:256
	s_wait_loadcnt 0x0
	v_xor_b32_e32 v11, 0x80000000, v11
	ds_store_b128 v74, v[8:11] offset:8192
.LBB116_29:                             ;   in Loop: Header=BB116_11 Depth=3
	s_wait_xcnt 0x0
	s_and_not1_saveexec_b32 s7, s7
	s_cbranch_execz .LBB116_35
; %bb.30:                               ;   in Loop: Header=BB116_11 Depth=3
	s_xor_b32 s8, s57, -1
	s_delay_alu instid0(SALU_CYCLE_1) | instskip(NEXT) | instid1(SALU_CYCLE_1)
	s_and_saveexec_b32 s57, s8
	s_xor_b32 s8, exec_lo, s57
; %bb.31:                               ;   in Loop: Header=BB116_11 Depth=3
	v_dual_mov_b32 v8, v0 :: v_dual_mov_b32 v9, v0
	v_dual_mov_b32 v10, v0 :: v_dual_mov_b32 v11, v0
	ds_store_b128 v74, v[8:11] offset:8192
; %bb.32:                               ;   in Loop: Header=BB116_11 Depth=3
	s_and_not1_saveexec_b32 s8, s8
; %bb.33:                               ;   in Loop: Header=BB116_11 Depth=3
	v_dual_mov_b32 v2, v0 :: v_dual_mov_b32 v3, v0
	ds_store_b128 v74, v[0:3] offset:8192
; %bb.34:                               ;   in Loop: Header=BB116_11 Depth=3
	s_or_b32 exec_lo, exec_lo, s8
.LBB116_35:                             ;   in Loop: Header=BB116_11 Depth=3
	s_delay_alu instid0(SALU_CYCLE_1) | instskip(SKIP_1) | instid1(SALU_CYCLE_1)
	s_or_b32 exec_lo, exec_lo, s7
	s_or_b32 s5, s6, s5
	s_or_b32 s5, s5, s56
	s_delay_alu instid0(SALU_CYCLE_1) | instskip(NEXT) | instid1(SALU_CYCLE_1)
	s_nor_b32 s5, s3, s5
	s_and_saveexec_b32 s6, s5
	s_delay_alu instid0(SALU_CYCLE_1)
	s_xor_b32 s5, exec_lo, s6
	s_cbranch_execz .LBB116_37
; %bb.36:                               ;   in Loop: Header=BB116_11 Depth=3
	global_load_b128 v[8:11], v[12:13], off offset:256
	s_wait_loadcnt 0x0
	v_xor_b32_e32 v11, 0x80000000, v11
	ds_store_b128 v74, v[8:11] offset:8448
.LBB116_37:                             ;   in Loop: Header=BB116_11 Depth=3
	s_wait_xcnt 0x0
	s_and_not1_saveexec_b32 s5, s5
	s_cbranch_execz .LBB116_43
; %bb.38:                               ;   in Loop: Header=BB116_11 Depth=3
	s_and_saveexec_b32 s6, s55
	s_delay_alu instid0(SALU_CYCLE_1)
	s_xor_b32 s6, exec_lo, s6
; %bb.39:                               ;   in Loop: Header=BB116_11 Depth=3
	v_dual_mov_b32 v8, v0 :: v_dual_mov_b32 v9, v0
	v_dual_mov_b32 v10, v0 :: v_dual_mov_b32 v11, v0
	ds_store_b128 v74, v[8:11] offset:8448
; %bb.40:                               ;   in Loop: Header=BB116_11 Depth=3
	s_and_not1_saveexec_b32 s6, s6
; %bb.41:                               ;   in Loop: Header=BB116_11 Depth=3
	v_dual_mov_b32 v2, v0 :: v_dual_mov_b32 v3, v0
	ds_store_b128 v74, v[0:3] offset:8448
; %bb.42:                               ;   in Loop: Header=BB116_11 Depth=3
	s_or_b32 exec_lo, exec_lo, s6
.LBB116_43:                             ;   in Loop: Header=BB116_11 Depth=3
	s_delay_alu instid0(SALU_CYCLE_1) | instskip(SKIP_1) | instid1(VALU_DEP_1)
	s_or_b32 exec_lo, exec_lo, s5
	v_add_nc_u64_e32 v[2:3], s[46:47], v[20:21]
	v_cmp_gt_i64_e64 s5, s[42:43], v[2:3]
	s_and_b32 s6, vcc_lo, s5
	s_delay_alu instid0(SALU_CYCLE_1) | instskip(NEXT) | instid1(SALU_CYCLE_1)
	s_xor_b32 s6, s6, -1
	s_and_saveexec_b32 s7, s6
	s_delay_alu instid0(SALU_CYCLE_1)
	s_xor_b32 s6, exec_lo, s7
; %bb.44:                               ;   in Loop: Header=BB116_11 Depth=3
	v_dual_mov_b32 v8, v0 :: v_dual_mov_b32 v9, v0
	v_dual_mov_b32 v10, v0 :: v_dual_mov_b32 v11, v0
	ds_store_b128 v73, v[8:11]
; %bb.45:                               ;   in Loop: Header=BB116_11 Depth=3
	s_or_saveexec_b32 s6, s6
	v_add_nc_u64_e32 v[8:9], s[38:39], v[50:51]
	s_xor_b32 exec_lo, exec_lo, s6
	s_cbranch_execz .LBB116_47
; %bb.46:                               ;   in Loop: Header=BB116_11 Depth=3
	global_load_b128 v[10:13], v[8:9], off offset:-256
	s_wait_loadcnt 0x0
	ds_store_2addr_b64 v73, v[10:11], v[12:13] offset1:1
.LBB116_47:                             ;   in Loop: Header=BB116_11 Depth=3
	s_wait_xcnt 0x0
	s_or_b32 exec_lo, exec_lo, s6
	v_cmp_gt_i64_e64 s6, s[20:21], v[2:3]
	s_and_b32 s7, vcc_lo, s6
	s_delay_alu instid0(SALU_CYCLE_1) | instskip(NEXT) | instid1(SALU_CYCLE_1)
	s_xor_b32 s7, s7, -1
	s_and_saveexec_b32 s8, s7
	s_delay_alu instid0(SALU_CYCLE_1)
	s_xor_b32 s7, exec_lo, s8
; %bb.48:                               ;   in Loop: Header=BB116_11 Depth=3
	v_dual_mov_b32 v8, v0 :: v_dual_mov_b32 v9, v0
	v_dual_mov_b32 v10, v0 :: v_dual_mov_b32 v11, v0
	ds_store_b128 v73, v[8:11] offset:256
                                        ; implicit-def: $vgpr8_vgpr9
; %bb.49:                               ;   in Loop: Header=BB116_11 Depth=3
	s_and_not1_saveexec_b32 s7, s7
	s_cbranch_execz .LBB116_51
; %bb.50:                               ;   in Loop: Header=BB116_11 Depth=3
	global_load_b128 v[8:11], v[8:9], off
	s_wait_loadcnt 0x0
	ds_store_2addr_b64 v75, v[8:9], v[10:11] offset1:1
.LBB116_51:                             ;   in Loop: Header=BB116_11 Depth=3
	s_wait_xcnt 0x0
	s_or_b32 exec_lo, exec_lo, s7
	s_and_b32 s5, s4, s5
	s_delay_alu instid0(SALU_CYCLE_1) | instskip(NEXT) | instid1(SALU_CYCLE_1)
	s_xor_b32 s5, s5, -1
	s_and_saveexec_b32 s7, s5
	s_delay_alu instid0(SALU_CYCLE_1)
	s_xor_b32 s5, exec_lo, s7
; %bb.52:                               ;   in Loop: Header=BB116_11 Depth=3
	v_dual_mov_b32 v8, v0 :: v_dual_mov_b32 v9, v0
	v_dual_mov_b32 v10, v0 :: v_dual_mov_b32 v11, v0
	ds_store_b128 v73, v[8:11] offset:8192
; %bb.53:                               ;   in Loop: Header=BB116_11 Depth=3
	s_or_saveexec_b32 s5, s5
	v_add_nc_u64_e32 v[2:3], s[38:39], v[52:53]
	s_xor_b32 exec_lo, exec_lo, s5
	s_cbranch_execz .LBB116_55
; %bb.54:                               ;   in Loop: Header=BB116_11 Depth=3
	global_load_b128 v[8:11], v[2:3], off offset:-256
	s_wait_loadcnt 0x0
	ds_store_2addr_b64 v76, v[8:9], v[10:11] offset1:1
.LBB116_55:                             ;   in Loop: Header=BB116_11 Depth=3
	s_wait_xcnt 0x0
	s_or_b32 exec_lo, exec_lo, s5
	s_and_b32 s5, s4, s6
	s_delay_alu instid0(SALU_CYCLE_1) | instskip(NEXT) | instid1(SALU_CYCLE_1)
	s_xor_b32 s5, s5, -1
	s_and_saveexec_b32 s6, s5
	s_delay_alu instid0(SALU_CYCLE_1)
	s_xor_b32 s5, exec_lo, s6
; %bb.56:                               ;   in Loop: Header=BB116_11 Depth=3
	v_dual_mov_b32 v8, v0 :: v_dual_mov_b32 v9, v0
	v_dual_mov_b32 v10, v0 :: v_dual_mov_b32 v11, v0
                                        ; implicit-def: $vgpr2_vgpr3
	ds_store_b128 v73, v[8:11] offset:8448
; %bb.57:                               ;   in Loop: Header=BB116_11 Depth=3
	s_and_not1_saveexec_b32 s5, s5
	s_cbranch_execz .LBB116_10
; %bb.58:                               ;   in Loop: Header=BB116_11 Depth=3
	global_load_b128 v[8:11], v[2:3], off
	s_wait_loadcnt 0x0
	ds_store_2addr_b64 v77, v[8:9], v[10:11] offset1:1
	s_branch .LBB116_10
.LBB116_59:                             ;   in Loop: Header=BB116_8 Depth=2
	v_mov_b64_e32 v[58:59], 0
	v_mov_b64_e32 v[60:61], 0
	;; [unrolled: 1-line block ×8, first 2 shown]
.LBB116_60:                             ;   in Loop: Header=BB116_8 Depth=2
	v_mul_u64_e32 v[2:3], s[28:29], v[48:49]
	v_cmp_gt_i32_e32 vcc_lo, s10, v48
	s_and_b32 s5, s1, vcc_lo
	s_delay_alu instid0(VALU_DEP_2)
	v_lshl_add_u64 v[2:3], v[2:3], 4, s[26:27]
	s_and_saveexec_b32 s4, s5
	s_cbranch_execz .LBB116_62
; %bb.61:                               ;   in Loop: Header=BB116_8 Depth=2
	s_delay_alu instid0(VALU_DEP_1)
	v_lshl_add_u64 v[12:13], v[20:21], 4, v[2:3]
	v_mul_f64_e32 v[14:15], v[6:7], v[60:61]
	v_mul_f64_e32 v[16:17], v[4:5], v[60:61]
	global_load_b128 v[8:11], v[12:13], off
	v_fma_f64 v[14:15], v[4:5], v[58:59], -v[14:15]
	v_fmac_f64_e32 v[16:17], v[6:7], v[58:59]
	s_wait_loadcnt 0x0
	s_delay_alu instid0(VALU_DEP_2) | instskip(NEXT) | instid1(VALU_DEP_2)
	v_add_f64_e32 v[8:9], v[8:9], v[14:15]
	v_add_f64_e32 v[10:11], v[16:17], v[10:11]
	global_store_b128 v[12:13], v[8:11], off
.LBB116_62:                             ;   in Loop: Header=BB116_8 Depth=2
	s_wait_xcnt 0x0
	s_or_b32 exec_lo, exec_lo, s4
	s_and_b32 s5, s2, vcc_lo
	s_delay_alu instid0(SALU_CYCLE_1)
	s_and_saveexec_b32 s4, s5
	s_cbranch_execz .LBB116_64
; %bb.63:                               ;   in Loop: Header=BB116_8 Depth=2
	v_lshl_add_u64 v[2:3], v[24:25], 4, v[2:3]
	v_mul_f64_e32 v[12:13], v[6:7], v[56:57]
	v_mul_f64_e32 v[14:15], v[4:5], v[56:57]
	global_load_b128 v[8:11], v[2:3], off
	v_fma_f64 v[12:13], v[4:5], v[54:55], -v[12:13]
	v_fmac_f64_e32 v[14:15], v[6:7], v[54:55]
	s_wait_loadcnt 0x0
	s_delay_alu instid0(VALU_DEP_2) | instskip(NEXT) | instid1(VALU_DEP_2)
	v_add_f64_e32 v[8:9], v[8:9], v[12:13]
	v_add_f64_e32 v[10:11], v[14:15], v[10:11]
	global_store_b128 v[2:3], v[8:11], off
.LBB116_64:                             ;   in Loop: Header=BB116_8 Depth=2
	s_wait_xcnt 0x0
	s_or_b32 exec_lo, exec_lo, s4
	v_add_nc_u32_e32 v2, 16, v48
	s_delay_alu instid0(VALU_DEP_1) | instskip(SKIP_1) | instid1(VALU_DEP_2)
	v_ashrrev_i32_e32 v3, 31, v2
	v_cmp_gt_i32_e32 vcc_lo, s10, v2
	v_mul_u64_e32 v[8:9], s[28:29], v[2:3]
	s_and_b32 s5, s1, vcc_lo
	s_delay_alu instid0(VALU_DEP_1)
	v_lshl_add_u64 v[2:3], v[8:9], 4, s[26:27]
	s_and_saveexec_b32 s4, s5
	s_cbranch_execz .LBB116_66
; %bb.65:                               ;   in Loop: Header=BB116_8 Depth=2
	s_delay_alu instid0(VALU_DEP_1)
	v_lshl_add_u64 v[12:13], v[20:21], 4, v[2:3]
	v_mul_f64_e32 v[14:15], v[6:7], v[64:65]
	v_mul_f64_e32 v[16:17], v[4:5], v[64:65]
	global_load_b128 v[8:11], v[12:13], off
	v_fma_f64 v[14:15], v[4:5], v[66:67], -v[14:15]
	v_fmac_f64_e32 v[16:17], v[6:7], v[66:67]
	s_wait_loadcnt 0x0
	s_delay_alu instid0(VALU_DEP_2) | instskip(NEXT) | instid1(VALU_DEP_2)
	v_add_f64_e32 v[8:9], v[8:9], v[14:15]
	v_add_f64_e32 v[10:11], v[16:17], v[10:11]
	global_store_b128 v[12:13], v[8:11], off
.LBB116_66:                             ;   in Loop: Header=BB116_8 Depth=2
	s_wait_xcnt 0x0
	s_or_b32 exec_lo, exec_lo, s4
	s_and_b32 s5, s2, vcc_lo
	s_delay_alu instid0(SALU_CYCLE_1)
	s_and_saveexec_b32 s4, s5
	s_cbranch_execz .LBB116_7
; %bb.67:                               ;   in Loop: Header=BB116_8 Depth=2
	v_lshl_add_u64 v[2:3], v[24:25], 4, v[2:3]
	v_mul_f64_e32 v[12:13], v[6:7], v[62:63]
	v_mul_f64_e32 v[14:15], v[4:5], v[62:63]
	global_load_b128 v[8:11], v[2:3], off
	v_fma_f64 v[12:13], v[4:5], v[68:69], -v[12:13]
	v_fmac_f64_e32 v[14:15], v[6:7], v[68:69]
	s_wait_loadcnt 0x0
	s_delay_alu instid0(VALU_DEP_2) | instskip(NEXT) | instid1(VALU_DEP_2)
	v_add_f64_e32 v[8:9], v[8:9], v[12:13]
	v_add_f64_e32 v[10:11], v[14:15], v[10:11]
	global_store_b128 v[2:3], v[8:11], off
	s_branch .LBB116_7
.LBB116_68:
	s_sendmsg sendmsg(MSG_DEALLOC_VGPRS)
	s_endpgm
	.section	.rodata,"a",@progbits
	.p2align	6, 0x0
	.amdhsa_kernel _ZL30rocblas_trmm_outofplace_kernelI19rocblas_complex_numIdELi32ELi2ELb1ELb0ELb1ELb1EPKS1_S2_S1_Ev17rocblas_diagonal_iiT6_lPT7_lllS7_lllPT8_llli
		.amdhsa_group_segment_fixed_size 32768
		.amdhsa_private_segment_fixed_size 0
		.amdhsa_kernarg_size 392
		.amdhsa_user_sgpr_count 2
		.amdhsa_user_sgpr_dispatch_ptr 0
		.amdhsa_user_sgpr_queue_ptr 0
		.amdhsa_user_sgpr_kernarg_segment_ptr 1
		.amdhsa_user_sgpr_dispatch_id 0
		.amdhsa_user_sgpr_kernarg_preload_length 0
		.amdhsa_user_sgpr_kernarg_preload_offset 0
		.amdhsa_user_sgpr_private_segment_size 0
		.amdhsa_wavefront_size32 1
		.amdhsa_uses_dynamic_stack 0
		.amdhsa_enable_private_segment 0
		.amdhsa_system_sgpr_workgroup_id_x 1
		.amdhsa_system_sgpr_workgroup_id_y 1
		.amdhsa_system_sgpr_workgroup_id_z 1
		.amdhsa_system_sgpr_workgroup_info 0
		.amdhsa_system_vgpr_workitem_id 1
		.amdhsa_next_free_vgpr 94
		.amdhsa_next_free_sgpr 58
		.amdhsa_named_barrier_count 0
		.amdhsa_reserve_vcc 1
		.amdhsa_float_round_mode_32 0
		.amdhsa_float_round_mode_16_64 0
		.amdhsa_float_denorm_mode_32 3
		.amdhsa_float_denorm_mode_16_64 3
		.amdhsa_fp16_overflow 0
		.amdhsa_memory_ordered 1
		.amdhsa_forward_progress 1
		.amdhsa_inst_pref_size 67
		.amdhsa_round_robin_scheduling 0
		.amdhsa_exception_fp_ieee_invalid_op 0
		.amdhsa_exception_fp_denorm_src 0
		.amdhsa_exception_fp_ieee_div_zero 0
		.amdhsa_exception_fp_ieee_overflow 0
		.amdhsa_exception_fp_ieee_underflow 0
		.amdhsa_exception_fp_ieee_inexact 0
		.amdhsa_exception_int_div_zero 0
	.end_amdhsa_kernel
	.section	.text._ZL30rocblas_trmm_outofplace_kernelI19rocblas_complex_numIdELi32ELi2ELb1ELb0ELb1ELb1EPKS1_S2_S1_Ev17rocblas_diagonal_iiT6_lPT7_lllS7_lllPT8_llli,"axG",@progbits,_ZL30rocblas_trmm_outofplace_kernelI19rocblas_complex_numIdELi32ELi2ELb1ELb0ELb1ELb1EPKS1_S2_S1_Ev17rocblas_diagonal_iiT6_lPT7_lllS7_lllPT8_llli,comdat
.Lfunc_end116:
	.size	_ZL30rocblas_trmm_outofplace_kernelI19rocblas_complex_numIdELi32ELi2ELb1ELb0ELb1ELb1EPKS1_S2_S1_Ev17rocblas_diagonal_iiT6_lPT7_lllS7_lllPT8_llli, .Lfunc_end116-_ZL30rocblas_trmm_outofplace_kernelI19rocblas_complex_numIdELi32ELi2ELb1ELb0ELb1ELb1EPKS1_S2_S1_Ev17rocblas_diagonal_iiT6_lPT7_lllS7_lllPT8_llli
                                        ; -- End function
	.set _ZL30rocblas_trmm_outofplace_kernelI19rocblas_complex_numIdELi32ELi2ELb1ELb0ELb1ELb1EPKS1_S2_S1_Ev17rocblas_diagonal_iiT6_lPT7_lllS7_lllPT8_llli.num_vgpr, 94
	.set _ZL30rocblas_trmm_outofplace_kernelI19rocblas_complex_numIdELi32ELi2ELb1ELb0ELb1ELb1EPKS1_S2_S1_Ev17rocblas_diagonal_iiT6_lPT7_lllS7_lllPT8_llli.num_agpr, 0
	.set _ZL30rocblas_trmm_outofplace_kernelI19rocblas_complex_numIdELi32ELi2ELb1ELb0ELb1ELb1EPKS1_S2_S1_Ev17rocblas_diagonal_iiT6_lPT7_lllS7_lllPT8_llli.numbered_sgpr, 58
	.set _ZL30rocblas_trmm_outofplace_kernelI19rocblas_complex_numIdELi32ELi2ELb1ELb0ELb1ELb1EPKS1_S2_S1_Ev17rocblas_diagonal_iiT6_lPT7_lllS7_lllPT8_llli.num_named_barrier, 0
	.set _ZL30rocblas_trmm_outofplace_kernelI19rocblas_complex_numIdELi32ELi2ELb1ELb0ELb1ELb1EPKS1_S2_S1_Ev17rocblas_diagonal_iiT6_lPT7_lllS7_lllPT8_llli.private_seg_size, 0
	.set _ZL30rocblas_trmm_outofplace_kernelI19rocblas_complex_numIdELi32ELi2ELb1ELb0ELb1ELb1EPKS1_S2_S1_Ev17rocblas_diagonal_iiT6_lPT7_lllS7_lllPT8_llli.uses_vcc, 1
	.set _ZL30rocblas_trmm_outofplace_kernelI19rocblas_complex_numIdELi32ELi2ELb1ELb0ELb1ELb1EPKS1_S2_S1_Ev17rocblas_diagonal_iiT6_lPT7_lllS7_lllPT8_llli.uses_flat_scratch, 0
	.set _ZL30rocblas_trmm_outofplace_kernelI19rocblas_complex_numIdELi32ELi2ELb1ELb0ELb1ELb1EPKS1_S2_S1_Ev17rocblas_diagonal_iiT6_lPT7_lllS7_lllPT8_llli.has_dyn_sized_stack, 0
	.set _ZL30rocblas_trmm_outofplace_kernelI19rocblas_complex_numIdELi32ELi2ELb1ELb0ELb1ELb1EPKS1_S2_S1_Ev17rocblas_diagonal_iiT6_lPT7_lllS7_lllPT8_llli.has_recursion, 0
	.set _ZL30rocblas_trmm_outofplace_kernelI19rocblas_complex_numIdELi32ELi2ELb1ELb0ELb1ELb1EPKS1_S2_S1_Ev17rocblas_diagonal_iiT6_lPT7_lllS7_lllPT8_llli.has_indirect_call, 0
	.section	.AMDGPU.csdata,"",@progbits
; Kernel info:
; codeLenInByte = 8472
; TotalNumSgprs: 60
; NumVgprs: 94
; ScratchSize: 0
; MemoryBound: 0
; FloatMode: 240
; IeeeMode: 1
; LDSByteSize: 32768 bytes/workgroup (compile time only)
; SGPRBlocks: 0
; VGPRBlocks: 5
; NumSGPRsForWavesPerEU: 60
; NumVGPRsForWavesPerEU: 94
; NamedBarCnt: 0
; Occupancy: 10
; WaveLimiterHint : 0
; COMPUTE_PGM_RSRC2:SCRATCH_EN: 0
; COMPUTE_PGM_RSRC2:USER_SGPR: 2
; COMPUTE_PGM_RSRC2:TRAP_HANDLER: 0
; COMPUTE_PGM_RSRC2:TGID_X_EN: 1
; COMPUTE_PGM_RSRC2:TGID_Y_EN: 1
; COMPUTE_PGM_RSRC2:TGID_Z_EN: 1
; COMPUTE_PGM_RSRC2:TIDIG_COMP_CNT: 1
	.section	.text._ZL30rocblas_trmm_outofplace_kernelI19rocblas_complex_numIdELi32ELi2ELb1ELb0ELb1ELb1ES1_KS1_S1_Ev17rocblas_diagonal_iiT6_lPT7_lllS6_lllPT8_llli,"axG",@progbits,_ZL30rocblas_trmm_outofplace_kernelI19rocblas_complex_numIdELi32ELi2ELb1ELb0ELb1ELb1ES1_KS1_S1_Ev17rocblas_diagonal_iiT6_lPT7_lllS6_lllPT8_llli,comdat
	.globl	_ZL30rocblas_trmm_outofplace_kernelI19rocblas_complex_numIdELi32ELi2ELb1ELb0ELb1ELb1ES1_KS1_S1_Ev17rocblas_diagonal_iiT6_lPT7_lllS6_lllPT8_llli ; -- Begin function _ZL30rocblas_trmm_outofplace_kernelI19rocblas_complex_numIdELi32ELi2ELb1ELb0ELb1ELb1ES1_KS1_S1_Ev17rocblas_diagonal_iiT6_lPT7_lllS6_lllPT8_llli
	.p2align	8
	.type	_ZL30rocblas_trmm_outofplace_kernelI19rocblas_complex_numIdELi32ELi2ELb1ELb0ELb1ELb1ES1_KS1_S1_Ev17rocblas_diagonal_iiT6_lPT7_lllS6_lllPT8_llli,@function
_ZL30rocblas_trmm_outofplace_kernelI19rocblas_complex_numIdELi32ELi2ELb1ELb0ELb1ELb1ES1_KS1_S1_Ev17rocblas_diagonal_iiT6_lPT7_lllS6_lllPT8_llli: ; @_ZL30rocblas_trmm_outofplace_kernelI19rocblas_complex_numIdELi32ELi2ELb1ELb0ELb1ELb1ES1_KS1_S1_Ev17rocblas_diagonal_iiT6_lPT7_lllS6_lllPT8_llli
; %bb.0:
	s_load_b32 s33, s[0:1], 0x88
	s_bfe_u32 s2, ttmp6, 0x40014
	s_lshr_b32 s3, ttmp7, 16
	s_add_co_i32 s2, s2, 1
	s_bfe_u32 s5, ttmp6, 0x40008
	s_mul_i32 s4, s3, s2
	s_getreg_b32 s2, hwreg(HW_REG_IB_STS2, 6, 4)
	s_add_co_i32 s5, s5, s4
	s_cmp_eq_u32 s2, 0
	s_cselect_b32 s34, s3, s5
	s_wait_kmcnt 0x0
	s_cmp_ge_u32 s34, s33
	s_cbranch_scc1 .LBB117_67
; %bb.1:
	s_load_b128 s[28:31], s[0:1], 0x10
	s_wait_kmcnt 0x0
	v_cmp_eq_f64_e64 s3, s[28:29], 0
	v_cmp_eq_f64_e64 s4, s[30:31], 0
	s_and_b32 s3, s3, s4
	s_delay_alu instid0(SALU_CYCLE_1)
	s_and_b32 vcc_lo, exec_lo, s3
	s_cbranch_vccnz .LBB117_67
; %bb.2:
	s_load_b96 s[36:38], s[0:1], 0x0
	s_bfe_u32 s4, ttmp6, 0x4000c
	s_bfe_u32 s6, ttmp6, 0x40010
	s_and_b32 s5, ttmp7, 0xffff
	s_add_co_i32 s4, s4, 1
	s_add_co_i32 s6, s6, 1
	s_and_b32 s3, ttmp6, 15
	s_bfe_u32 s7, ttmp6, 0x40004
	s_mul_i32 s4, ttmp9, s4
	s_mul_i32 s6, s5, s6
	s_add_co_i32 s3, s3, s4
	s_add_co_i32 s7, s7, s6
	v_and_b32_e32 v2, 0x3ff, v0
	v_bfe_u32 v66, v0, 10, 10
	s_load_b256 s[20:27], s[0:1], 0x68
	s_add_nc_u64 s[40:41], s[0:1], 0x90
	s_mov_b32 s35, 0
	v_lshlrev_b32_e32 v67, 4, v2
	s_wait_kmcnt 0x0
	s_add_co_i32 s8, s38, -1
	s_mov_b32 s42, s37
	s_ashr_i32 s9, s8, 31
	s_mov_b32 s44, s38
	s_lshr_b32 s9, s9, 27
	s_delay_alu instid0(SALU_CYCLE_1) | instskip(NEXT) | instid1(SALU_CYCLE_1)
	s_add_co_i32 s8, s8, s9
	s_ashr_i32 s39, s8, 5
	s_cmp_eq_u32 s2, 0
	s_cselect_b32 s48, s5, s7
	s_cselect_b32 s2, ttmp9, s3
	s_cmp_le_i32 s48, s39
	s_load_b512 s[4:19], s[0:1], 0x28
	s_cselect_b32 s49, -1, 0
	s_lshl_b32 s43, s2, 5
	s_delay_alu instid0(SALU_CYCLE_1) | instskip(SKIP_3) | instid1(VALU_DEP_3)
	v_dual_lshlrev_b32 v8, 9, v66 :: v_dual_add_nc_u32 v16, s43, v66
	v_add_nc_u32_e32 v14, s43, v2
	s_sub_co_i32 s50, s37, s43
	v_lshl_add_u32 v74, s48, 5, v66
	v_add_nc_u32_e32 v68, 0x4000, v8
	s_cmp_gt_i32 s50, 0
	v_ashrrev_i32_e32 v15, 31, v14
	s_cselect_b32 s51, -1, 0
	s_cmp_eq_u32 s36, 0x84
	v_add_nc_u32_e32 v69, v68, v67
	s_cselect_b32 s52, -1, 0
	v_lshlrev_b64_e32 v[0:1], 4, v[14:15]
	v_dual_add_nc_u32 v70, v67, v8 :: v_dual_add_nc_u32 v18, 16, v14
	v_ashrrev_i32_e32 v17, 31, v16
	v_add_nc_u64_e32 v[20:21], 16, v[14:15]
	s_wait_kmcnt 0x0
	v_mul_u64_e32 v[4:5], s[8:9], v[14:15]
	s_lshl_b64 s[2:3], s[6:7], 4
	v_add_nc_u64_e32 v[2:3], 0x100, v[0:1]
	v_ashrrev_i32_e32 v19, 31, v18
	s_lshl_b64 s[6:7], s[22:23], 4
	s_lshl_b64 s[22:23], s[14:15], 4
	s_add_nc_u64 s[14:15], s[20:21], s[6:7]
	s_add_nc_u64 s[6:7], s[12:13], s[22:23]
	v_sub_nc_u64_e32 v[22:23], v[14:15], v[16:17]
	v_mad_nc_u64_u32 v[6:7], s8, v2, s[2:3]
	v_add_nc_u64_e32 v[0:1], s[6:7], v[0:1]
	s_ashr_i32 s43, s37, 31
	v_add_nc_u32_e32 v71, 0x100, v69
	v_add_nc_u32_e32 v72, 0x2000, v69
	;; [unrolled: 1-line block ×3, first 2 shown]
	v_add_nc_u64_e32 v[24:25], 16, v[22:23]
	v_add_nc_u64_e32 v[26:27], -16, v[22:23]
	v_add_nc_u64_e32 v[28:29], 0x100, v[0:1]
	v_cmp_le_i32_e64 s0, s37, v14
	v_cmp_gt_i32_e64 s1, s37, v14
	v_mad_u32 v2, s9, v2, v7
	v_dual_mov_b32 v0, 0 :: v_dual_mov_b32 v1, 0x3ff00000
	s_ashr_i32 s45, s38, 31
	s_add_nc_u64 s[20:21], s[42:43], -16
	s_lshl_b64 s[12:13], s[18:19], 4
	s_lshl_b64 s[18:19], s[16:17], 4
	;; [unrolled: 1-line block ×3, first 2 shown]
	s_delay_alu instid0(VALU_DEP_2) | instskip(SKIP_4) | instid1(VALU_DEP_3)
	v_mad_u32 v7, s8, v3, v2
	v_lshlrev_b64_e32 v[2:3], 4, v[16:17]
	v_lshl_add_u64 v[4:5], v[4:5], 4, s[2:3]
	v_cmp_le_i64_e64 s3, s[42:43], v[20:21]
	v_cmp_gt_i32_e64 s2, s37, v18
	v_add_nc_u64_e32 v[4:5], v[4:5], v[2:3]
	v_add_nc_u64_e32 v[2:3], v[6:7], v[2:3]
	s_delay_alu instid0(VALU_DEP_2) | instskip(NEXT) | instid1(VALU_DEP_2)
	v_add_nc_u64_e32 v[30:31], s[4:5], v[4:5]
	v_add_nc_u64_e32 v[32:33], s[4:5], v[2:3]
	s_branch .LBB117_4
.LBB117_3:                              ;   in Loop: Header=BB117_4 Depth=1
	s_add_co_i32 s34, s34, 0x10000
	s_delay_alu instid0(SALU_CYCLE_1)
	s_cmp_ge_u32 s34, s33
	s_cbranch_scc1 .LBB117_67
.LBB117_4:                              ; =>This Loop Header: Depth=1
                                        ;     Child Loop BB117_7 Depth 2
                                        ;       Child Loop BB117_10 Depth 3
	s_and_not1_b32 vcc_lo, exec_lo, s49
	s_cbranch_vccnz .LBB117_3
; %bb.5:                                ;   in Loop: Header=BB117_4 Depth=1
	s_load_b32 s9, s[40:41], 0x4
	v_mad_nc_u64_u32 v[34:35], s12, s34, v[28:29]
	v_mad_nc_u64_u32 v[36:37], s10, s34, v[30:31]
	;; [unrolled: 1-line block ×3, first 2 shown]
	s_mul_i32 s6, s11, s34
	s_mul_u64 s[4:5], s[26:27], s[34:35]
	v_mov_b32_e32 v40, v74
	s_lshl_b64 s[4:5], s[4:5], 4
	s_mov_b32 s54, s48
	s_add_nc_u64 s[22:23], s[14:15], s[4:5]
	s_delay_alu instid0(VALU_DEP_4) | instskip(NEXT) | instid1(VALU_DEP_3)
	v_mad_u32 v35, s13, s34, v35
	v_dual_add_nc_u32 v37, s6, v37 :: v_dual_add_nc_u32 v39, s6, v39
	s_wait_kmcnt 0x0
	s_lshl_b32 s53, s9, 5
	s_branch .LBB117_7
.LBB117_6:                              ;   in Loop: Header=BB117_7 Depth=2
	s_wait_xcnt 0x0
	s_or_b32 exec_lo, exec_lo, s4
	v_add_nc_u32_e32 v40, s53, v40
	s_add_co_i32 s54, s9, s54
	s_delay_alu instid0(SALU_CYCLE_1)
	s_cmp_gt_i32 s54, s39
	s_cbranch_scc1 .LBB117_3
.LBB117_7:                              ;   Parent Loop BB117_4 Depth=1
                                        ; =>  This Loop Header: Depth=2
                                        ;       Child Loop BB117_10 Depth 3
	v_lshl_add_u32 v42, s54, 5, v66
	s_and_not1_b32 vcc_lo, exec_lo, s51
	s_delay_alu instid0(VALU_DEP_1)
	v_ashrrev_i32_e32 v43, 31, v42
	s_cbranch_vccnz .LBB117_58
; %bb.8:                                ;   in Loop: Header=BB117_7 Depth=2
	v_ashrrev_i32_e32 v41, 31, v40
	v_mad_nc_u64_u32 v[44:45], s18, v40, v[34:35]
	s_delay_alu instid0(VALU_DEP_3)
	v_sub_nc_u64_e32 v[4:5], s[44:45], v[42:43]
	v_mov_b64_e32 v[56:57], 0
	v_mov_b64_e32 v[64:65], 0
	v_lshl_add_u64 v[2:3], v[40:41], 4, 0x100
	v_mov_b64_e32 v[60:61], 0
	v_mov_b64_e32 v[62:63], 0
	;; [unrolled: 1-line block ×3, first 2 shown]
	v_cmp_lt_i64_e64 s4, 16, v[4:5]
	v_mad_nc_u64_u32 v[46:47], s16, v2, v[34:35]
	v_mov_b64_e32 v[48:49], 0
	v_mad_u32 v6, s19, v40, v45
	v_mov_b64_e32 v[54:55], 0
	v_mov_b64_e32 v[52:53], 0
	s_mov_b64 s[36:37], 0
	s_mov_b64 s[46:47], 0
	v_cmp_lt_i64_e32 vcc_lo, 0, v[4:5]
	v_mad_u32 v2, s17, v2, v47
	v_mad_u32 v45, s18, v41, v6
	s_delay_alu instid0(VALU_DEP_2)
	v_mad_u32 v47, s16, v3, v2
	s_branch .LBB117_10
.LBB117_9:                              ;   in Loop: Header=BB117_10 Depth=3
	s_wait_xcnt 0x0
	s_or_b32 exec_lo, exec_lo, s5
	s_wait_dscnt 0x0
	s_barrier_signal -1
	s_barrier_wait -1
	ds_load_b128 v[76:79], v68
	ds_load_b128 v[10:13], v68 offset:16
	ds_load_b128 v[6:9], v68 offset:32
	;; [unrolled: 1-line block ×3, first 2 shown]
	ds_load_b128 v[80:83], v67
	s_add_nc_u64 s[46:47], s[46:47], 32
	s_add_nc_u64 s[36:37], s[36:37], 0x200
	s_cmp_ge_i32 s46, s50
	s_wait_dscnt 0x0
	v_mul_f64_e32 v[58:59], v[78:79], v[82:83]
	v_mul_f64_e32 v[84:85], v[76:77], v[82:83]
	s_delay_alu instid0(VALU_DEP_2) | instskip(NEXT) | instid1(VALU_DEP_2)
	v_fma_f64 v[58:59], v[76:77], v[80:81], -v[58:59]
	v_fmac_f64_e32 v[84:85], v[78:79], v[80:81]
	s_delay_alu instid0(VALU_DEP_2) | instskip(NEXT) | instid1(VALU_DEP_2)
	v_add_f64_e32 v[58:59], v[52:53], v[58:59]
	v_add_f64_e32 v[84:85], v[84:85], v[54:55]
	ds_load_b128 v[52:55], v67 offset:256
	s_wait_dscnt 0x0
	v_mul_f64_e32 v[86:87], v[78:79], v[54:55]
	s_delay_alu instid0(VALU_DEP_1) | instskip(SKIP_1) | instid1(VALU_DEP_2)
	v_fma_f64 v[86:87], v[76:77], v[52:53], -v[86:87]
	v_mul_f64_e32 v[76:77], v[76:77], v[54:55]
	v_add_f64_e32 v[86:87], v[48:49], v[86:87]
	s_delay_alu instid0(VALU_DEP_2) | instskip(NEXT) | instid1(VALU_DEP_1)
	v_fmac_f64_e32 v[76:77], v[78:79], v[52:53]
	v_add_f64_e32 v[88:89], v[76:77], v[50:51]
	ds_load_b128 v[76:79], v68 offset:8192
	s_wait_dscnt 0x0
	v_mul_f64_e32 v[50:51], v[76:77], v[82:83]
	v_mul_f64_e32 v[48:49], v[78:79], v[82:83]
	s_delay_alu instid0(VALU_DEP_2) | instskip(NEXT) | instid1(VALU_DEP_2)
	v_fmac_f64_e32 v[50:51], v[78:79], v[80:81]
	v_fma_f64 v[48:49], v[76:77], v[80:81], -v[48:49]
	s_delay_alu instid0(VALU_DEP_2) | instskip(SKIP_2) | instid1(VALU_DEP_4)
	v_add_f64_e32 v[50:51], v[50:51], v[60:61]
	v_mul_f64_e32 v[60:61], v[78:79], v[54:55]
	v_mul_f64_e32 v[54:55], v[76:77], v[54:55]
	v_add_f64_e32 v[48:49], v[62:63], v[48:49]
	s_delay_alu instid0(VALU_DEP_3) | instskip(NEXT) | instid1(VALU_DEP_3)
	v_fma_f64 v[60:61], v[76:77], v[52:53], -v[60:61]
	v_fmac_f64_e32 v[54:55], v[78:79], v[52:53]
	ds_load_b128 v[76:79], v67 offset:768
	s_wait_dscnt 0x0
	v_mul_f64_e32 v[80:81], v[10:11], v[78:79]
	v_add_f64_e32 v[52:53], v[64:65], v[60:61]
	ds_load_b128 v[60:63], v67 offset:512
	v_add_f64_e32 v[54:55], v[54:55], v[56:57]
	s_wait_dscnt 0x0
	v_mul_f64_e32 v[56:57], v[12:13], v[62:63]
	v_mul_f64_e32 v[64:65], v[10:11], v[62:63]
	v_fmac_f64_e32 v[80:81], v[12:13], v[76:77]
	s_delay_alu instid0(VALU_DEP_3) | instskip(NEXT) | instid1(VALU_DEP_3)
	v_fma_f64 v[56:57], v[10:11], v[60:61], -v[56:57]
	v_fmac_f64_e32 v[64:65], v[12:13], v[60:61]
	s_delay_alu instid0(VALU_DEP_2) | instskip(NEXT) | instid1(VALU_DEP_2)
	v_add_f64_e32 v[56:57], v[58:59], v[56:57]
	v_add_f64_e32 v[58:59], v[64:65], v[84:85]
	v_mul_f64_e32 v[64:65], v[12:13], v[78:79]
	v_add_f64_e32 v[12:13], v[80:81], v[88:89]
	ds_load_b128 v[80:83], v68 offset:8208
	v_fma_f64 v[64:65], v[10:11], v[76:77], -v[64:65]
	s_delay_alu instid0(VALU_DEP_1) | instskip(SKIP_3) | instid1(VALU_DEP_2)
	v_add_f64_e32 v[10:11], v[86:87], v[64:65]
	s_wait_dscnt 0x0
	v_mul_f64_e32 v[64:65], v[82:83], v[62:63]
	v_mul_f64_e32 v[62:63], v[80:81], v[62:63]
	v_fma_f64 v[64:65], v[80:81], v[60:61], -v[64:65]
	s_delay_alu instid0(VALU_DEP_2) | instskip(SKIP_1) | instid1(VALU_DEP_3)
	v_fmac_f64_e32 v[62:63], v[82:83], v[60:61]
	v_mul_f64_e32 v[60:61], v[82:83], v[78:79]
	v_add_f64_e32 v[48:49], v[48:49], v[64:65]
	s_delay_alu instid0(VALU_DEP_3) | instskip(SKIP_1) | instid1(VALU_DEP_4)
	v_add_f64_e32 v[50:51], v[62:63], v[50:51]
	v_mul_f64_e32 v[62:63], v[80:81], v[78:79]
	v_fma_f64 v[60:61], v[80:81], v[76:77], -v[60:61]
	s_delay_alu instid0(VALU_DEP_2) | instskip(NEXT) | instid1(VALU_DEP_2)
	v_fmac_f64_e32 v[62:63], v[82:83], v[76:77]
	v_add_f64_e32 v[52:53], v[52:53], v[60:61]
	s_delay_alu instid0(VALU_DEP_2) | instskip(SKIP_4) | instid1(VALU_DEP_2)
	v_add_f64_e32 v[54:55], v[62:63], v[54:55]
	ds_load_b128 v[60:63], v67 offset:1024
	s_wait_dscnt 0x0
	v_mul_f64_e32 v[64:65], v[8:9], v[62:63]
	v_mul_f64_e32 v[76:77], v[6:7], v[62:63]
	v_fma_f64 v[64:65], v[6:7], v[60:61], -v[64:65]
	s_delay_alu instid0(VALU_DEP_2) | instskip(NEXT) | instid1(VALU_DEP_2)
	v_fmac_f64_e32 v[76:77], v[8:9], v[60:61]
	v_add_f64_e32 v[64:65], v[56:57], v[64:65]
	s_delay_alu instid0(VALU_DEP_2) | instskip(SKIP_3) | instid1(VALU_DEP_1)
	v_add_f64_e32 v[76:77], v[76:77], v[58:59]
	ds_load_b128 v[56:59], v67 offset:1280
	s_wait_dscnt 0x0
	v_mul_f64_e32 v[78:79], v[8:9], v[58:59]
	v_fma_f64 v[78:79], v[6:7], v[56:57], -v[78:79]
	v_mul_f64_e32 v[6:7], v[6:7], v[58:59]
	s_delay_alu instid0(VALU_DEP_2) | instskip(NEXT) | instid1(VALU_DEP_2)
	v_add_f64_e32 v[78:79], v[10:11], v[78:79]
	v_fmac_f64_e32 v[6:7], v[8:9], v[56:57]
	s_delay_alu instid0(VALU_DEP_1) | instskip(SKIP_4) | instid1(VALU_DEP_2)
	v_add_f64_e32 v[80:81], v[6:7], v[12:13]
	ds_load_b128 v[6:9], v68 offset:8224
	s_wait_dscnt 0x0
	v_mul_f64_e32 v[10:11], v[8:9], v[62:63]
	v_mul_f64_e32 v[12:13], v[6:7], v[62:63]
	v_fma_f64 v[10:11], v[6:7], v[60:61], -v[10:11]
	s_delay_alu instid0(VALU_DEP_2) | instskip(NEXT) | instid1(VALU_DEP_2)
	v_fmac_f64_e32 v[12:13], v[8:9], v[60:61]
	v_add_f64_e32 v[60:61], v[48:49], v[10:11]
	v_mul_f64_e32 v[10:11], v[8:9], v[58:59]
	s_delay_alu instid0(VALU_DEP_3) | instskip(SKIP_3) | instid1(VALU_DEP_1)
	v_add_f64_e32 v[62:63], v[12:13], v[50:51]
	ds_load_b128 v[48:51], v67 offset:1792
	v_fma_f64 v[10:11], v[6:7], v[56:57], -v[10:11]
	v_mul_f64_e32 v[6:7], v[6:7], v[58:59]
	v_fmac_f64_e32 v[6:7], v[8:9], v[56:57]
	s_delay_alu instid0(VALU_DEP_3)
	v_add_f64_e32 v[56:57], v[52:53], v[10:11]
	ds_load_b128 v[10:13], v67 offset:1536
	s_wait_dscnt 0x1
	v_mul_f64_e32 v[52:53], v[4:5], v[50:51]
	s_wait_dscnt 0x0
	v_mul_f64_e32 v[8:9], v[2:3], v[12:13]
	v_add_f64_e32 v[58:59], v[6:7], v[54:55]
	v_mul_f64_e32 v[54:55], v[2:3], v[50:51]
	v_mul_f64_e32 v[6:7], v[4:5], v[12:13]
	v_fma_f64 v[52:53], v[2:3], v[48:49], -v[52:53]
	v_fmac_f64_e32 v[8:9], v[4:5], v[10:11]
	s_delay_alu instid0(VALU_DEP_4) | instskip(NEXT) | instid1(VALU_DEP_4)
	v_fmac_f64_e32 v[54:55], v[4:5], v[48:49]
	v_fma_f64 v[6:7], v[2:3], v[10:11], -v[6:7]
	s_delay_alu instid0(VALU_DEP_4) | instskip(NEXT) | instid1(VALU_DEP_4)
	v_add_f64_e32 v[2:3], v[78:79], v[52:53]
	v_add_f64_e32 v[8:9], v[8:9], v[76:77]
	s_delay_alu instid0(VALU_DEP_4)
	v_add_f64_e32 v[4:5], v[54:55], v[80:81]
	ds_load_b128 v[52:55], v68 offset:8240
	v_add_f64_e32 v[6:7], v[64:65], v[6:7]
	s_wait_dscnt 0x0
	v_mul_f64_e32 v[64:65], v[54:55], v[12:13]
	v_mul_f64_e32 v[12:13], v[52:53], v[12:13]
	s_delay_alu instid0(VALU_DEP_2) | instskip(NEXT) | instid1(VALU_DEP_2)
	v_fma_f64 v[64:65], v[52:53], v[10:11], -v[64:65]
	v_fmac_f64_e32 v[12:13], v[54:55], v[10:11]
	s_delay_alu instid0(VALU_DEP_2) | instskip(SKIP_2) | instid1(VALU_DEP_4)
	v_add_f64_e32 v[10:11], v[60:61], v[64:65]
	v_mul_f64_e32 v[60:61], v[54:55], v[50:51]
	v_mul_f64_e32 v[50:51], v[52:53], v[50:51]
	v_add_f64_e32 v[12:13], v[12:13], v[62:63]
	s_delay_alu instid0(VALU_DEP_3) | instskip(NEXT) | instid1(VALU_DEP_3)
	v_fma_f64 v[60:61], v[52:53], v[48:49], -v[60:61]
	v_fmac_f64_e32 v[50:51], v[54:55], v[48:49]
	s_delay_alu instid0(VALU_DEP_2) | instskip(NEXT) | instid1(VALU_DEP_2)
	v_add_f64_e32 v[48:49], v[56:57], v[60:61]
	v_add_f64_e32 v[50:51], v[50:51], v[58:59]
	ds_load_b128 v[52:55], v68 offset:64
	ds_load_b128 v[56:59], v67 offset:2048
	s_wait_dscnt 0x0
	v_mul_f64_e32 v[60:61], v[54:55], v[58:59]
	v_mul_f64_e32 v[62:63], v[52:53], v[58:59]
	s_delay_alu instid0(VALU_DEP_2) | instskip(NEXT) | instid1(VALU_DEP_2)
	v_fma_f64 v[60:61], v[52:53], v[56:57], -v[60:61]
	v_fmac_f64_e32 v[62:63], v[54:55], v[56:57]
	s_delay_alu instid0(VALU_DEP_2) | instskip(NEXT) | instid1(VALU_DEP_2)
	v_add_f64_e32 v[60:61], v[6:7], v[60:61]
	v_add_f64_e32 v[62:63], v[62:63], v[8:9]
	ds_load_b128 v[6:9], v67 offset:2304
	s_wait_dscnt 0x0
	v_mul_f64_e32 v[64:65], v[54:55], v[8:9]
	s_delay_alu instid0(VALU_DEP_1) | instskip(SKIP_1) | instid1(VALU_DEP_2)
	v_fma_f64 v[64:65], v[52:53], v[6:7], -v[64:65]
	v_mul_f64_e32 v[52:53], v[52:53], v[8:9]
	v_add_f64_e32 v[64:65], v[2:3], v[64:65]
	s_delay_alu instid0(VALU_DEP_2) | instskip(NEXT) | instid1(VALU_DEP_1)
	v_fmac_f64_e32 v[52:53], v[54:55], v[6:7]
	v_add_f64_e32 v[76:77], v[52:53], v[4:5]
	ds_load_b128 v[2:5], v68 offset:8256
	s_wait_dscnt 0x0
	v_mul_f64_e32 v[52:53], v[4:5], v[58:59]
	v_mul_f64_e32 v[54:55], v[2:3], v[58:59]
	s_delay_alu instid0(VALU_DEP_2) | instskip(NEXT) | instid1(VALU_DEP_2)
	v_fma_f64 v[52:53], v[2:3], v[56:57], -v[52:53]
	v_fmac_f64_e32 v[54:55], v[4:5], v[56:57]
	s_delay_alu instid0(VALU_DEP_2) | instskip(SKIP_1) | instid1(VALU_DEP_3)
	v_add_f64_e32 v[10:11], v[10:11], v[52:53]
	v_mul_f64_e32 v[52:53], v[4:5], v[8:9]
	v_add_f64_e32 v[12:13], v[54:55], v[12:13]
	s_delay_alu instid0(VALU_DEP_2) | instskip(SKIP_1) | instid1(VALU_DEP_2)
	v_fma_f64 v[52:53], v[2:3], v[6:7], -v[52:53]
	v_mul_f64_e32 v[2:3], v[2:3], v[8:9]
	v_add_f64_e32 v[48:49], v[48:49], v[52:53]
	s_delay_alu instid0(VALU_DEP_2) | instskip(NEXT) | instid1(VALU_DEP_1)
	v_fmac_f64_e32 v[2:3], v[4:5], v[6:7]
	v_add_f64_e32 v[50:51], v[2:3], v[50:51]
	ds_load_b128 v[2:5], v68 offset:80
	ds_load_b128 v[52:55], v67 offset:2560
	;; [unrolled: 1-line block ×3, first 2 shown]
	s_wait_dscnt 0x1
	v_mul_f64_e32 v[6:7], v[4:5], v[54:55]
	v_mul_f64_e32 v[8:9], v[2:3], v[54:55]
	s_delay_alu instid0(VALU_DEP_2) | instskip(NEXT) | instid1(VALU_DEP_2)
	v_fma_f64 v[6:7], v[2:3], v[52:53], -v[6:7]
	v_fmac_f64_e32 v[8:9], v[4:5], v[52:53]
	s_delay_alu instid0(VALU_DEP_2) | instskip(NEXT) | instid1(VALU_DEP_2)
	v_add_f64_e32 v[6:7], v[60:61], v[6:7]
	v_add_f64_e32 v[8:9], v[8:9], v[62:63]
	s_wait_dscnt 0x0
	v_mul_f64_e32 v[60:61], v[4:5], v[58:59]
	v_mul_f64_e32 v[62:63], v[2:3], v[58:59]
	s_delay_alu instid0(VALU_DEP_2) | instskip(NEXT) | instid1(VALU_DEP_2)
	v_fma_f64 v[60:61], v[2:3], v[56:57], -v[60:61]
	v_fmac_f64_e32 v[62:63], v[4:5], v[56:57]
	s_delay_alu instid0(VALU_DEP_2) | instskip(NEXT) | instid1(VALU_DEP_2)
	v_add_f64_e32 v[2:3], v[64:65], v[60:61]
	v_add_f64_e32 v[4:5], v[62:63], v[76:77]
	ds_load_b128 v[60:63], v68 offset:8272
	s_wait_dscnt 0x0
	v_mul_f64_e32 v[64:65], v[62:63], v[54:55]
	v_mul_f64_e32 v[54:55], v[60:61], v[54:55]
	s_delay_alu instid0(VALU_DEP_2) | instskip(NEXT) | instid1(VALU_DEP_2)
	v_fma_f64 v[64:65], v[60:61], v[52:53], -v[64:65]
	v_fmac_f64_e32 v[54:55], v[62:63], v[52:53]
	v_mul_f64_e32 v[52:53], v[62:63], v[58:59]
	s_delay_alu instid0(VALU_DEP_3) | instskip(NEXT) | instid1(VALU_DEP_3)
	v_add_f64_e32 v[10:11], v[10:11], v[64:65]
	v_add_f64_e32 v[12:13], v[54:55], v[12:13]
	v_mul_f64_e32 v[54:55], v[60:61], v[58:59]
	s_delay_alu instid0(VALU_DEP_4) | instskip(NEXT) | instid1(VALU_DEP_2)
	v_fma_f64 v[52:53], v[60:61], v[56:57], -v[52:53]
	v_fmac_f64_e32 v[54:55], v[62:63], v[56:57]
	s_delay_alu instid0(VALU_DEP_2) | instskip(NEXT) | instid1(VALU_DEP_2)
	v_add_f64_e32 v[48:49], v[48:49], v[52:53]
	v_add_f64_e32 v[50:51], v[54:55], v[50:51]
	ds_load_b128 v[52:55], v68 offset:96
	ds_load_b128 v[56:59], v67 offset:3072
	s_wait_dscnt 0x0
	v_mul_f64_e32 v[60:61], v[54:55], v[58:59]
	v_mul_f64_e32 v[62:63], v[52:53], v[58:59]
	s_delay_alu instid0(VALU_DEP_2) | instskip(NEXT) | instid1(VALU_DEP_2)
	v_fma_f64 v[60:61], v[52:53], v[56:57], -v[60:61]
	v_fmac_f64_e32 v[62:63], v[54:55], v[56:57]
	s_delay_alu instid0(VALU_DEP_2) | instskip(NEXT) | instid1(VALU_DEP_2)
	v_add_f64_e32 v[60:61], v[6:7], v[60:61]
	v_add_f64_e32 v[62:63], v[62:63], v[8:9]
	ds_load_b128 v[6:9], v67 offset:3328
	s_wait_dscnt 0x0
	v_mul_f64_e32 v[64:65], v[54:55], v[8:9]
	s_delay_alu instid0(VALU_DEP_1) | instskip(SKIP_1) | instid1(VALU_DEP_2)
	v_fma_f64 v[64:65], v[52:53], v[6:7], -v[64:65]
	v_mul_f64_e32 v[52:53], v[52:53], v[8:9]
	v_add_f64_e32 v[64:65], v[2:3], v[64:65]
	s_delay_alu instid0(VALU_DEP_2) | instskip(NEXT) | instid1(VALU_DEP_1)
	v_fmac_f64_e32 v[52:53], v[54:55], v[6:7]
	v_add_f64_e32 v[76:77], v[52:53], v[4:5]
	ds_load_b128 v[2:5], v68 offset:8288
	s_wait_dscnt 0x0
	v_mul_f64_e32 v[52:53], v[4:5], v[58:59]
	v_mul_f64_e32 v[54:55], v[2:3], v[58:59]
	s_delay_alu instid0(VALU_DEP_2) | instskip(NEXT) | instid1(VALU_DEP_2)
	v_fma_f64 v[52:53], v[2:3], v[56:57], -v[52:53]
	v_fmac_f64_e32 v[54:55], v[4:5], v[56:57]
	s_delay_alu instid0(VALU_DEP_2) | instskip(SKIP_1) | instid1(VALU_DEP_3)
	v_add_f64_e32 v[10:11], v[10:11], v[52:53]
	v_mul_f64_e32 v[52:53], v[4:5], v[8:9]
	v_add_f64_e32 v[12:13], v[54:55], v[12:13]
	s_delay_alu instid0(VALU_DEP_2) | instskip(SKIP_1) | instid1(VALU_DEP_2)
	v_fma_f64 v[52:53], v[2:3], v[6:7], -v[52:53]
	v_mul_f64_e32 v[2:3], v[2:3], v[8:9]
	v_add_f64_e32 v[48:49], v[48:49], v[52:53]
	s_delay_alu instid0(VALU_DEP_2) | instskip(NEXT) | instid1(VALU_DEP_1)
	v_fmac_f64_e32 v[2:3], v[4:5], v[6:7]
	v_add_f64_e32 v[50:51], v[2:3], v[50:51]
	ds_load_b128 v[2:5], v68 offset:112
	ds_load_b128 v[52:55], v67 offset:3584
	ds_load_b128 v[56:59], v67 offset:3840
	s_wait_dscnt 0x1
	v_mul_f64_e32 v[6:7], v[4:5], v[54:55]
	v_mul_f64_e32 v[8:9], v[2:3], v[54:55]
	s_delay_alu instid0(VALU_DEP_2) | instskip(NEXT) | instid1(VALU_DEP_2)
	v_fma_f64 v[6:7], v[2:3], v[52:53], -v[6:7]
	v_fmac_f64_e32 v[8:9], v[4:5], v[52:53]
	s_delay_alu instid0(VALU_DEP_2) | instskip(NEXT) | instid1(VALU_DEP_2)
	v_add_f64_e32 v[6:7], v[60:61], v[6:7]
	v_add_f64_e32 v[8:9], v[8:9], v[62:63]
	s_wait_dscnt 0x0
	v_mul_f64_e32 v[60:61], v[4:5], v[58:59]
	v_mul_f64_e32 v[62:63], v[2:3], v[58:59]
	s_delay_alu instid0(VALU_DEP_2) | instskip(NEXT) | instid1(VALU_DEP_2)
	v_fma_f64 v[60:61], v[2:3], v[56:57], -v[60:61]
	v_fmac_f64_e32 v[62:63], v[4:5], v[56:57]
	s_delay_alu instid0(VALU_DEP_2) | instskip(NEXT) | instid1(VALU_DEP_2)
	v_add_f64_e32 v[2:3], v[64:65], v[60:61]
	v_add_f64_e32 v[4:5], v[62:63], v[76:77]
	ds_load_b128 v[60:63], v68 offset:8304
	s_wait_dscnt 0x0
	v_mul_f64_e32 v[64:65], v[62:63], v[54:55]
	v_mul_f64_e32 v[54:55], v[60:61], v[54:55]
	s_delay_alu instid0(VALU_DEP_2) | instskip(NEXT) | instid1(VALU_DEP_2)
	v_fma_f64 v[64:65], v[60:61], v[52:53], -v[64:65]
	v_fmac_f64_e32 v[54:55], v[62:63], v[52:53]
	v_mul_f64_e32 v[52:53], v[62:63], v[58:59]
	s_delay_alu instid0(VALU_DEP_3) | instskip(NEXT) | instid1(VALU_DEP_3)
	v_add_f64_e32 v[10:11], v[10:11], v[64:65]
	v_add_f64_e32 v[12:13], v[54:55], v[12:13]
	v_mul_f64_e32 v[54:55], v[60:61], v[58:59]
	s_delay_alu instid0(VALU_DEP_4) | instskip(NEXT) | instid1(VALU_DEP_2)
	v_fma_f64 v[52:53], v[60:61], v[56:57], -v[52:53]
	v_fmac_f64_e32 v[54:55], v[62:63], v[56:57]
	s_delay_alu instid0(VALU_DEP_2) | instskip(NEXT) | instid1(VALU_DEP_2)
	v_add_f64_e32 v[48:49], v[48:49], v[52:53]
	v_add_f64_e32 v[50:51], v[54:55], v[50:51]
	ds_load_b128 v[52:55], v68 offset:128
	ds_load_b128 v[56:59], v67 offset:4096
	s_wait_dscnt 0x0
	v_mul_f64_e32 v[60:61], v[54:55], v[58:59]
	v_mul_f64_e32 v[62:63], v[52:53], v[58:59]
	s_delay_alu instid0(VALU_DEP_2) | instskip(NEXT) | instid1(VALU_DEP_2)
	v_fma_f64 v[60:61], v[52:53], v[56:57], -v[60:61]
	v_fmac_f64_e32 v[62:63], v[54:55], v[56:57]
	s_delay_alu instid0(VALU_DEP_2) | instskip(NEXT) | instid1(VALU_DEP_2)
	v_add_f64_e32 v[60:61], v[6:7], v[60:61]
	v_add_f64_e32 v[62:63], v[62:63], v[8:9]
	ds_load_b128 v[6:9], v67 offset:4352
	s_wait_dscnt 0x0
	v_mul_f64_e32 v[64:65], v[54:55], v[8:9]
	s_delay_alu instid0(VALU_DEP_1) | instskip(SKIP_1) | instid1(VALU_DEP_2)
	v_fma_f64 v[64:65], v[52:53], v[6:7], -v[64:65]
	v_mul_f64_e32 v[52:53], v[52:53], v[8:9]
	v_add_f64_e32 v[64:65], v[2:3], v[64:65]
	s_delay_alu instid0(VALU_DEP_2) | instskip(NEXT) | instid1(VALU_DEP_1)
	v_fmac_f64_e32 v[52:53], v[54:55], v[6:7]
	v_add_f64_e32 v[76:77], v[52:53], v[4:5]
	ds_load_b128 v[2:5], v68 offset:8320
	s_wait_dscnt 0x0
	v_mul_f64_e32 v[52:53], v[4:5], v[58:59]
	v_mul_f64_e32 v[54:55], v[2:3], v[58:59]
	s_delay_alu instid0(VALU_DEP_2) | instskip(NEXT) | instid1(VALU_DEP_2)
	v_fma_f64 v[52:53], v[2:3], v[56:57], -v[52:53]
	v_fmac_f64_e32 v[54:55], v[4:5], v[56:57]
	s_delay_alu instid0(VALU_DEP_2) | instskip(SKIP_1) | instid1(VALU_DEP_3)
	v_add_f64_e32 v[10:11], v[10:11], v[52:53]
	v_mul_f64_e32 v[52:53], v[4:5], v[8:9]
	v_add_f64_e32 v[12:13], v[54:55], v[12:13]
	s_delay_alu instid0(VALU_DEP_2) | instskip(SKIP_1) | instid1(VALU_DEP_2)
	v_fma_f64 v[52:53], v[2:3], v[6:7], -v[52:53]
	v_mul_f64_e32 v[2:3], v[2:3], v[8:9]
	v_add_f64_e32 v[48:49], v[48:49], v[52:53]
	s_delay_alu instid0(VALU_DEP_2) | instskip(NEXT) | instid1(VALU_DEP_1)
	v_fmac_f64_e32 v[2:3], v[4:5], v[6:7]
	v_add_f64_e32 v[50:51], v[2:3], v[50:51]
	ds_load_b128 v[2:5], v68 offset:144
	ds_load_b128 v[52:55], v67 offset:4608
	;; [unrolled: 1-line block ×3, first 2 shown]
	s_wait_dscnt 0x1
	v_mul_f64_e32 v[6:7], v[4:5], v[54:55]
	v_mul_f64_e32 v[8:9], v[2:3], v[54:55]
	s_delay_alu instid0(VALU_DEP_2) | instskip(NEXT) | instid1(VALU_DEP_2)
	v_fma_f64 v[6:7], v[2:3], v[52:53], -v[6:7]
	v_fmac_f64_e32 v[8:9], v[4:5], v[52:53]
	s_delay_alu instid0(VALU_DEP_2) | instskip(NEXT) | instid1(VALU_DEP_2)
	v_add_f64_e32 v[6:7], v[60:61], v[6:7]
	v_add_f64_e32 v[8:9], v[8:9], v[62:63]
	s_wait_dscnt 0x0
	v_mul_f64_e32 v[60:61], v[4:5], v[58:59]
	v_mul_f64_e32 v[62:63], v[2:3], v[58:59]
	s_delay_alu instid0(VALU_DEP_2) | instskip(NEXT) | instid1(VALU_DEP_2)
	v_fma_f64 v[60:61], v[2:3], v[56:57], -v[60:61]
	v_fmac_f64_e32 v[62:63], v[4:5], v[56:57]
	s_delay_alu instid0(VALU_DEP_2) | instskip(NEXT) | instid1(VALU_DEP_2)
	v_add_f64_e32 v[2:3], v[64:65], v[60:61]
	v_add_f64_e32 v[4:5], v[62:63], v[76:77]
	ds_load_b128 v[60:63], v68 offset:8336
	s_wait_dscnt 0x0
	v_mul_f64_e32 v[64:65], v[62:63], v[54:55]
	v_mul_f64_e32 v[54:55], v[60:61], v[54:55]
	s_delay_alu instid0(VALU_DEP_2) | instskip(NEXT) | instid1(VALU_DEP_2)
	v_fma_f64 v[64:65], v[60:61], v[52:53], -v[64:65]
	v_fmac_f64_e32 v[54:55], v[62:63], v[52:53]
	v_mul_f64_e32 v[52:53], v[62:63], v[58:59]
	s_delay_alu instid0(VALU_DEP_3) | instskip(NEXT) | instid1(VALU_DEP_3)
	v_add_f64_e32 v[10:11], v[10:11], v[64:65]
	v_add_f64_e32 v[12:13], v[54:55], v[12:13]
	v_mul_f64_e32 v[54:55], v[60:61], v[58:59]
	s_delay_alu instid0(VALU_DEP_4) | instskip(NEXT) | instid1(VALU_DEP_2)
	v_fma_f64 v[52:53], v[60:61], v[56:57], -v[52:53]
	v_fmac_f64_e32 v[54:55], v[62:63], v[56:57]
	s_delay_alu instid0(VALU_DEP_2) | instskip(NEXT) | instid1(VALU_DEP_2)
	v_add_f64_e32 v[48:49], v[48:49], v[52:53]
	v_add_f64_e32 v[50:51], v[54:55], v[50:51]
	ds_load_b128 v[52:55], v68 offset:160
	ds_load_b128 v[56:59], v67 offset:5120
	s_wait_dscnt 0x0
	v_mul_f64_e32 v[60:61], v[54:55], v[58:59]
	v_mul_f64_e32 v[62:63], v[52:53], v[58:59]
	s_delay_alu instid0(VALU_DEP_2) | instskip(NEXT) | instid1(VALU_DEP_2)
	v_fma_f64 v[60:61], v[52:53], v[56:57], -v[60:61]
	v_fmac_f64_e32 v[62:63], v[54:55], v[56:57]
	s_delay_alu instid0(VALU_DEP_2) | instskip(NEXT) | instid1(VALU_DEP_2)
	v_add_f64_e32 v[60:61], v[6:7], v[60:61]
	v_add_f64_e32 v[62:63], v[62:63], v[8:9]
	ds_load_b128 v[6:9], v67 offset:5376
	s_wait_dscnt 0x0
	v_mul_f64_e32 v[64:65], v[54:55], v[8:9]
	s_delay_alu instid0(VALU_DEP_1) | instskip(SKIP_1) | instid1(VALU_DEP_2)
	v_fma_f64 v[64:65], v[52:53], v[6:7], -v[64:65]
	v_mul_f64_e32 v[52:53], v[52:53], v[8:9]
	v_add_f64_e32 v[64:65], v[2:3], v[64:65]
	s_delay_alu instid0(VALU_DEP_2) | instskip(NEXT) | instid1(VALU_DEP_1)
	v_fmac_f64_e32 v[52:53], v[54:55], v[6:7]
	v_add_f64_e32 v[76:77], v[52:53], v[4:5]
	ds_load_b128 v[2:5], v68 offset:8352
	s_wait_dscnt 0x0
	v_mul_f64_e32 v[52:53], v[4:5], v[58:59]
	v_mul_f64_e32 v[54:55], v[2:3], v[58:59]
	s_delay_alu instid0(VALU_DEP_2) | instskip(NEXT) | instid1(VALU_DEP_2)
	v_fma_f64 v[52:53], v[2:3], v[56:57], -v[52:53]
	v_fmac_f64_e32 v[54:55], v[4:5], v[56:57]
	s_delay_alu instid0(VALU_DEP_2) | instskip(SKIP_1) | instid1(VALU_DEP_3)
	v_add_f64_e32 v[10:11], v[10:11], v[52:53]
	v_mul_f64_e32 v[52:53], v[4:5], v[8:9]
	v_add_f64_e32 v[12:13], v[54:55], v[12:13]
	s_delay_alu instid0(VALU_DEP_2) | instskip(SKIP_1) | instid1(VALU_DEP_2)
	v_fma_f64 v[52:53], v[2:3], v[6:7], -v[52:53]
	v_mul_f64_e32 v[2:3], v[2:3], v[8:9]
	v_add_f64_e32 v[48:49], v[48:49], v[52:53]
	s_delay_alu instid0(VALU_DEP_2) | instskip(NEXT) | instid1(VALU_DEP_1)
	v_fmac_f64_e32 v[2:3], v[4:5], v[6:7]
	v_add_f64_e32 v[50:51], v[2:3], v[50:51]
	ds_load_b128 v[2:5], v68 offset:176
	ds_load_b128 v[52:55], v67 offset:5632
	;; [unrolled: 1-line block ×3, first 2 shown]
	s_wait_dscnt 0x1
	v_mul_f64_e32 v[6:7], v[4:5], v[54:55]
	v_mul_f64_e32 v[8:9], v[2:3], v[54:55]
	s_delay_alu instid0(VALU_DEP_2) | instskip(NEXT) | instid1(VALU_DEP_2)
	v_fma_f64 v[6:7], v[2:3], v[52:53], -v[6:7]
	v_fmac_f64_e32 v[8:9], v[4:5], v[52:53]
	s_delay_alu instid0(VALU_DEP_2) | instskip(NEXT) | instid1(VALU_DEP_2)
	v_add_f64_e32 v[6:7], v[60:61], v[6:7]
	v_add_f64_e32 v[8:9], v[8:9], v[62:63]
	s_wait_dscnt 0x0
	v_mul_f64_e32 v[60:61], v[4:5], v[58:59]
	v_mul_f64_e32 v[62:63], v[2:3], v[58:59]
	s_delay_alu instid0(VALU_DEP_2) | instskip(NEXT) | instid1(VALU_DEP_2)
	v_fma_f64 v[60:61], v[2:3], v[56:57], -v[60:61]
	v_fmac_f64_e32 v[62:63], v[4:5], v[56:57]
	s_delay_alu instid0(VALU_DEP_2) | instskip(NEXT) | instid1(VALU_DEP_2)
	v_add_f64_e32 v[2:3], v[64:65], v[60:61]
	v_add_f64_e32 v[4:5], v[62:63], v[76:77]
	ds_load_b128 v[60:63], v68 offset:8368
	s_wait_dscnt 0x0
	v_mul_f64_e32 v[64:65], v[62:63], v[54:55]
	v_mul_f64_e32 v[54:55], v[60:61], v[54:55]
	s_delay_alu instid0(VALU_DEP_2) | instskip(NEXT) | instid1(VALU_DEP_2)
	v_fma_f64 v[64:65], v[60:61], v[52:53], -v[64:65]
	v_fmac_f64_e32 v[54:55], v[62:63], v[52:53]
	v_mul_f64_e32 v[52:53], v[62:63], v[58:59]
	s_delay_alu instid0(VALU_DEP_3) | instskip(NEXT) | instid1(VALU_DEP_3)
	v_add_f64_e32 v[10:11], v[10:11], v[64:65]
	v_add_f64_e32 v[12:13], v[54:55], v[12:13]
	v_mul_f64_e32 v[54:55], v[60:61], v[58:59]
	s_delay_alu instid0(VALU_DEP_4) | instskip(NEXT) | instid1(VALU_DEP_2)
	v_fma_f64 v[52:53], v[60:61], v[56:57], -v[52:53]
	v_fmac_f64_e32 v[54:55], v[62:63], v[56:57]
	s_delay_alu instid0(VALU_DEP_2) | instskip(NEXT) | instid1(VALU_DEP_2)
	v_add_f64_e32 v[48:49], v[48:49], v[52:53]
	v_add_f64_e32 v[50:51], v[54:55], v[50:51]
	ds_load_b128 v[52:55], v68 offset:192
	ds_load_b128 v[56:59], v67 offset:6144
	s_wait_dscnt 0x0
	v_mul_f64_e32 v[60:61], v[54:55], v[58:59]
	v_mul_f64_e32 v[62:63], v[52:53], v[58:59]
	s_delay_alu instid0(VALU_DEP_2) | instskip(NEXT) | instid1(VALU_DEP_2)
	v_fma_f64 v[60:61], v[52:53], v[56:57], -v[60:61]
	v_fmac_f64_e32 v[62:63], v[54:55], v[56:57]
	s_delay_alu instid0(VALU_DEP_2) | instskip(NEXT) | instid1(VALU_DEP_2)
	v_add_f64_e32 v[60:61], v[6:7], v[60:61]
	v_add_f64_e32 v[62:63], v[62:63], v[8:9]
	ds_load_b128 v[6:9], v67 offset:6400
	s_wait_dscnt 0x0
	v_mul_f64_e32 v[64:65], v[54:55], v[8:9]
	s_delay_alu instid0(VALU_DEP_1) | instskip(SKIP_1) | instid1(VALU_DEP_2)
	v_fma_f64 v[64:65], v[52:53], v[6:7], -v[64:65]
	v_mul_f64_e32 v[52:53], v[52:53], v[8:9]
	v_add_f64_e32 v[64:65], v[2:3], v[64:65]
	s_delay_alu instid0(VALU_DEP_2) | instskip(NEXT) | instid1(VALU_DEP_1)
	v_fmac_f64_e32 v[52:53], v[54:55], v[6:7]
	v_add_f64_e32 v[76:77], v[52:53], v[4:5]
	ds_load_b128 v[2:5], v68 offset:8384
	s_wait_dscnt 0x0
	v_mul_f64_e32 v[52:53], v[4:5], v[58:59]
	v_mul_f64_e32 v[54:55], v[2:3], v[58:59]
	s_delay_alu instid0(VALU_DEP_2) | instskip(NEXT) | instid1(VALU_DEP_2)
	v_fma_f64 v[52:53], v[2:3], v[56:57], -v[52:53]
	v_fmac_f64_e32 v[54:55], v[4:5], v[56:57]
	s_delay_alu instid0(VALU_DEP_2) | instskip(SKIP_1) | instid1(VALU_DEP_3)
	v_add_f64_e32 v[10:11], v[10:11], v[52:53]
	v_mul_f64_e32 v[52:53], v[4:5], v[8:9]
	v_add_f64_e32 v[12:13], v[54:55], v[12:13]
	s_delay_alu instid0(VALU_DEP_2) | instskip(SKIP_1) | instid1(VALU_DEP_2)
	v_fma_f64 v[52:53], v[2:3], v[6:7], -v[52:53]
	v_mul_f64_e32 v[2:3], v[2:3], v[8:9]
	v_add_f64_e32 v[48:49], v[48:49], v[52:53]
	s_delay_alu instid0(VALU_DEP_2) | instskip(NEXT) | instid1(VALU_DEP_1)
	v_fmac_f64_e32 v[2:3], v[4:5], v[6:7]
	v_add_f64_e32 v[50:51], v[2:3], v[50:51]
	ds_load_b128 v[2:5], v68 offset:208
	ds_load_b128 v[52:55], v67 offset:6656
	ds_load_b128 v[56:59], v67 offset:6912
	s_wait_dscnt 0x1
	v_mul_f64_e32 v[6:7], v[4:5], v[54:55]
	v_mul_f64_e32 v[8:9], v[2:3], v[54:55]
	s_delay_alu instid0(VALU_DEP_2) | instskip(NEXT) | instid1(VALU_DEP_2)
	v_fma_f64 v[6:7], v[2:3], v[52:53], -v[6:7]
	v_fmac_f64_e32 v[8:9], v[4:5], v[52:53]
	s_delay_alu instid0(VALU_DEP_2) | instskip(NEXT) | instid1(VALU_DEP_2)
	v_add_f64_e32 v[6:7], v[60:61], v[6:7]
	v_add_f64_e32 v[8:9], v[8:9], v[62:63]
	s_wait_dscnt 0x0
	v_mul_f64_e32 v[60:61], v[4:5], v[58:59]
	v_mul_f64_e32 v[62:63], v[2:3], v[58:59]
	s_delay_alu instid0(VALU_DEP_2) | instskip(NEXT) | instid1(VALU_DEP_2)
	v_fma_f64 v[60:61], v[2:3], v[56:57], -v[60:61]
	v_fmac_f64_e32 v[62:63], v[4:5], v[56:57]
	s_delay_alu instid0(VALU_DEP_2) | instskip(NEXT) | instid1(VALU_DEP_2)
	v_add_f64_e32 v[2:3], v[64:65], v[60:61]
	v_add_f64_e32 v[4:5], v[62:63], v[76:77]
	ds_load_b128 v[60:63], v68 offset:8400
	s_wait_dscnt 0x0
	v_mul_f64_e32 v[64:65], v[62:63], v[54:55]
	v_mul_f64_e32 v[54:55], v[60:61], v[54:55]
	s_delay_alu instid0(VALU_DEP_2) | instskip(NEXT) | instid1(VALU_DEP_2)
	v_fma_f64 v[64:65], v[60:61], v[52:53], -v[64:65]
	v_fmac_f64_e32 v[54:55], v[62:63], v[52:53]
	v_mul_f64_e32 v[52:53], v[62:63], v[58:59]
	s_delay_alu instid0(VALU_DEP_3) | instskip(NEXT) | instid1(VALU_DEP_3)
	v_add_f64_e32 v[10:11], v[10:11], v[64:65]
	v_add_f64_e32 v[12:13], v[54:55], v[12:13]
	v_mul_f64_e32 v[54:55], v[60:61], v[58:59]
	s_delay_alu instid0(VALU_DEP_4) | instskip(NEXT) | instid1(VALU_DEP_2)
	v_fma_f64 v[52:53], v[60:61], v[56:57], -v[52:53]
	v_fmac_f64_e32 v[54:55], v[62:63], v[56:57]
	s_delay_alu instid0(VALU_DEP_2) | instskip(NEXT) | instid1(VALU_DEP_2)
	v_add_f64_e32 v[48:49], v[48:49], v[52:53]
	v_add_f64_e32 v[50:51], v[54:55], v[50:51]
	ds_load_b128 v[52:55], v68 offset:224
	ds_load_b128 v[56:59], v67 offset:7168
	s_wait_dscnt 0x0
	v_mul_f64_e32 v[60:61], v[54:55], v[58:59]
	v_mul_f64_e32 v[62:63], v[52:53], v[58:59]
	s_delay_alu instid0(VALU_DEP_2) | instskip(NEXT) | instid1(VALU_DEP_2)
	v_fma_f64 v[60:61], v[52:53], v[56:57], -v[60:61]
	v_fmac_f64_e32 v[62:63], v[54:55], v[56:57]
	s_delay_alu instid0(VALU_DEP_2) | instskip(NEXT) | instid1(VALU_DEP_2)
	v_add_f64_e32 v[60:61], v[6:7], v[60:61]
	v_add_f64_e32 v[62:63], v[62:63], v[8:9]
	ds_load_b128 v[6:9], v67 offset:7424
	s_wait_dscnt 0x0
	v_mul_f64_e32 v[64:65], v[54:55], v[8:9]
	s_delay_alu instid0(VALU_DEP_1) | instskip(SKIP_1) | instid1(VALU_DEP_2)
	v_fma_f64 v[64:65], v[52:53], v[6:7], -v[64:65]
	v_mul_f64_e32 v[52:53], v[52:53], v[8:9]
	v_add_f64_e32 v[64:65], v[2:3], v[64:65]
	s_delay_alu instid0(VALU_DEP_2) | instskip(NEXT) | instid1(VALU_DEP_1)
	v_fmac_f64_e32 v[52:53], v[54:55], v[6:7]
	v_add_f64_e32 v[76:77], v[52:53], v[4:5]
	ds_load_b128 v[2:5], v68 offset:8416
	s_wait_dscnt 0x0
	v_mul_f64_e32 v[52:53], v[4:5], v[58:59]
	v_mul_f64_e32 v[54:55], v[2:3], v[58:59]
	s_delay_alu instid0(VALU_DEP_2) | instskip(NEXT) | instid1(VALU_DEP_2)
	v_fma_f64 v[52:53], v[2:3], v[56:57], -v[52:53]
	v_fmac_f64_e32 v[54:55], v[4:5], v[56:57]
	s_delay_alu instid0(VALU_DEP_2) | instskip(SKIP_1) | instid1(VALU_DEP_3)
	v_add_f64_e32 v[10:11], v[10:11], v[52:53]
	v_mul_f64_e32 v[52:53], v[4:5], v[8:9]
	v_add_f64_e32 v[12:13], v[54:55], v[12:13]
	s_delay_alu instid0(VALU_DEP_2) | instskip(SKIP_1) | instid1(VALU_DEP_2)
	v_fma_f64 v[52:53], v[2:3], v[6:7], -v[52:53]
	v_mul_f64_e32 v[2:3], v[2:3], v[8:9]
	v_add_f64_e32 v[48:49], v[48:49], v[52:53]
	s_delay_alu instid0(VALU_DEP_2) | instskip(NEXT) | instid1(VALU_DEP_1)
	v_fmac_f64_e32 v[2:3], v[4:5], v[6:7]
	v_add_f64_e32 v[50:51], v[2:3], v[50:51]
	ds_load_b128 v[2:5], v68 offset:240
	ds_load_b128 v[52:55], v67 offset:7680
	;; [unrolled: 1-line block ×3, first 2 shown]
	s_wait_dscnt 0x1
	v_mul_f64_e32 v[6:7], v[4:5], v[54:55]
	v_mul_f64_e32 v[8:9], v[2:3], v[54:55]
	s_delay_alu instid0(VALU_DEP_2) | instskip(NEXT) | instid1(VALU_DEP_2)
	v_fma_f64 v[6:7], v[2:3], v[52:53], -v[6:7]
	v_fmac_f64_e32 v[8:9], v[4:5], v[52:53]
	s_delay_alu instid0(VALU_DEP_2) | instskip(NEXT) | instid1(VALU_DEP_2)
	v_add_f64_e32 v[6:7], v[60:61], v[6:7]
	v_add_f64_e32 v[8:9], v[8:9], v[62:63]
	s_wait_dscnt 0x0
	v_mul_f64_e32 v[60:61], v[4:5], v[58:59]
	v_mul_f64_e32 v[62:63], v[2:3], v[58:59]
	s_delay_alu instid0(VALU_DEP_2) | instskip(NEXT) | instid1(VALU_DEP_2)
	v_fma_f64 v[60:61], v[2:3], v[56:57], -v[60:61]
	v_fmac_f64_e32 v[62:63], v[4:5], v[56:57]
	s_delay_alu instid0(VALU_DEP_2) | instskip(NEXT) | instid1(VALU_DEP_2)
	v_add_f64_e32 v[2:3], v[64:65], v[60:61]
	v_add_f64_e32 v[4:5], v[62:63], v[76:77]
	ds_load_b128 v[60:63], v68 offset:8432
	s_wait_dscnt 0x0
	v_mul_f64_e32 v[64:65], v[62:63], v[54:55]
	v_mul_f64_e32 v[54:55], v[60:61], v[54:55]
	s_delay_alu instid0(VALU_DEP_2) | instskip(NEXT) | instid1(VALU_DEP_2)
	v_fma_f64 v[64:65], v[60:61], v[52:53], -v[64:65]
	v_fmac_f64_e32 v[54:55], v[62:63], v[52:53]
	v_mul_f64_e32 v[52:53], v[62:63], v[58:59]
	s_delay_alu instid0(VALU_DEP_3) | instskip(NEXT) | instid1(VALU_DEP_3)
	v_add_f64_e32 v[10:11], v[10:11], v[64:65]
	v_add_f64_e32 v[12:13], v[54:55], v[12:13]
	v_mul_f64_e32 v[54:55], v[60:61], v[58:59]
	s_delay_alu instid0(VALU_DEP_4) | instskip(NEXT) | instid1(VALU_DEP_2)
	v_fma_f64 v[52:53], v[60:61], v[56:57], -v[52:53]
	v_fmac_f64_e32 v[54:55], v[62:63], v[56:57]
	s_delay_alu instid0(VALU_DEP_2) | instskip(NEXT) | instid1(VALU_DEP_2)
	v_add_f64_e32 v[48:49], v[48:49], v[52:53]
	v_add_f64_e32 v[50:51], v[54:55], v[50:51]
	ds_load_b128 v[52:55], v68 offset:256
	ds_load_b128 v[56:59], v67 offset:8192
	s_wait_dscnt 0x0
	v_mul_f64_e32 v[60:61], v[54:55], v[58:59]
	v_mul_f64_e32 v[62:63], v[52:53], v[58:59]
	s_delay_alu instid0(VALU_DEP_2) | instskip(NEXT) | instid1(VALU_DEP_2)
	v_fma_f64 v[60:61], v[52:53], v[56:57], -v[60:61]
	v_fmac_f64_e32 v[62:63], v[54:55], v[56:57]
	s_delay_alu instid0(VALU_DEP_2) | instskip(NEXT) | instid1(VALU_DEP_2)
	v_add_f64_e32 v[60:61], v[6:7], v[60:61]
	v_add_f64_e32 v[62:63], v[62:63], v[8:9]
	ds_load_b128 v[6:9], v67 offset:8448
	s_wait_dscnt 0x0
	v_mul_f64_e32 v[64:65], v[54:55], v[8:9]
	s_delay_alu instid0(VALU_DEP_1) | instskip(SKIP_1) | instid1(VALU_DEP_2)
	v_fma_f64 v[64:65], v[52:53], v[6:7], -v[64:65]
	v_mul_f64_e32 v[52:53], v[52:53], v[8:9]
	v_add_f64_e32 v[64:65], v[2:3], v[64:65]
	s_delay_alu instid0(VALU_DEP_2) | instskip(NEXT) | instid1(VALU_DEP_1)
	v_fmac_f64_e32 v[52:53], v[54:55], v[6:7]
	v_add_f64_e32 v[76:77], v[52:53], v[4:5]
	ds_load_b128 v[2:5], v68 offset:8448
	s_wait_dscnt 0x0
	v_mul_f64_e32 v[52:53], v[4:5], v[58:59]
	v_mul_f64_e32 v[54:55], v[2:3], v[58:59]
	s_delay_alu instid0(VALU_DEP_2) | instskip(NEXT) | instid1(VALU_DEP_2)
	v_fma_f64 v[52:53], v[2:3], v[56:57], -v[52:53]
	v_fmac_f64_e32 v[54:55], v[4:5], v[56:57]
	s_delay_alu instid0(VALU_DEP_2) | instskip(SKIP_1) | instid1(VALU_DEP_3)
	v_add_f64_e32 v[10:11], v[10:11], v[52:53]
	v_mul_f64_e32 v[52:53], v[4:5], v[8:9]
	v_add_f64_e32 v[12:13], v[54:55], v[12:13]
	s_delay_alu instid0(VALU_DEP_2) | instskip(SKIP_1) | instid1(VALU_DEP_2)
	v_fma_f64 v[52:53], v[2:3], v[6:7], -v[52:53]
	v_mul_f64_e32 v[2:3], v[2:3], v[8:9]
	v_add_f64_e32 v[48:49], v[48:49], v[52:53]
	s_delay_alu instid0(VALU_DEP_2) | instskip(NEXT) | instid1(VALU_DEP_1)
	v_fmac_f64_e32 v[2:3], v[4:5], v[6:7]
	v_add_f64_e32 v[50:51], v[2:3], v[50:51]
	ds_load_b128 v[2:5], v68 offset:272
	ds_load_b128 v[52:55], v67 offset:8704
	;; [unrolled: 1-line block ×3, first 2 shown]
	s_wait_dscnt 0x1
	v_mul_f64_e32 v[6:7], v[4:5], v[54:55]
	v_mul_f64_e32 v[8:9], v[2:3], v[54:55]
	s_delay_alu instid0(VALU_DEP_2) | instskip(NEXT) | instid1(VALU_DEP_2)
	v_fma_f64 v[6:7], v[2:3], v[52:53], -v[6:7]
	v_fmac_f64_e32 v[8:9], v[4:5], v[52:53]
	s_delay_alu instid0(VALU_DEP_2) | instskip(NEXT) | instid1(VALU_DEP_2)
	v_add_f64_e32 v[6:7], v[60:61], v[6:7]
	v_add_f64_e32 v[8:9], v[8:9], v[62:63]
	s_wait_dscnt 0x0
	v_mul_f64_e32 v[60:61], v[4:5], v[58:59]
	v_mul_f64_e32 v[62:63], v[2:3], v[58:59]
	s_delay_alu instid0(VALU_DEP_2) | instskip(NEXT) | instid1(VALU_DEP_2)
	v_fma_f64 v[60:61], v[2:3], v[56:57], -v[60:61]
	v_fmac_f64_e32 v[62:63], v[4:5], v[56:57]
	s_delay_alu instid0(VALU_DEP_2) | instskip(NEXT) | instid1(VALU_DEP_2)
	v_add_f64_e32 v[2:3], v[64:65], v[60:61]
	v_add_f64_e32 v[4:5], v[62:63], v[76:77]
	ds_load_b128 v[60:63], v68 offset:8464
	s_wait_dscnt 0x0
	v_mul_f64_e32 v[64:65], v[62:63], v[54:55]
	v_mul_f64_e32 v[54:55], v[60:61], v[54:55]
	s_delay_alu instid0(VALU_DEP_2) | instskip(NEXT) | instid1(VALU_DEP_2)
	v_fma_f64 v[64:65], v[60:61], v[52:53], -v[64:65]
	v_fmac_f64_e32 v[54:55], v[62:63], v[52:53]
	v_mul_f64_e32 v[52:53], v[62:63], v[58:59]
	s_delay_alu instid0(VALU_DEP_3) | instskip(NEXT) | instid1(VALU_DEP_3)
	v_add_f64_e32 v[10:11], v[10:11], v[64:65]
	v_add_f64_e32 v[12:13], v[54:55], v[12:13]
	v_mul_f64_e32 v[54:55], v[60:61], v[58:59]
	s_delay_alu instid0(VALU_DEP_4) | instskip(NEXT) | instid1(VALU_DEP_2)
	v_fma_f64 v[52:53], v[60:61], v[56:57], -v[52:53]
	v_fmac_f64_e32 v[54:55], v[62:63], v[56:57]
	s_delay_alu instid0(VALU_DEP_2) | instskip(NEXT) | instid1(VALU_DEP_2)
	v_add_f64_e32 v[48:49], v[48:49], v[52:53]
	v_add_f64_e32 v[50:51], v[54:55], v[50:51]
	ds_load_b128 v[52:55], v68 offset:288
	ds_load_b128 v[56:59], v67 offset:9216
	s_wait_dscnt 0x0
	v_mul_f64_e32 v[60:61], v[54:55], v[58:59]
	v_mul_f64_e32 v[62:63], v[52:53], v[58:59]
	s_delay_alu instid0(VALU_DEP_2) | instskip(NEXT) | instid1(VALU_DEP_2)
	v_fma_f64 v[60:61], v[52:53], v[56:57], -v[60:61]
	v_fmac_f64_e32 v[62:63], v[54:55], v[56:57]
	s_delay_alu instid0(VALU_DEP_2) | instskip(NEXT) | instid1(VALU_DEP_2)
	v_add_f64_e32 v[60:61], v[6:7], v[60:61]
	v_add_f64_e32 v[62:63], v[62:63], v[8:9]
	ds_load_b128 v[6:9], v67 offset:9472
	s_wait_dscnt 0x0
	v_mul_f64_e32 v[64:65], v[54:55], v[8:9]
	s_delay_alu instid0(VALU_DEP_1) | instskip(SKIP_1) | instid1(VALU_DEP_2)
	v_fma_f64 v[64:65], v[52:53], v[6:7], -v[64:65]
	v_mul_f64_e32 v[52:53], v[52:53], v[8:9]
	v_add_f64_e32 v[64:65], v[2:3], v[64:65]
	s_delay_alu instid0(VALU_DEP_2) | instskip(NEXT) | instid1(VALU_DEP_1)
	v_fmac_f64_e32 v[52:53], v[54:55], v[6:7]
	v_add_f64_e32 v[76:77], v[52:53], v[4:5]
	ds_load_b128 v[2:5], v68 offset:8480
	s_wait_dscnt 0x0
	v_mul_f64_e32 v[52:53], v[4:5], v[58:59]
	v_mul_f64_e32 v[54:55], v[2:3], v[58:59]
	s_delay_alu instid0(VALU_DEP_2) | instskip(NEXT) | instid1(VALU_DEP_2)
	v_fma_f64 v[52:53], v[2:3], v[56:57], -v[52:53]
	v_fmac_f64_e32 v[54:55], v[4:5], v[56:57]
	s_delay_alu instid0(VALU_DEP_2) | instskip(SKIP_1) | instid1(VALU_DEP_3)
	v_add_f64_e32 v[10:11], v[10:11], v[52:53]
	v_mul_f64_e32 v[52:53], v[4:5], v[8:9]
	v_add_f64_e32 v[12:13], v[54:55], v[12:13]
	s_delay_alu instid0(VALU_DEP_2) | instskip(SKIP_1) | instid1(VALU_DEP_2)
	v_fma_f64 v[52:53], v[2:3], v[6:7], -v[52:53]
	v_mul_f64_e32 v[2:3], v[2:3], v[8:9]
	v_add_f64_e32 v[48:49], v[48:49], v[52:53]
	s_delay_alu instid0(VALU_DEP_2) | instskip(NEXT) | instid1(VALU_DEP_1)
	v_fmac_f64_e32 v[2:3], v[4:5], v[6:7]
	v_add_f64_e32 v[50:51], v[2:3], v[50:51]
	ds_load_b128 v[2:5], v68 offset:304
	ds_load_b128 v[52:55], v67 offset:9728
	;; [unrolled: 1-line block ×3, first 2 shown]
	s_wait_dscnt 0x1
	v_mul_f64_e32 v[6:7], v[4:5], v[54:55]
	v_mul_f64_e32 v[8:9], v[2:3], v[54:55]
	s_delay_alu instid0(VALU_DEP_2) | instskip(NEXT) | instid1(VALU_DEP_2)
	v_fma_f64 v[6:7], v[2:3], v[52:53], -v[6:7]
	v_fmac_f64_e32 v[8:9], v[4:5], v[52:53]
	s_delay_alu instid0(VALU_DEP_2) | instskip(NEXT) | instid1(VALU_DEP_2)
	v_add_f64_e32 v[6:7], v[60:61], v[6:7]
	v_add_f64_e32 v[8:9], v[8:9], v[62:63]
	s_wait_dscnt 0x0
	v_mul_f64_e32 v[60:61], v[4:5], v[58:59]
	v_mul_f64_e32 v[62:63], v[2:3], v[58:59]
	s_delay_alu instid0(VALU_DEP_2) | instskip(NEXT) | instid1(VALU_DEP_2)
	v_fma_f64 v[60:61], v[2:3], v[56:57], -v[60:61]
	v_fmac_f64_e32 v[62:63], v[4:5], v[56:57]
	s_delay_alu instid0(VALU_DEP_2) | instskip(NEXT) | instid1(VALU_DEP_2)
	v_add_f64_e32 v[2:3], v[64:65], v[60:61]
	v_add_f64_e32 v[4:5], v[62:63], v[76:77]
	ds_load_b128 v[60:63], v68 offset:8496
	s_wait_dscnt 0x0
	v_mul_f64_e32 v[64:65], v[62:63], v[54:55]
	v_mul_f64_e32 v[54:55], v[60:61], v[54:55]
	s_delay_alu instid0(VALU_DEP_2) | instskip(NEXT) | instid1(VALU_DEP_2)
	v_fma_f64 v[64:65], v[60:61], v[52:53], -v[64:65]
	v_fmac_f64_e32 v[54:55], v[62:63], v[52:53]
	v_mul_f64_e32 v[52:53], v[62:63], v[58:59]
	s_delay_alu instid0(VALU_DEP_3) | instskip(NEXT) | instid1(VALU_DEP_3)
	v_add_f64_e32 v[10:11], v[10:11], v[64:65]
	v_add_f64_e32 v[12:13], v[54:55], v[12:13]
	v_mul_f64_e32 v[54:55], v[60:61], v[58:59]
	s_delay_alu instid0(VALU_DEP_4) | instskip(NEXT) | instid1(VALU_DEP_2)
	v_fma_f64 v[52:53], v[60:61], v[56:57], -v[52:53]
	v_fmac_f64_e32 v[54:55], v[62:63], v[56:57]
	s_delay_alu instid0(VALU_DEP_2) | instskip(NEXT) | instid1(VALU_DEP_2)
	v_add_f64_e32 v[48:49], v[48:49], v[52:53]
	v_add_f64_e32 v[50:51], v[54:55], v[50:51]
	ds_load_b128 v[52:55], v68 offset:320
	ds_load_b128 v[56:59], v67 offset:10240
	s_wait_dscnt 0x0
	v_mul_f64_e32 v[60:61], v[54:55], v[58:59]
	v_mul_f64_e32 v[62:63], v[52:53], v[58:59]
	s_delay_alu instid0(VALU_DEP_2) | instskip(NEXT) | instid1(VALU_DEP_2)
	v_fma_f64 v[60:61], v[52:53], v[56:57], -v[60:61]
	v_fmac_f64_e32 v[62:63], v[54:55], v[56:57]
	s_delay_alu instid0(VALU_DEP_2) | instskip(NEXT) | instid1(VALU_DEP_2)
	v_add_f64_e32 v[64:65], v[6:7], v[60:61]
	v_add_f64_e32 v[76:77], v[62:63], v[8:9]
	ds_load_b128 v[60:63], v67 offset:10496
	s_wait_dscnt 0x0
	v_mul_f64_e32 v[6:7], v[54:55], v[62:63]
	v_mul_f64_e32 v[8:9], v[52:53], v[62:63]
	s_delay_alu instid0(VALU_DEP_2) | instskip(NEXT) | instid1(VALU_DEP_2)
	v_fma_f64 v[6:7], v[52:53], v[60:61], -v[6:7]
	v_fmac_f64_e32 v[8:9], v[54:55], v[60:61]
	s_delay_alu instid0(VALU_DEP_2) | instskip(NEXT) | instid1(VALU_DEP_2)
	v_add_f64_e32 v[78:79], v[2:3], v[6:7]
	v_add_f64_e32 v[80:81], v[8:9], v[4:5]
	;; [unrolled: 10-line block ×3, first 2 shown]
	v_mul_f64_e32 v[10:11], v[4:5], v[62:63]
	v_mul_f64_e32 v[12:13], v[2:3], v[62:63]
	s_delay_alu instid0(VALU_DEP_2) | instskip(NEXT) | instid1(VALU_DEP_2)
	v_fma_f64 v[10:11], v[2:3], v[60:61], -v[10:11]
	v_fmac_f64_e32 v[12:13], v[4:5], v[60:61]
	s_delay_alu instid0(VALU_DEP_2) | instskip(NEXT) | instid1(VALU_DEP_2)
	v_add_f64_e32 v[2:3], v[48:49], v[10:11]
	v_add_f64_e32 v[4:5], v[12:13], v[50:51]
	ds_load_b128 v[10:13], v68 offset:336
	ds_load_b128 v[52:55], v67 offset:10752
	;; [unrolled: 1-line block ×3, first 2 shown]
	s_wait_dscnt 0x1
	v_mul_f64_e32 v[48:49], v[12:13], v[54:55]
	s_wait_dscnt 0x0
	v_mul_f64_e32 v[60:61], v[12:13], v[58:59]
	v_mul_f64_e32 v[62:63], v[10:11], v[58:59]
	;; [unrolled: 1-line block ×3, first 2 shown]
	s_delay_alu instid0(VALU_DEP_4) | instskip(NEXT) | instid1(VALU_DEP_4)
	v_fma_f64 v[48:49], v[10:11], v[52:53], -v[48:49]
	v_fma_f64 v[60:61], v[10:11], v[56:57], -v[60:61]
	s_delay_alu instid0(VALU_DEP_4) | instskip(NEXT) | instid1(VALU_DEP_4)
	v_fmac_f64_e32 v[62:63], v[12:13], v[56:57]
	v_fmac_f64_e32 v[50:51], v[12:13], v[52:53]
	s_delay_alu instid0(VALU_DEP_4) | instskip(NEXT) | instid1(VALU_DEP_4)
	v_add_f64_e32 v[48:49], v[64:65], v[48:49]
	v_add_f64_e32 v[10:11], v[78:79], v[60:61]
	s_delay_alu instid0(VALU_DEP_4)
	v_add_f64_e32 v[12:13], v[62:63], v[80:81]
	ds_load_b128 v[60:63], v68 offset:8528
	v_add_f64_e32 v[50:51], v[50:51], v[76:77]
	s_wait_dscnt 0x0
	v_mul_f64_e32 v[64:65], v[62:63], v[54:55]
	v_mul_f64_e32 v[54:55], v[60:61], v[54:55]
	s_delay_alu instid0(VALU_DEP_2) | instskip(NEXT) | instid1(VALU_DEP_2)
	v_fma_f64 v[64:65], v[60:61], v[52:53], -v[64:65]
	v_fmac_f64_e32 v[54:55], v[62:63], v[52:53]
	s_delay_alu instid0(VALU_DEP_2) | instskip(NEXT) | instid1(VALU_DEP_2)
	v_add_f64_e32 v[52:53], v[6:7], v[64:65]
	v_add_f64_e32 v[54:55], v[54:55], v[8:9]
	v_mul_f64_e32 v[6:7], v[62:63], v[58:59]
	v_mul_f64_e32 v[8:9], v[60:61], v[58:59]
	s_delay_alu instid0(VALU_DEP_2) | instskip(NEXT) | instid1(VALU_DEP_2)
	v_fma_f64 v[6:7], v[60:61], v[56:57], -v[6:7]
	v_fmac_f64_e32 v[8:9], v[62:63], v[56:57]
	s_delay_alu instid0(VALU_DEP_2) | instskip(NEXT) | instid1(VALU_DEP_2)
	v_add_f64_e32 v[56:57], v[2:3], v[6:7]
	v_add_f64_e32 v[58:59], v[8:9], v[4:5]
	ds_load_b128 v[2:5], v68 offset:352
	ds_load_b128 v[6:9], v67 offset:11264
	s_wait_dscnt 0x0
	v_mul_f64_e32 v[60:61], v[4:5], v[8:9]
	v_mul_f64_e32 v[62:63], v[2:3], v[8:9]
	s_delay_alu instid0(VALU_DEP_2) | instskip(NEXT) | instid1(VALU_DEP_2)
	v_fma_f64 v[60:61], v[2:3], v[6:7], -v[60:61]
	v_fmac_f64_e32 v[62:63], v[4:5], v[6:7]
	s_delay_alu instid0(VALU_DEP_2) | instskip(NEXT) | instid1(VALU_DEP_2)
	v_add_f64_e32 v[60:61], v[48:49], v[60:61]
	v_add_f64_e32 v[62:63], v[62:63], v[50:51]
	ds_load_b128 v[48:51], v67 offset:11520
	s_wait_dscnt 0x0
	v_mul_f64_e32 v[64:65], v[4:5], v[50:51]
	s_delay_alu instid0(VALU_DEP_1) | instskip(SKIP_1) | instid1(VALU_DEP_2)
	v_fma_f64 v[64:65], v[2:3], v[48:49], -v[64:65]
	v_mul_f64_e32 v[2:3], v[2:3], v[50:51]
	v_add_f64_e32 v[64:65], v[10:11], v[64:65]
	s_delay_alu instid0(VALU_DEP_2) | instskip(NEXT) | instid1(VALU_DEP_1)
	v_fmac_f64_e32 v[2:3], v[4:5], v[48:49]
	v_add_f64_e32 v[76:77], v[2:3], v[12:13]
	ds_load_b128 v[2:5], v68 offset:8544
	s_wait_dscnt 0x0
	v_mul_f64_e32 v[10:11], v[4:5], v[8:9]
	v_mul_f64_e32 v[8:9], v[2:3], v[8:9]
	s_delay_alu instid0(VALU_DEP_2) | instskip(NEXT) | instid1(VALU_DEP_2)
	v_fma_f64 v[10:11], v[2:3], v[6:7], -v[10:11]
	v_fmac_f64_e32 v[8:9], v[4:5], v[6:7]
	v_mul_f64_e32 v[6:7], v[4:5], v[50:51]
	s_delay_alu instid0(VALU_DEP_3) | instskip(NEXT) | instid1(VALU_DEP_3)
	v_add_f64_e32 v[10:11], v[52:53], v[10:11]
	v_add_f64_e32 v[12:13], v[8:9], v[54:55]
	s_delay_alu instid0(VALU_DEP_3) | instskip(SKIP_1) | instid1(VALU_DEP_1)
	v_fma_f64 v[6:7], v[2:3], v[48:49], -v[6:7]
	v_mul_f64_e32 v[2:3], v[2:3], v[50:51]
	v_fmac_f64_e32 v[2:3], v[4:5], v[48:49]
	s_delay_alu instid0(VALU_DEP_3) | instskip(NEXT) | instid1(VALU_DEP_2)
	v_add_f64_e32 v[48:49], v[56:57], v[6:7]
	v_add_f64_e32 v[50:51], v[2:3], v[58:59]
	ds_load_b128 v[2:5], v68 offset:368
	ds_load_b128 v[52:55], v67 offset:11776
	;; [unrolled: 1-line block ×3, first 2 shown]
	s_wait_dscnt 0x1
	v_mul_f64_e32 v[6:7], v[4:5], v[54:55]
	v_mul_f64_e32 v[8:9], v[2:3], v[54:55]
	s_delay_alu instid0(VALU_DEP_2) | instskip(NEXT) | instid1(VALU_DEP_2)
	v_fma_f64 v[6:7], v[2:3], v[52:53], -v[6:7]
	v_fmac_f64_e32 v[8:9], v[4:5], v[52:53]
	s_delay_alu instid0(VALU_DEP_2) | instskip(NEXT) | instid1(VALU_DEP_2)
	v_add_f64_e32 v[6:7], v[60:61], v[6:7]
	v_add_f64_e32 v[8:9], v[8:9], v[62:63]
	s_wait_dscnt 0x0
	v_mul_f64_e32 v[60:61], v[4:5], v[58:59]
	v_mul_f64_e32 v[62:63], v[2:3], v[58:59]
	s_delay_alu instid0(VALU_DEP_2) | instskip(NEXT) | instid1(VALU_DEP_2)
	v_fma_f64 v[60:61], v[2:3], v[56:57], -v[60:61]
	v_fmac_f64_e32 v[62:63], v[4:5], v[56:57]
	s_delay_alu instid0(VALU_DEP_2) | instskip(NEXT) | instid1(VALU_DEP_2)
	v_add_f64_e32 v[2:3], v[64:65], v[60:61]
	v_add_f64_e32 v[4:5], v[62:63], v[76:77]
	ds_load_b128 v[60:63], v68 offset:8560
	s_wait_dscnt 0x0
	v_mul_f64_e32 v[64:65], v[62:63], v[54:55]
	v_mul_f64_e32 v[54:55], v[60:61], v[54:55]
	s_delay_alu instid0(VALU_DEP_2) | instskip(NEXT) | instid1(VALU_DEP_2)
	v_fma_f64 v[64:65], v[60:61], v[52:53], -v[64:65]
	v_fmac_f64_e32 v[54:55], v[62:63], v[52:53]
	v_mul_f64_e32 v[52:53], v[62:63], v[58:59]
	s_delay_alu instid0(VALU_DEP_3) | instskip(NEXT) | instid1(VALU_DEP_3)
	v_add_f64_e32 v[10:11], v[10:11], v[64:65]
	v_add_f64_e32 v[12:13], v[54:55], v[12:13]
	v_mul_f64_e32 v[54:55], v[60:61], v[58:59]
	s_delay_alu instid0(VALU_DEP_4) | instskip(NEXT) | instid1(VALU_DEP_2)
	v_fma_f64 v[52:53], v[60:61], v[56:57], -v[52:53]
	v_fmac_f64_e32 v[54:55], v[62:63], v[56:57]
	s_delay_alu instid0(VALU_DEP_2) | instskip(NEXT) | instid1(VALU_DEP_2)
	v_add_f64_e32 v[48:49], v[48:49], v[52:53]
	v_add_f64_e32 v[50:51], v[54:55], v[50:51]
	ds_load_b128 v[52:55], v68 offset:384
	ds_load_b128 v[56:59], v67 offset:12288
	s_wait_dscnt 0x0
	v_mul_f64_e32 v[60:61], v[54:55], v[58:59]
	v_mul_f64_e32 v[62:63], v[52:53], v[58:59]
	s_delay_alu instid0(VALU_DEP_2) | instskip(NEXT) | instid1(VALU_DEP_2)
	v_fma_f64 v[60:61], v[52:53], v[56:57], -v[60:61]
	v_fmac_f64_e32 v[62:63], v[54:55], v[56:57]
	s_delay_alu instid0(VALU_DEP_2) | instskip(NEXT) | instid1(VALU_DEP_2)
	v_add_f64_e32 v[64:65], v[6:7], v[60:61]
	v_add_f64_e32 v[76:77], v[62:63], v[8:9]
	ds_load_b128 v[60:63], v67 offset:12544
	s_wait_dscnt 0x0
	v_mul_f64_e32 v[6:7], v[54:55], v[62:63]
	v_mul_f64_e32 v[8:9], v[52:53], v[62:63]
	s_delay_alu instid0(VALU_DEP_2) | instskip(NEXT) | instid1(VALU_DEP_2)
	v_fma_f64 v[6:7], v[52:53], v[60:61], -v[6:7]
	v_fmac_f64_e32 v[8:9], v[54:55], v[60:61]
	s_delay_alu instid0(VALU_DEP_2) | instskip(NEXT) | instid1(VALU_DEP_2)
	v_add_f64_e32 v[78:79], v[2:3], v[6:7]
	v_add_f64_e32 v[80:81], v[8:9], v[4:5]
	;; [unrolled: 10-line block ×3, first 2 shown]
	v_mul_f64_e32 v[10:11], v[4:5], v[62:63]
	v_mul_f64_e32 v[12:13], v[2:3], v[62:63]
	s_delay_alu instid0(VALU_DEP_2) | instskip(NEXT) | instid1(VALU_DEP_2)
	v_fma_f64 v[10:11], v[2:3], v[60:61], -v[10:11]
	v_fmac_f64_e32 v[12:13], v[4:5], v[60:61]
	s_delay_alu instid0(VALU_DEP_2) | instskip(NEXT) | instid1(VALU_DEP_2)
	v_add_f64_e32 v[2:3], v[48:49], v[10:11]
	v_add_f64_e32 v[4:5], v[12:13], v[50:51]
	ds_load_b128 v[10:13], v68 offset:400
	ds_load_b128 v[52:55], v67 offset:12800
	;; [unrolled: 1-line block ×3, first 2 shown]
	s_wait_dscnt 0x1
	v_mul_f64_e32 v[48:49], v[12:13], v[54:55]
	s_wait_dscnt 0x0
	v_mul_f64_e32 v[60:61], v[12:13], v[58:59]
	v_mul_f64_e32 v[62:63], v[10:11], v[58:59]
	;; [unrolled: 1-line block ×3, first 2 shown]
	s_delay_alu instid0(VALU_DEP_4) | instskip(NEXT) | instid1(VALU_DEP_4)
	v_fma_f64 v[48:49], v[10:11], v[52:53], -v[48:49]
	v_fma_f64 v[60:61], v[10:11], v[56:57], -v[60:61]
	s_delay_alu instid0(VALU_DEP_4) | instskip(NEXT) | instid1(VALU_DEP_4)
	v_fmac_f64_e32 v[62:63], v[12:13], v[56:57]
	v_fmac_f64_e32 v[50:51], v[12:13], v[52:53]
	s_delay_alu instid0(VALU_DEP_4) | instskip(NEXT) | instid1(VALU_DEP_4)
	v_add_f64_e32 v[48:49], v[64:65], v[48:49]
	v_add_f64_e32 v[10:11], v[78:79], v[60:61]
	s_delay_alu instid0(VALU_DEP_4)
	v_add_f64_e32 v[12:13], v[62:63], v[80:81]
	ds_load_b128 v[60:63], v68 offset:8592
	v_add_f64_e32 v[50:51], v[50:51], v[76:77]
	s_wait_dscnt 0x0
	v_mul_f64_e32 v[64:65], v[62:63], v[54:55]
	v_mul_f64_e32 v[54:55], v[60:61], v[54:55]
	s_delay_alu instid0(VALU_DEP_2) | instskip(NEXT) | instid1(VALU_DEP_2)
	v_fma_f64 v[64:65], v[60:61], v[52:53], -v[64:65]
	v_fmac_f64_e32 v[54:55], v[62:63], v[52:53]
	s_delay_alu instid0(VALU_DEP_2) | instskip(NEXT) | instid1(VALU_DEP_2)
	v_add_f64_e32 v[52:53], v[6:7], v[64:65]
	v_add_f64_e32 v[54:55], v[54:55], v[8:9]
	v_mul_f64_e32 v[6:7], v[62:63], v[58:59]
	v_mul_f64_e32 v[8:9], v[60:61], v[58:59]
	s_delay_alu instid0(VALU_DEP_2) | instskip(NEXT) | instid1(VALU_DEP_2)
	v_fma_f64 v[6:7], v[60:61], v[56:57], -v[6:7]
	v_fmac_f64_e32 v[8:9], v[62:63], v[56:57]
	s_delay_alu instid0(VALU_DEP_2) | instskip(NEXT) | instid1(VALU_DEP_2)
	v_add_f64_e32 v[56:57], v[2:3], v[6:7]
	v_add_f64_e32 v[58:59], v[8:9], v[4:5]
	ds_load_b128 v[2:5], v68 offset:416
	ds_load_b128 v[6:9], v67 offset:13312
	s_wait_dscnt 0x0
	v_mul_f64_e32 v[60:61], v[4:5], v[8:9]
	v_mul_f64_e32 v[62:63], v[2:3], v[8:9]
	s_delay_alu instid0(VALU_DEP_2) | instskip(NEXT) | instid1(VALU_DEP_2)
	v_fma_f64 v[60:61], v[2:3], v[6:7], -v[60:61]
	v_fmac_f64_e32 v[62:63], v[4:5], v[6:7]
	s_delay_alu instid0(VALU_DEP_2) | instskip(NEXT) | instid1(VALU_DEP_2)
	v_add_f64_e32 v[60:61], v[48:49], v[60:61]
	v_add_f64_e32 v[62:63], v[62:63], v[50:51]
	ds_load_b128 v[48:51], v67 offset:13568
	s_wait_dscnt 0x0
	v_mul_f64_e32 v[64:65], v[4:5], v[50:51]
	s_delay_alu instid0(VALU_DEP_1) | instskip(SKIP_1) | instid1(VALU_DEP_2)
	v_fma_f64 v[64:65], v[2:3], v[48:49], -v[64:65]
	v_mul_f64_e32 v[2:3], v[2:3], v[50:51]
	v_add_f64_e32 v[64:65], v[10:11], v[64:65]
	s_delay_alu instid0(VALU_DEP_2) | instskip(NEXT) | instid1(VALU_DEP_1)
	v_fmac_f64_e32 v[2:3], v[4:5], v[48:49]
	v_add_f64_e32 v[76:77], v[2:3], v[12:13]
	ds_load_b128 v[2:5], v68 offset:8608
	s_wait_dscnt 0x0
	v_mul_f64_e32 v[10:11], v[4:5], v[8:9]
	v_mul_f64_e32 v[8:9], v[2:3], v[8:9]
	s_delay_alu instid0(VALU_DEP_2) | instskip(NEXT) | instid1(VALU_DEP_2)
	v_fma_f64 v[10:11], v[2:3], v[6:7], -v[10:11]
	v_fmac_f64_e32 v[8:9], v[4:5], v[6:7]
	v_mul_f64_e32 v[6:7], v[4:5], v[50:51]
	s_delay_alu instid0(VALU_DEP_3) | instskip(NEXT) | instid1(VALU_DEP_3)
	v_add_f64_e32 v[10:11], v[52:53], v[10:11]
	v_add_f64_e32 v[12:13], v[8:9], v[54:55]
	s_delay_alu instid0(VALU_DEP_3) | instskip(SKIP_1) | instid1(VALU_DEP_1)
	v_fma_f64 v[6:7], v[2:3], v[48:49], -v[6:7]
	v_mul_f64_e32 v[2:3], v[2:3], v[50:51]
	v_fmac_f64_e32 v[2:3], v[4:5], v[48:49]
	s_delay_alu instid0(VALU_DEP_3) | instskip(NEXT) | instid1(VALU_DEP_2)
	v_add_f64_e32 v[48:49], v[56:57], v[6:7]
	v_add_f64_e32 v[50:51], v[2:3], v[58:59]
	ds_load_b128 v[2:5], v68 offset:432
	ds_load_b128 v[52:55], v67 offset:13824
	;; [unrolled: 1-line block ×3, first 2 shown]
	s_wait_dscnt 0x1
	v_mul_f64_e32 v[6:7], v[4:5], v[54:55]
	v_mul_f64_e32 v[8:9], v[2:3], v[54:55]
	s_delay_alu instid0(VALU_DEP_2) | instskip(NEXT) | instid1(VALU_DEP_2)
	v_fma_f64 v[6:7], v[2:3], v[52:53], -v[6:7]
	v_fmac_f64_e32 v[8:9], v[4:5], v[52:53]
	s_delay_alu instid0(VALU_DEP_2) | instskip(NEXT) | instid1(VALU_DEP_2)
	v_add_f64_e32 v[6:7], v[60:61], v[6:7]
	v_add_f64_e32 v[8:9], v[8:9], v[62:63]
	s_wait_dscnt 0x0
	v_mul_f64_e32 v[60:61], v[4:5], v[58:59]
	v_mul_f64_e32 v[62:63], v[2:3], v[58:59]
	s_delay_alu instid0(VALU_DEP_2) | instskip(NEXT) | instid1(VALU_DEP_2)
	v_fma_f64 v[60:61], v[2:3], v[56:57], -v[60:61]
	v_fmac_f64_e32 v[62:63], v[4:5], v[56:57]
	s_delay_alu instid0(VALU_DEP_2) | instskip(NEXT) | instid1(VALU_DEP_2)
	v_add_f64_e32 v[2:3], v[64:65], v[60:61]
	v_add_f64_e32 v[4:5], v[62:63], v[76:77]
	ds_load_b128 v[60:63], v68 offset:8624
	s_wait_dscnt 0x0
	v_mul_f64_e32 v[64:65], v[62:63], v[54:55]
	v_mul_f64_e32 v[54:55], v[60:61], v[54:55]
	s_delay_alu instid0(VALU_DEP_2) | instskip(NEXT) | instid1(VALU_DEP_2)
	v_fma_f64 v[64:65], v[60:61], v[52:53], -v[64:65]
	v_fmac_f64_e32 v[54:55], v[62:63], v[52:53]
	v_mul_f64_e32 v[52:53], v[62:63], v[58:59]
	s_delay_alu instid0(VALU_DEP_3) | instskip(NEXT) | instid1(VALU_DEP_3)
	v_add_f64_e32 v[10:11], v[10:11], v[64:65]
	v_add_f64_e32 v[12:13], v[54:55], v[12:13]
	v_mul_f64_e32 v[54:55], v[60:61], v[58:59]
	s_delay_alu instid0(VALU_DEP_4) | instskip(NEXT) | instid1(VALU_DEP_2)
	v_fma_f64 v[52:53], v[60:61], v[56:57], -v[52:53]
	v_fmac_f64_e32 v[54:55], v[62:63], v[56:57]
	s_delay_alu instid0(VALU_DEP_2) | instskip(NEXT) | instid1(VALU_DEP_2)
	v_add_f64_e32 v[52:53], v[48:49], v[52:53]
	v_add_f64_e32 v[54:55], v[54:55], v[50:51]
	ds_load_b128 v[48:51], v68 offset:448
	ds_load_b128 v[56:59], v67 offset:14336
	s_wait_dscnt 0x0
	v_mul_f64_e32 v[60:61], v[50:51], v[58:59]
	v_mul_f64_e32 v[62:63], v[48:49], v[58:59]
	s_delay_alu instid0(VALU_DEP_2) | instskip(NEXT) | instid1(VALU_DEP_2)
	v_fma_f64 v[60:61], v[48:49], v[56:57], -v[60:61]
	v_fmac_f64_e32 v[62:63], v[50:51], v[56:57]
	s_delay_alu instid0(VALU_DEP_2) | instskip(NEXT) | instid1(VALU_DEP_2)
	v_add_f64_e32 v[60:61], v[6:7], v[60:61]
	v_add_f64_e32 v[62:63], v[62:63], v[8:9]
	ds_load_b128 v[6:9], v67 offset:14592
	s_wait_dscnt 0x0
	v_mul_f64_e32 v[64:65], v[50:51], v[8:9]
	s_delay_alu instid0(VALU_DEP_1) | instskip(SKIP_1) | instid1(VALU_DEP_2)
	v_fma_f64 v[64:65], v[48:49], v[6:7], -v[64:65]
	v_mul_f64_e32 v[48:49], v[48:49], v[8:9]
	v_add_f64_e32 v[64:65], v[2:3], v[64:65]
	s_delay_alu instid0(VALU_DEP_2) | instskip(NEXT) | instid1(VALU_DEP_1)
	v_fmac_f64_e32 v[48:49], v[50:51], v[6:7]
	v_add_f64_e32 v[76:77], v[48:49], v[4:5]
	ds_load_b128 v[2:5], v68 offset:8640
	s_wait_dscnt 0x0
	v_mul_f64_e32 v[48:49], v[4:5], v[58:59]
	v_mul_f64_e32 v[50:51], v[2:3], v[58:59]
	s_delay_alu instid0(VALU_DEP_2) | instskip(NEXT) | instid1(VALU_DEP_2)
	v_fma_f64 v[48:49], v[2:3], v[56:57], -v[48:49]
	v_fmac_f64_e32 v[50:51], v[4:5], v[56:57]
	s_delay_alu instid0(VALU_DEP_2) | instskip(SKIP_1) | instid1(VALU_DEP_3)
	v_add_f64_e32 v[48:49], v[10:11], v[48:49]
	v_mul_f64_e32 v[10:11], v[4:5], v[8:9]
	v_add_f64_e32 v[50:51], v[50:51], v[12:13]
	s_delay_alu instid0(VALU_DEP_2) | instskip(SKIP_1) | instid1(VALU_DEP_2)
	v_fma_f64 v[10:11], v[2:3], v[6:7], -v[10:11]
	v_mul_f64_e32 v[2:3], v[2:3], v[8:9]
	v_add_f64_e32 v[10:11], v[52:53], v[10:11]
	s_delay_alu instid0(VALU_DEP_2) | instskip(NEXT) | instid1(VALU_DEP_1)
	v_fmac_f64_e32 v[2:3], v[4:5], v[6:7]
	v_add_f64_e32 v[12:13], v[2:3], v[54:55]
	ds_load_b128 v[52:55], v68 offset:464
	ds_load_b128 v[6:9], v67 offset:14848
	s_wait_dscnt 0x0
	v_mul_f64_e32 v[2:3], v[54:55], v[8:9]
	v_mul_f64_e32 v[4:5], v[52:53], v[8:9]
	s_delay_alu instid0(VALU_DEP_2) | instskip(NEXT) | instid1(VALU_DEP_2)
	v_fma_f64 v[2:3], v[52:53], v[6:7], -v[2:3]
	v_fmac_f64_e32 v[4:5], v[54:55], v[6:7]
	s_delay_alu instid0(VALU_DEP_2) | instskip(NEXT) | instid1(VALU_DEP_2)
	v_add_f64_e32 v[56:57], v[60:61], v[2:3]
	v_add_f64_e32 v[58:59], v[4:5], v[62:63]
	ds_load_b128 v[2:5], v67 offset:15104
	s_wait_dscnt 0x0
	v_mul_f64_e32 v[60:61], v[54:55], v[4:5]
	v_mul_f64_e32 v[62:63], v[52:53], v[4:5]
	s_delay_alu instid0(VALU_DEP_2) | instskip(NEXT) | instid1(VALU_DEP_2)
	v_fma_f64 v[60:61], v[52:53], v[2:3], -v[60:61]
	v_fmac_f64_e32 v[62:63], v[54:55], v[2:3]
	s_delay_alu instid0(VALU_DEP_2) | instskip(NEXT) | instid1(VALU_DEP_2)
	v_add_f64_e32 v[52:53], v[64:65], v[60:61]
	v_add_f64_e32 v[54:55], v[62:63], v[76:77]
	ds_load_b128 v[60:63], v68 offset:8656
	s_wait_dscnt 0x0
	v_mul_f64_e32 v[64:65], v[62:63], v[8:9]
	v_mul_f64_e32 v[8:9], v[60:61], v[8:9]
	s_delay_alu instid0(VALU_DEP_2) | instskip(NEXT) | instid1(VALU_DEP_2)
	v_fma_f64 v[64:65], v[60:61], v[6:7], -v[64:65]
	v_fmac_f64_e32 v[8:9], v[62:63], v[6:7]
	v_mul_f64_e32 v[6:7], v[62:63], v[4:5]
	v_mul_f64_e32 v[4:5], v[60:61], v[4:5]
	s_delay_alu instid0(VALU_DEP_4) | instskip(NEXT) | instid1(VALU_DEP_4)
	v_add_f64_e32 v[64:65], v[48:49], v[64:65]
	v_add_f64_e32 v[76:77], v[8:9], v[50:51]
	s_delay_alu instid0(VALU_DEP_4) | instskip(NEXT) | instid1(VALU_DEP_4)
	v_fma_f64 v[6:7], v[60:61], v[2:3], -v[6:7]
	v_fmac_f64_e32 v[4:5], v[62:63], v[2:3]
	s_delay_alu instid0(VALU_DEP_2)
	v_add_f64_e32 v[62:63], v[10:11], v[6:7]
	ds_load_b128 v[6:9], v68 offset:480
	ds_load_b128 v[48:51], v67 offset:15360
	v_add_f64_e32 v[78:79], v[4:5], v[12:13]
	s_wait_dscnt 0x0
	v_mul_f64_e32 v[2:3], v[8:9], v[50:51]
	v_mul_f64_e32 v[4:5], v[6:7], v[50:51]
	s_delay_alu instid0(VALU_DEP_2) | instskip(NEXT) | instid1(VALU_DEP_2)
	v_fma_f64 v[2:3], v[6:7], v[48:49], -v[2:3]
	v_fmac_f64_e32 v[4:5], v[8:9], v[48:49]
	s_delay_alu instid0(VALU_DEP_2) | instskip(NEXT) | instid1(VALU_DEP_2)
	v_add_f64_e32 v[2:3], v[56:57], v[2:3]
	v_add_f64_e32 v[4:5], v[4:5], v[58:59]
	ds_load_b128 v[56:59], v67 offset:15616
	s_wait_dscnt 0x0
	v_mul_f64_e32 v[10:11], v[8:9], v[58:59]
	s_delay_alu instid0(VALU_DEP_1) | instskip(SKIP_1) | instid1(VALU_DEP_2)
	v_fma_f64 v[10:11], v[6:7], v[56:57], -v[10:11]
	v_mul_f64_e32 v[6:7], v[6:7], v[58:59]
	v_add_f64_e32 v[10:11], v[52:53], v[10:11]
	s_delay_alu instid0(VALU_DEP_2) | instskip(NEXT) | instid1(VALU_DEP_1)
	v_fmac_f64_e32 v[6:7], v[8:9], v[56:57]
	v_add_f64_e32 v[12:13], v[6:7], v[54:55]
	ds_load_b128 v[6:9], v68 offset:8672
	s_wait_dscnt 0x0
	v_mul_f64_e32 v[52:53], v[8:9], v[50:51]
	v_mul_f64_e32 v[50:51], v[6:7], v[50:51]
	s_delay_alu instid0(VALU_DEP_2) | instskip(NEXT) | instid1(VALU_DEP_2)
	v_fma_f64 v[52:53], v[6:7], v[48:49], -v[52:53]
	v_fmac_f64_e32 v[50:51], v[8:9], v[48:49]
	v_mul_f64_e32 v[48:49], v[8:9], v[58:59]
	s_delay_alu instid0(VALU_DEP_3) | instskip(NEXT) | instid1(VALU_DEP_3)
	v_add_f64_e32 v[60:61], v[64:65], v[52:53]
	v_add_f64_e32 v[64:65], v[50:51], v[76:77]
	s_delay_alu instid0(VALU_DEP_3) | instskip(SKIP_1) | instid1(VALU_DEP_1)
	v_fma_f64 v[48:49], v[6:7], v[56:57], -v[48:49]
	v_mul_f64_e32 v[6:7], v[6:7], v[58:59]
	v_fmac_f64_e32 v[6:7], v[8:9], v[56:57]
	s_delay_alu instid0(VALU_DEP_3) | instskip(NEXT) | instid1(VALU_DEP_2)
	v_add_f64_e32 v[56:57], v[62:63], v[48:49]
	v_add_f64_e32 v[58:59], v[6:7], v[78:79]
	ds_load_b128 v[48:51], v68 offset:496
	ds_load_b128 v[6:9], v67 offset:15872
	s_wait_dscnt 0x0
	v_mul_f64_e32 v[52:53], v[50:51], v[8:9]
	v_mul_f64_e32 v[54:55], v[48:49], v[8:9]
	s_delay_alu instid0(VALU_DEP_2) | instskip(NEXT) | instid1(VALU_DEP_2)
	v_fma_f64 v[52:53], v[48:49], v[6:7], -v[52:53]
	v_fmac_f64_e32 v[54:55], v[50:51], v[6:7]
	s_delay_alu instid0(VALU_DEP_2) | instskip(NEXT) | instid1(VALU_DEP_2)
	v_add_f64_e32 v[52:53], v[2:3], v[52:53]
	v_add_f64_e32 v[54:55], v[54:55], v[4:5]
	ds_load_b128 v[2:5], v67 offset:16128
	s_wait_dscnt 0x0
	v_mul_f64_e32 v[62:63], v[50:51], v[4:5]
	v_mul_f64_e32 v[76:77], v[48:49], v[4:5]
	s_delay_alu instid0(VALU_DEP_2) | instskip(NEXT) | instid1(VALU_DEP_2)
	v_fma_f64 v[62:63], v[48:49], v[2:3], -v[62:63]
	v_fmac_f64_e32 v[76:77], v[50:51], v[2:3]
	s_delay_alu instid0(VALU_DEP_2) | instskip(NEXT) | instid1(VALU_DEP_2)
	v_add_f64_e32 v[48:49], v[10:11], v[62:63]
	v_add_f64_e32 v[50:51], v[76:77], v[12:13]
	ds_load_b128 v[10:13], v68 offset:8688
	s_wait_dscnt 0x0
	s_barrier_signal -1
	s_barrier_wait -1
	v_mul_f64_e32 v[62:63], v[12:13], v[8:9]
	v_mul_f64_e32 v[8:9], v[10:11], v[8:9]
	s_delay_alu instid0(VALU_DEP_2) | instskip(NEXT) | instid1(VALU_DEP_2)
	v_fma_f64 v[62:63], v[10:11], v[6:7], -v[62:63]
	v_fmac_f64_e32 v[8:9], v[12:13], v[6:7]
	v_mul_f64_e32 v[6:7], v[12:13], v[4:5]
	v_mul_f64_e32 v[4:5], v[10:11], v[4:5]
	s_delay_alu instid0(VALU_DEP_4) | instskip(NEXT) | instid1(VALU_DEP_4)
	v_add_f64_e32 v[62:63], v[60:61], v[62:63]
	v_add_f64_e32 v[60:61], v[8:9], v[64:65]
	s_delay_alu instid0(VALU_DEP_4) | instskip(NEXT) | instid1(VALU_DEP_4)
	v_fma_f64 v[6:7], v[10:11], v[2:3], -v[6:7]
	v_fmac_f64_e32 v[4:5], v[12:13], v[2:3]
	s_delay_alu instid0(VALU_DEP_2) | instskip(NEXT) | instid1(VALU_DEP_2)
	v_add_f64_e32 v[64:65], v[56:57], v[6:7]
	v_add_f64_e32 v[56:57], v[4:5], v[58:59]
	s_cbranch_scc1 .LBB117_59
.LBB117_10:                             ;   Parent Loop BB117_4 Depth=1
                                        ;     Parent Loop BB117_7 Depth=2
                                        ; =>    This Inner Loop Header: Depth=3
	v_add_nc_u64_e32 v[6:7], s[46:47], v[16:17]
	v_cmp_eq_u64_e64 s7, s[46:47], v[22:23]
	v_add_nc_u64_e32 v[4:5], s[36:37], v[36:37]
	s_delay_alu instid0(VALU_DEP_3) | instskip(SKIP_3) | instid1(SALU_CYCLE_1)
	v_cmp_le_i64_e64 s6, s[42:43], v[6:7]
	v_cmp_lt_i64_e64 s5, v[6:7], v[14:15]
	s_and_b32 s56, s52, s7
	s_or_b32 s7, s6, s5
	s_or_b32 s7, s7, s56
	s_delay_alu instid0(SALU_CYCLE_1) | instskip(NEXT) | instid1(SALU_CYCLE_1)
	s_nor_b32 s7, s0, s7
	s_and_saveexec_b32 s8, s7
	s_delay_alu instid0(SALU_CYCLE_1)
	s_xor_b32 s7, exec_lo, s8
	s_cbranch_execz .LBB117_12
; %bb.11:                               ;   in Loop: Header=BB117_10 Depth=3
	global_load_b128 v[8:11], v[4:5], off
	s_wait_loadcnt 0x0
	v_xor_b32_e32 v11, 0x80000000, v11
	ds_store_b128 v70, v[8:11]
.LBB117_12:                             ;   in Loop: Header=BB117_10 Depth=3
	s_wait_xcnt 0x0
	s_or_saveexec_b32 s7, s7
	s_xor_b32 s55, s56, -1
	s_xor_b32 exec_lo, exec_lo, s7
	s_cbranch_execz .LBB117_18
; %bb.13:                               ;   in Loop: Header=BB117_10 Depth=3
	s_and_saveexec_b32 s8, s55
	s_delay_alu instid0(SALU_CYCLE_1)
	s_xor_b32 s8, exec_lo, s8
; %bb.14:                               ;   in Loop: Header=BB117_10 Depth=3
	v_dual_mov_b32 v8, v0 :: v_dual_mov_b32 v9, v0
	v_dual_mov_b32 v10, v0 :: v_dual_mov_b32 v11, v0
	ds_store_b128 v70, v[8:11]
; %bb.15:                               ;   in Loop: Header=BB117_10 Depth=3
	s_and_not1_saveexec_b32 s8, s8
; %bb.16:                               ;   in Loop: Header=BB117_10 Depth=3
	v_dual_mov_b32 v2, v0 :: v_dual_mov_b32 v3, v0
	ds_store_b128 v70, v[0:3]
; %bb.17:                               ;   in Loop: Header=BB117_10 Depth=3
	s_or_b32 exec_lo, exec_lo, s8
.LBB117_18:                             ;   in Loop: Header=BB117_10 Depth=3
	s_delay_alu instid0(SALU_CYCLE_1)
	s_or_b32 exec_lo, exec_lo, s7
	v_cmp_eq_u64_e64 s7, s[46:47], v[24:25]
	v_cmp_gt_i64_e64 s8, v[20:21], v[6:7]
	v_add_nc_u64_e32 v[8:9], s[36:37], v[38:39]
	s_and_b32 s7, s52, s7
	s_or_b32 s6, s6, s8
	s_delay_alu instid0(SALU_CYCLE_1) | instskip(NEXT) | instid1(SALU_CYCLE_1)
	s_or_b32 s6, s6, s7
	s_nor_b32 s6, s3, s6
	s_delay_alu instid0(SALU_CYCLE_1) | instskip(NEXT) | instid1(SALU_CYCLE_1)
	s_and_saveexec_b32 s8, s6
	s_xor_b32 s6, exec_lo, s8
	s_cbranch_execz .LBB117_20
; %bb.19:                               ;   in Loop: Header=BB117_10 Depth=3
	global_load_b128 v[10:13], v[8:9], off
	s_wait_loadcnt 0x0
	v_xor_b32_e32 v13, 0x80000000, v13
	ds_store_b128 v70, v[10:13] offset:256
.LBB117_20:                             ;   in Loop: Header=BB117_10 Depth=3
	s_wait_xcnt 0x0
	s_and_not1_saveexec_b32 s6, s6
	s_cbranch_execz .LBB117_26
; %bb.21:                               ;   in Loop: Header=BB117_10 Depth=3
	s_xor_b32 s7, s7, -1
	s_delay_alu instid0(SALU_CYCLE_1) | instskip(NEXT) | instid1(SALU_CYCLE_1)
	s_and_saveexec_b32 s8, s7
	s_xor_b32 s7, exec_lo, s8
; %bb.22:                               ;   in Loop: Header=BB117_10 Depth=3
	v_dual_mov_b32 v10, v0 :: v_dual_mov_b32 v11, v0
	v_dual_mov_b32 v12, v0 :: v_dual_mov_b32 v13, v0
	ds_store_b128 v70, v[10:13] offset:256
; %bb.23:                               ;   in Loop: Header=BB117_10 Depth=3
	s_and_not1_saveexec_b32 s7, s7
; %bb.24:                               ;   in Loop: Header=BB117_10 Depth=3
	v_dual_mov_b32 v2, v0 :: v_dual_mov_b32 v3, v0
	ds_store_b128 v70, v[0:3] offset:256
; %bb.25:                               ;   in Loop: Header=BB117_10 Depth=3
	s_or_b32 exec_lo, exec_lo, s7
.LBB117_26:                             ;   in Loop: Header=BB117_10 Depth=3
	s_delay_alu instid0(SALU_CYCLE_1) | instskip(SKIP_2) | instid1(VALU_DEP_2)
	s_or_b32 exec_lo, exec_lo, s6
	v_add_nc_u64_e32 v[2:3], 16, v[6:7]
	v_cmp_eq_u64_e64 s7, s[46:47], v[26:27]
	v_cmp_le_i64_e64 s6, s[42:43], v[2:3]
	v_cmp_lt_i64_e64 s8, v[2:3], v[14:15]
	s_and_b32 s57, s52, s7
	s_or_b32 s7, s6, s8
	s_delay_alu instid0(SALU_CYCLE_1) | instskip(NEXT) | instid1(SALU_CYCLE_1)
	s_or_b32 s7, s7, s57
	s_nor_b32 s7, s0, s7
	s_delay_alu instid0(SALU_CYCLE_1) | instskip(NEXT) | instid1(SALU_CYCLE_1)
	s_and_saveexec_b32 s8, s7
	s_xor_b32 s7, exec_lo, s8
	s_cbranch_execz .LBB117_28
; %bb.27:                               ;   in Loop: Header=BB117_10 Depth=3
	global_load_b128 v[2:5], v[4:5], off offset:256
	s_wait_loadcnt 0x0
	s_wait_xcnt 0x0
	v_xor_b32_e32 v5, 0x80000000, v5
	ds_store_b128 v70, v[2:5] offset:8192
.LBB117_28:                             ;   in Loop: Header=BB117_10 Depth=3
	s_and_not1_saveexec_b32 s7, s7
	s_cbranch_execz .LBB117_34
; %bb.29:                               ;   in Loop: Header=BB117_10 Depth=3
	s_xor_b32 s8, s57, -1
	s_delay_alu instid0(SALU_CYCLE_1) | instskip(NEXT) | instid1(SALU_CYCLE_1)
	s_and_saveexec_b32 s57, s8
	s_xor_b32 s8, exec_lo, s57
; %bb.30:                               ;   in Loop: Header=BB117_10 Depth=3
	v_dual_mov_b32 v2, v0 :: v_dual_mov_b32 v3, v0
	v_dual_mov_b32 v4, v0 :: v_dual_mov_b32 v5, v0
	ds_store_b128 v70, v[2:5] offset:8192
; %bb.31:                               ;   in Loop: Header=BB117_10 Depth=3
	s_and_not1_saveexec_b32 s8, s8
; %bb.32:                               ;   in Loop: Header=BB117_10 Depth=3
	v_dual_mov_b32 v2, v0 :: v_dual_mov_b32 v3, v0
	ds_store_b128 v70, v[0:3] offset:8192
; %bb.33:                               ;   in Loop: Header=BB117_10 Depth=3
	s_or_b32 exec_lo, exec_lo, s8
.LBB117_34:                             ;   in Loop: Header=BB117_10 Depth=3
	s_delay_alu instid0(SALU_CYCLE_1) | instskip(SKIP_1) | instid1(SALU_CYCLE_1)
	s_or_b32 exec_lo, exec_lo, s7
	s_or_b32 s5, s6, s5
	s_or_b32 s5, s5, s56
	s_delay_alu instid0(SALU_CYCLE_1) | instskip(NEXT) | instid1(SALU_CYCLE_1)
	s_nor_b32 s5, s3, s5
	s_and_saveexec_b32 s6, s5
	s_delay_alu instid0(SALU_CYCLE_1)
	s_xor_b32 s5, exec_lo, s6
	s_cbranch_execz .LBB117_36
; %bb.35:                               ;   in Loop: Header=BB117_10 Depth=3
	global_load_b128 v[2:5], v[8:9], off offset:256
	s_wait_loadcnt 0x0
	v_xor_b32_e32 v5, 0x80000000, v5
	ds_store_b128 v70, v[2:5] offset:8448
.LBB117_36:                             ;   in Loop: Header=BB117_10 Depth=3
	s_wait_xcnt 0x0
	s_and_not1_saveexec_b32 s5, s5
	s_cbranch_execz .LBB117_42
; %bb.37:                               ;   in Loop: Header=BB117_10 Depth=3
	s_and_saveexec_b32 s6, s55
	s_delay_alu instid0(SALU_CYCLE_1)
	s_xor_b32 s6, exec_lo, s6
; %bb.38:                               ;   in Loop: Header=BB117_10 Depth=3
	v_dual_mov_b32 v2, v0 :: v_dual_mov_b32 v3, v0
	v_dual_mov_b32 v4, v0 :: v_dual_mov_b32 v5, v0
	ds_store_b128 v70, v[2:5] offset:8448
; %bb.39:                               ;   in Loop: Header=BB117_10 Depth=3
	s_and_not1_saveexec_b32 s6, s6
; %bb.40:                               ;   in Loop: Header=BB117_10 Depth=3
	v_dual_mov_b32 v2, v0 :: v_dual_mov_b32 v3, v0
	ds_store_b128 v70, v[0:3] offset:8448
; %bb.41:                               ;   in Loop: Header=BB117_10 Depth=3
	s_or_b32 exec_lo, exec_lo, s6
.LBB117_42:                             ;   in Loop: Header=BB117_10 Depth=3
	s_delay_alu instid0(SALU_CYCLE_1) | instskip(SKIP_1) | instid1(VALU_DEP_1)
	s_or_b32 exec_lo, exec_lo, s5
	v_add_nc_u64_e32 v[2:3], s[46:47], v[14:15]
	v_cmp_gt_i64_e64 s5, s[42:43], v[2:3]
	s_and_b32 s6, vcc_lo, s5
	s_delay_alu instid0(SALU_CYCLE_1) | instskip(NEXT) | instid1(SALU_CYCLE_1)
	s_xor_b32 s6, s6, -1
	s_and_saveexec_b32 s7, s6
	s_delay_alu instid0(SALU_CYCLE_1)
	s_xor_b32 s6, exec_lo, s7
; %bb.43:                               ;   in Loop: Header=BB117_10 Depth=3
	v_dual_mov_b32 v4, v0 :: v_dual_mov_b32 v5, v0
	v_dual_mov_b32 v6, v0 :: v_dual_mov_b32 v7, v0
	ds_store_b128 v69, v[4:7]
; %bb.44:                               ;   in Loop: Header=BB117_10 Depth=3
	s_or_saveexec_b32 s6, s6
	v_add_nc_u64_e32 v[4:5], s[36:37], v[44:45]
	s_xor_b32 exec_lo, exec_lo, s6
	s_cbranch_execz .LBB117_46
; %bb.45:                               ;   in Loop: Header=BB117_10 Depth=3
	global_load_b128 v[6:9], v[4:5], off offset:-256
	s_wait_loadcnt 0x0
	ds_store_2addr_b64 v69, v[6:7], v[8:9] offset1:1
.LBB117_46:                             ;   in Loop: Header=BB117_10 Depth=3
	s_wait_xcnt 0x0
	s_or_b32 exec_lo, exec_lo, s6
	v_cmp_gt_i64_e64 s6, s[20:21], v[2:3]
	s_and_b32 s7, vcc_lo, s6
	s_delay_alu instid0(SALU_CYCLE_1) | instskip(NEXT) | instid1(SALU_CYCLE_1)
	s_xor_b32 s7, s7, -1
	s_and_saveexec_b32 s8, s7
	s_delay_alu instid0(SALU_CYCLE_1)
	s_xor_b32 s7, exec_lo, s8
; %bb.47:                               ;   in Loop: Header=BB117_10 Depth=3
	v_dual_mov_b32 v2, v0 :: v_dual_mov_b32 v3, v0
	v_dual_mov_b32 v4, v0 :: v_dual_mov_b32 v5, v0
	ds_store_b128 v69, v[2:5] offset:256
                                        ; implicit-def: $vgpr4_vgpr5
; %bb.48:                               ;   in Loop: Header=BB117_10 Depth=3
	s_and_not1_saveexec_b32 s7, s7
	s_cbranch_execz .LBB117_50
; %bb.49:                               ;   in Loop: Header=BB117_10 Depth=3
	global_load_b128 v[2:5], v[4:5], off
	s_wait_loadcnt 0x0
	ds_store_2addr_b64 v71, v[2:3], v[4:5] offset1:1
.LBB117_50:                             ;   in Loop: Header=BB117_10 Depth=3
	s_wait_xcnt 0x0
	s_or_b32 exec_lo, exec_lo, s7
	s_and_b32 s5, s4, s5
	s_delay_alu instid0(SALU_CYCLE_1) | instskip(NEXT) | instid1(SALU_CYCLE_1)
	s_xor_b32 s5, s5, -1
	s_and_saveexec_b32 s7, s5
	s_delay_alu instid0(SALU_CYCLE_1)
	s_xor_b32 s5, exec_lo, s7
; %bb.51:                               ;   in Loop: Header=BB117_10 Depth=3
	v_dual_mov_b32 v2, v0 :: v_dual_mov_b32 v3, v0
	v_dual_mov_b32 v4, v0 :: v_dual_mov_b32 v5, v0
	ds_store_b128 v69, v[2:5] offset:8192
; %bb.52:                               ;   in Loop: Header=BB117_10 Depth=3
	s_or_saveexec_b32 s5, s5
	v_add_nc_u64_e32 v[2:3], s[36:37], v[46:47]
	s_xor_b32 exec_lo, exec_lo, s5
	s_cbranch_execz .LBB117_54
; %bb.53:                               ;   in Loop: Header=BB117_10 Depth=3
	global_load_b128 v[4:7], v[2:3], off offset:-256
	s_wait_loadcnt 0x0
	ds_store_2addr_b64 v72, v[4:5], v[6:7] offset1:1
.LBB117_54:                             ;   in Loop: Header=BB117_10 Depth=3
	s_wait_xcnt 0x0
	s_or_b32 exec_lo, exec_lo, s5
	s_and_b32 s5, s4, s6
	s_delay_alu instid0(SALU_CYCLE_1) | instskip(NEXT) | instid1(SALU_CYCLE_1)
	s_xor_b32 s5, s5, -1
	s_and_saveexec_b32 s6, s5
	s_delay_alu instid0(SALU_CYCLE_1)
	s_xor_b32 s5, exec_lo, s6
; %bb.55:                               ;   in Loop: Header=BB117_10 Depth=3
	v_dual_mov_b32 v2, v0 :: v_dual_mov_b32 v3, v0
	v_dual_mov_b32 v4, v0 :: v_dual_mov_b32 v5, v0
	ds_store_b128 v69, v[2:5] offset:8448
                                        ; implicit-def: $vgpr2_vgpr3
; %bb.56:                               ;   in Loop: Header=BB117_10 Depth=3
	s_and_not1_saveexec_b32 s5, s5
	s_cbranch_execz .LBB117_9
; %bb.57:                               ;   in Loop: Header=BB117_10 Depth=3
	global_load_b128 v[2:5], v[2:3], off
	s_wait_loadcnt 0x0
	ds_store_2addr_b64 v73, v[2:3], v[4:5] offset1:1
	s_branch .LBB117_9
.LBB117_58:                             ;   in Loop: Header=BB117_7 Depth=2
	v_mov_b64_e32 v[52:53], 0
	v_mov_b64_e32 v[54:55], 0
	;; [unrolled: 1-line block ×8, first 2 shown]
.LBB117_59:                             ;   in Loop: Header=BB117_7 Depth=2
	v_mul_u64_e32 v[2:3], s[24:25], v[42:43]
	v_cmp_gt_i32_e32 vcc_lo, s38, v42
	s_and_b32 s5, s1, vcc_lo
	s_delay_alu instid0(VALU_DEP_2)
	v_lshl_add_u64 v[2:3], v[2:3], 4, s[22:23]
	s_and_saveexec_b32 s4, s5
	s_cbranch_execz .LBB117_61
; %bb.60:                               ;   in Loop: Header=BB117_7 Depth=2
	s_delay_alu instid0(VALU_DEP_1)
	v_lshl_add_u64 v[8:9], v[14:15], 4, v[2:3]
	v_mul_f64_e32 v[10:11], s[30:31], v[54:55]
	v_mul_f64_e32 v[12:13], s[28:29], v[54:55]
	global_load_b128 v[4:7], v[8:9], off
	v_fma_f64 v[10:11], s[28:29], v[52:53], -v[10:11]
	v_fmac_f64_e32 v[12:13], s[30:31], v[52:53]
	s_wait_loadcnt 0x0
	s_delay_alu instid0(VALU_DEP_2) | instskip(NEXT) | instid1(VALU_DEP_2)
	v_add_f64_e32 v[4:5], v[4:5], v[10:11]
	v_add_f64_e32 v[6:7], v[12:13], v[6:7]
	global_store_b128 v[8:9], v[4:7], off
.LBB117_61:                             ;   in Loop: Header=BB117_7 Depth=2
	s_wait_xcnt 0x0
	s_or_b32 exec_lo, exec_lo, s4
	s_and_b32 s5, s2, vcc_lo
	s_delay_alu instid0(SALU_CYCLE_1)
	s_and_saveexec_b32 s4, s5
	s_cbranch_execz .LBB117_63
; %bb.62:                               ;   in Loop: Header=BB117_7 Depth=2
	v_lshl_add_u64 v[6:7], v[18:19], 4, v[2:3]
	v_mul_f64_e32 v[8:9], s[30:31], v[50:51]
	v_mul_f64_e32 v[10:11], s[28:29], v[50:51]
	global_load_b128 v[2:5], v[6:7], off
	v_fma_f64 v[8:9], s[28:29], v[48:49], -v[8:9]
	v_fmac_f64_e32 v[10:11], s[30:31], v[48:49]
	s_wait_loadcnt 0x0
	s_delay_alu instid0(VALU_DEP_2) | instskip(NEXT) | instid1(VALU_DEP_2)
	v_add_f64_e32 v[2:3], v[2:3], v[8:9]
	v_add_f64_e32 v[4:5], v[10:11], v[4:5]
	global_store_b128 v[6:7], v[2:5], off
.LBB117_63:                             ;   in Loop: Header=BB117_7 Depth=2
	s_wait_xcnt 0x0
	s_or_b32 exec_lo, exec_lo, s4
	v_add_nc_u32_e32 v2, 16, v42
	s_delay_alu instid0(VALU_DEP_1) | instskip(SKIP_1) | instid1(VALU_DEP_2)
	v_ashrrev_i32_e32 v3, 31, v2
	v_cmp_gt_i32_e32 vcc_lo, s38, v2
	v_mul_u64_e32 v[4:5], s[24:25], v[2:3]
	s_and_b32 s5, s1, vcc_lo
	s_delay_alu instid0(VALU_DEP_1)
	v_lshl_add_u64 v[2:3], v[4:5], 4, s[22:23]
	s_and_saveexec_b32 s4, s5
	s_cbranch_execz .LBB117_65
; %bb.64:                               ;   in Loop: Header=BB117_7 Depth=2
	s_delay_alu instid0(VALU_DEP_1)
	v_lshl_add_u64 v[8:9], v[14:15], 4, v[2:3]
	v_mul_f64_e32 v[10:11], s[30:31], v[60:61]
	v_mul_f64_e32 v[12:13], s[28:29], v[60:61]
	global_load_b128 v[4:7], v[8:9], off
	v_fma_f64 v[10:11], s[28:29], v[62:63], -v[10:11]
	v_fmac_f64_e32 v[12:13], s[30:31], v[62:63]
	s_wait_loadcnt 0x0
	s_delay_alu instid0(VALU_DEP_2) | instskip(NEXT) | instid1(VALU_DEP_2)
	v_add_f64_e32 v[4:5], v[4:5], v[10:11]
	v_add_f64_e32 v[6:7], v[12:13], v[6:7]
	global_store_b128 v[8:9], v[4:7], off
.LBB117_65:                             ;   in Loop: Header=BB117_7 Depth=2
	s_wait_xcnt 0x0
	s_or_b32 exec_lo, exec_lo, s4
	s_and_b32 s5, s2, vcc_lo
	s_delay_alu instid0(SALU_CYCLE_1)
	s_and_saveexec_b32 s4, s5
	s_cbranch_execz .LBB117_6
; %bb.66:                               ;   in Loop: Header=BB117_7 Depth=2
	v_lshl_add_u64 v[6:7], v[18:19], 4, v[2:3]
	v_mul_f64_e32 v[8:9], s[30:31], v[56:57]
	v_mul_f64_e32 v[10:11], s[28:29], v[56:57]
	global_load_b128 v[2:5], v[6:7], off
	v_fma_f64 v[8:9], s[28:29], v[64:65], -v[8:9]
	v_fmac_f64_e32 v[10:11], s[30:31], v[64:65]
	s_wait_loadcnt 0x0
	s_delay_alu instid0(VALU_DEP_2) | instskip(NEXT) | instid1(VALU_DEP_2)
	v_add_f64_e32 v[2:3], v[2:3], v[8:9]
	v_add_f64_e32 v[4:5], v[10:11], v[4:5]
	global_store_b128 v[6:7], v[2:5], off
	s_branch .LBB117_6
.LBB117_67:
	s_sendmsg sendmsg(MSG_DEALLOC_VGPRS)
	s_endpgm
	.section	.rodata,"a",@progbits
	.p2align	6, 0x0
	.amdhsa_kernel _ZL30rocblas_trmm_outofplace_kernelI19rocblas_complex_numIdELi32ELi2ELb1ELb0ELb1ELb1ES1_KS1_S1_Ev17rocblas_diagonal_iiT6_lPT7_lllS6_lllPT8_llli
		.amdhsa_group_segment_fixed_size 32768
		.amdhsa_private_segment_fixed_size 0
		.amdhsa_kernarg_size 400
		.amdhsa_user_sgpr_count 2
		.amdhsa_user_sgpr_dispatch_ptr 0
		.amdhsa_user_sgpr_queue_ptr 0
		.amdhsa_user_sgpr_kernarg_segment_ptr 1
		.amdhsa_user_sgpr_dispatch_id 0
		.amdhsa_user_sgpr_kernarg_preload_length 0
		.amdhsa_user_sgpr_kernarg_preload_offset 0
		.amdhsa_user_sgpr_private_segment_size 0
		.amdhsa_wavefront_size32 1
		.amdhsa_uses_dynamic_stack 0
		.amdhsa_enable_private_segment 0
		.amdhsa_system_sgpr_workgroup_id_x 1
		.amdhsa_system_sgpr_workgroup_id_y 1
		.amdhsa_system_sgpr_workgroup_id_z 1
		.amdhsa_system_sgpr_workgroup_info 0
		.amdhsa_system_vgpr_workitem_id 1
		.amdhsa_next_free_vgpr 90
		.amdhsa_next_free_sgpr 58
		.amdhsa_named_barrier_count 0
		.amdhsa_reserve_vcc 1
		.amdhsa_float_round_mode_32 0
		.amdhsa_float_round_mode_16_64 0
		.amdhsa_float_denorm_mode_32 3
		.amdhsa_float_denorm_mode_16_64 3
		.amdhsa_fp16_overflow 0
		.amdhsa_memory_ordered 1
		.amdhsa_forward_progress 1
		.amdhsa_inst_pref_size 67
		.amdhsa_round_robin_scheduling 0
		.amdhsa_exception_fp_ieee_invalid_op 0
		.amdhsa_exception_fp_denorm_src 0
		.amdhsa_exception_fp_ieee_div_zero 0
		.amdhsa_exception_fp_ieee_overflow 0
		.amdhsa_exception_fp_ieee_underflow 0
		.amdhsa_exception_fp_ieee_inexact 0
		.amdhsa_exception_int_div_zero 0
	.end_amdhsa_kernel
	.section	.text._ZL30rocblas_trmm_outofplace_kernelI19rocblas_complex_numIdELi32ELi2ELb1ELb0ELb1ELb1ES1_KS1_S1_Ev17rocblas_diagonal_iiT6_lPT7_lllS6_lllPT8_llli,"axG",@progbits,_ZL30rocblas_trmm_outofplace_kernelI19rocblas_complex_numIdELi32ELi2ELb1ELb0ELb1ELb1ES1_KS1_S1_Ev17rocblas_diagonal_iiT6_lPT7_lllS6_lllPT8_llli,comdat
.Lfunc_end117:
	.size	_ZL30rocblas_trmm_outofplace_kernelI19rocblas_complex_numIdELi32ELi2ELb1ELb0ELb1ELb1ES1_KS1_S1_Ev17rocblas_diagonal_iiT6_lPT7_lllS6_lllPT8_llli, .Lfunc_end117-_ZL30rocblas_trmm_outofplace_kernelI19rocblas_complex_numIdELi32ELi2ELb1ELb0ELb1ELb1ES1_KS1_S1_Ev17rocblas_diagonal_iiT6_lPT7_lllS6_lllPT8_llli
                                        ; -- End function
	.set _ZL30rocblas_trmm_outofplace_kernelI19rocblas_complex_numIdELi32ELi2ELb1ELb0ELb1ELb1ES1_KS1_S1_Ev17rocblas_diagonal_iiT6_lPT7_lllS6_lllPT8_llli.num_vgpr, 90
	.set _ZL30rocblas_trmm_outofplace_kernelI19rocblas_complex_numIdELi32ELi2ELb1ELb0ELb1ELb1ES1_KS1_S1_Ev17rocblas_diagonal_iiT6_lPT7_lllS6_lllPT8_llli.num_agpr, 0
	.set _ZL30rocblas_trmm_outofplace_kernelI19rocblas_complex_numIdELi32ELi2ELb1ELb0ELb1ELb1ES1_KS1_S1_Ev17rocblas_diagonal_iiT6_lPT7_lllS6_lllPT8_llli.numbered_sgpr, 58
	.set _ZL30rocblas_trmm_outofplace_kernelI19rocblas_complex_numIdELi32ELi2ELb1ELb0ELb1ELb1ES1_KS1_S1_Ev17rocblas_diagonal_iiT6_lPT7_lllS6_lllPT8_llli.num_named_barrier, 0
	.set _ZL30rocblas_trmm_outofplace_kernelI19rocblas_complex_numIdELi32ELi2ELb1ELb0ELb1ELb1ES1_KS1_S1_Ev17rocblas_diagonal_iiT6_lPT7_lllS6_lllPT8_llli.private_seg_size, 0
	.set _ZL30rocblas_trmm_outofplace_kernelI19rocblas_complex_numIdELi32ELi2ELb1ELb0ELb1ELb1ES1_KS1_S1_Ev17rocblas_diagonal_iiT6_lPT7_lllS6_lllPT8_llli.uses_vcc, 1
	.set _ZL30rocblas_trmm_outofplace_kernelI19rocblas_complex_numIdELi32ELi2ELb1ELb0ELb1ELb1ES1_KS1_S1_Ev17rocblas_diagonal_iiT6_lPT7_lllS6_lllPT8_llli.uses_flat_scratch, 0
	.set _ZL30rocblas_trmm_outofplace_kernelI19rocblas_complex_numIdELi32ELi2ELb1ELb0ELb1ELb1ES1_KS1_S1_Ev17rocblas_diagonal_iiT6_lPT7_lllS6_lllPT8_llli.has_dyn_sized_stack, 0
	.set _ZL30rocblas_trmm_outofplace_kernelI19rocblas_complex_numIdELi32ELi2ELb1ELb0ELb1ELb1ES1_KS1_S1_Ev17rocblas_diagonal_iiT6_lPT7_lllS6_lllPT8_llli.has_recursion, 0
	.set _ZL30rocblas_trmm_outofplace_kernelI19rocblas_complex_numIdELi32ELi2ELb1ELb0ELb1ELb1ES1_KS1_S1_Ev17rocblas_diagonal_iiT6_lPT7_lllS6_lllPT8_llli.has_indirect_call, 0
	.section	.AMDGPU.csdata,"",@progbits
; Kernel info:
; codeLenInByte = 8476
; TotalNumSgprs: 60
; NumVgprs: 90
; ScratchSize: 0
; MemoryBound: 0
; FloatMode: 240
; IeeeMode: 1
; LDSByteSize: 32768 bytes/workgroup (compile time only)
; SGPRBlocks: 0
; VGPRBlocks: 5
; NumSGPRsForWavesPerEU: 60
; NumVGPRsForWavesPerEU: 90
; NamedBarCnt: 0
; Occupancy: 10
; WaveLimiterHint : 0
; COMPUTE_PGM_RSRC2:SCRATCH_EN: 0
; COMPUTE_PGM_RSRC2:USER_SGPR: 2
; COMPUTE_PGM_RSRC2:TRAP_HANDLER: 0
; COMPUTE_PGM_RSRC2:TGID_X_EN: 1
; COMPUTE_PGM_RSRC2:TGID_Y_EN: 1
; COMPUTE_PGM_RSRC2:TGID_Z_EN: 1
; COMPUTE_PGM_RSRC2:TIDIG_COMP_CNT: 1
	.section	.text._ZL30rocblas_trmm_outofplace_kernelI19rocblas_complex_numIdELi32ELi2ELb1ELb1ELb1ELb1EPKS1_S2_S1_Ev17rocblas_diagonal_iiT6_lPT7_lllS7_lllPT8_llli,"axG",@progbits,_ZL30rocblas_trmm_outofplace_kernelI19rocblas_complex_numIdELi32ELi2ELb1ELb1ELb1ELb1EPKS1_S2_S1_Ev17rocblas_diagonal_iiT6_lPT7_lllS7_lllPT8_llli,comdat
	.globl	_ZL30rocblas_trmm_outofplace_kernelI19rocblas_complex_numIdELi32ELi2ELb1ELb1ELb1ELb1EPKS1_S2_S1_Ev17rocblas_diagonal_iiT6_lPT7_lllS7_lllPT8_llli ; -- Begin function _ZL30rocblas_trmm_outofplace_kernelI19rocblas_complex_numIdELi32ELi2ELb1ELb1ELb1ELb1EPKS1_S2_S1_Ev17rocblas_diagonal_iiT6_lPT7_lllS7_lllPT8_llli
	.p2align	8
	.type	_ZL30rocblas_trmm_outofplace_kernelI19rocblas_complex_numIdELi32ELi2ELb1ELb1ELb1ELb1EPKS1_S2_S1_Ev17rocblas_diagonal_iiT6_lPT7_lllS7_lllPT8_llli,@function
_ZL30rocblas_trmm_outofplace_kernelI19rocblas_complex_numIdELi32ELi2ELb1ELb1ELb1ELb1EPKS1_S2_S1_Ev17rocblas_diagonal_iiT6_lPT7_lllS7_lllPT8_llli: ; @_ZL30rocblas_trmm_outofplace_kernelI19rocblas_complex_numIdELi32ELi2ELb1ELb1ELb1ELb1EPKS1_S2_S1_Ev17rocblas_diagonal_iiT6_lPT7_lllS7_lllPT8_llli
; %bb.0:
	s_load_b32 s11, s[0:1], 0x80
	s_bfe_u32 s2, ttmp6, 0x40014
	s_lshr_b32 s3, ttmp7, 16
	s_add_co_i32 s2, s2, 1
	s_bfe_u32 s5, ttmp6, 0x40008
	s_mul_i32 s4, s3, s2
	s_getreg_b32 s2, hwreg(HW_REG_IB_STS2, 6, 4)
	s_add_co_i32 s5, s5, s4
	s_cmp_eq_u32 s2, 0
	s_mov_b32 s35, 0
	s_cselect_b32 s34, s3, s5
	s_wait_kmcnt 0x0
	s_cmp_ge_u32 s34, s11
	s_cbranch_scc1 .LBB118_67
; %bb.1:
	s_clause 0x2
	s_load_b96 s[8:10], s[0:1], 0x0
	s_load_b256 s[36:43], s[0:1], 0x50
	s_load_b512 s[12:27], s[0:1], 0x10
	s_bfe_u32 s4, ttmp6, 0x4000c
	s_and_b32 s3, ttmp6, 15
	s_add_co_i32 s4, s4, 1
	s_bfe_u32 s5, ttmp6, 0x40010
	s_mul_i32 s4, ttmp9, s4
	s_and_b32 s6, ttmp7, 0xffff
	s_add_co_i32 s5, s5, 1
	s_add_co_i32 s3, s3, s4
	s_bfe_u32 s7, ttmp6, 0x40004
	s_mul_i32 s5, s6, s5
	v_and_b32_e32 v20, 0x3ff, v0
	s_add_co_i32 s7, s7, s5
	v_bfe_u32 v24, v0, 10, 10
	s_delay_alu instid0(VALU_DEP_2) | instskip(SKIP_2) | instid1(VALU_DEP_2)
	v_dual_mov_b32 v0, 0 :: v_dual_lshlrev_b32 v26, 4, v20
	s_wait_kmcnt 0x0
	s_add_co_i32 s28, s10, -1
	v_lshlrev_b32_e32 v1, 9, v24
	s_ashr_i32 s29, s28, 31
	v_mov_b32_e32 v25, v0
	s_lshr_b32 s4, s29, 27
	v_dual_mov_b32 v27, v0 :: v_dual_lshlrev_b32 v8, 4, v24
	s_add_co_i32 s28, s28, s4
	s_lshl_b64 s[4:5], s[42:43], 4
	s_ashr_i32 s33, s28, 5
	s_cmp_eq_u32 s2, 0
	s_load_b128 s[28:31], s[0:1], 0x70
	s_cselect_b32 s48, s6, s7
	s_cselect_b32 s2, ttmp9, s3
	s_cmp_le_i32 s48, s33
	s_add_nc_u64 s[40:41], s[40:41], s[4:5]
	s_cselect_b32 s49, -1, 0
	s_lshl_b32 s50, s2, 5
	s_cmp_gt_i32 s2, -1
	v_add_nc_u32_e32 v22, s50, v20
	s_cselect_b32 s51, -1, 0
	s_cmp_eq_u32 s8, 0x84
	s_mov_b32 s42, s9
	s_cselect_b32 s52, -1, 0
	v_ashrrev_i32_e32 v23, 31, v22
	s_lshl_b64 s[2:3], s[18:19], 4
	s_lshl_b64 s[4:5], s[26:27], 4
	v_dual_mov_b32 v21, v0 :: v_dual_add_nc_u32 v74, 0x4000, v1
	s_delay_alu instid0(VALU_DEP_2) | instskip(SKIP_2) | instid1(VALU_DEP_4)
	v_lshl_add_u64 v[4:5], v[22:23], 4, 0x100
	v_mul_u64_e32 v[2:3], s[20:21], v[22:23]
	v_dual_add_nc_u32 v76, v26, v1 :: v_dual_add_nc_u32 v28, 16, v22
	v_dual_mov_b32 v9, v0 :: v_dual_add_nc_u32 v75, v74, v26
	s_delay_alu instid0(VALU_DEP_4)
	v_mad_nc_u64_u32 v[6:7], s20, v4, s[2:3]
	s_add_nc_u64 s[4:5], s[24:25], s[4:5]
	v_add_nc_u64_e32 v[30:31], 16, v[22:23]
	v_sub_nc_u64_e32 v[32:33], v[22:23], v[24:25]
	s_ashr_i32 s43, s9, 31
	s_add_nc_u64 s[18:19], s[0:1], 0x88
	v_add_nc_u32_e32 v77, 0x100, v75
	v_add_nc_u32_e32 v78, 0x2000, v75
	;; [unrolled: 1-line block ×3, first 2 shown]
	v_lshl_add_u32 v80, s48, 5, v24
	v_add_nc_u64_e32 v[36:37], 16, v[32:33]
	v_mad_u32 v1, s21, v4, v7
	v_add_nc_u64_e32 v[38:39], -16, v[32:33]
	s_wait_xcnt 0x0
	v_cmp_le_i32_e64 s0, s9, v22
	v_cmp_gt_i32_e64 s1, s9, v22
	v_ashrrev_i32_e32 v29, 31, v28
	s_mov_b32 s44, s10
	s_ashr_i32 s45, s10, 31
	s_lshl_b64 s[24:25], s[36:37], 4
	s_lshl_b64 s[22:23], s[22:23], 4
	v_mad_u32 v7, s20, v5, v1
	v_add_nc_u64_e32 v[4:5], s[4:5], v[26:27]
	v_mov_b32_e32 v1, 0x3ff00000
	s_add_nc_u64 s[20:21], s[42:43], -16
	v_lshl_add_u64 v[2:3], v[2:3], 4, s[2:3]
	v_cmp_le_i64_e64 s3, s[42:43], v[30:31]
	v_cmp_gt_i32_e64 s2, s9, v28
	v_add_nc_u64_e32 v[34:35], 0x100, v[4:5]
	s_delay_alu instid0(VALU_DEP_4) | instskip(SKIP_1) | instid1(VALU_DEP_2)
	v_add_nc_u64_e32 v[2:3], v[2:3], v[8:9]
	v_add_nc_u64_e32 v[6:7], v[6:7], v[8:9]
	;; [unrolled: 1-line block ×3, first 2 shown]
	s_delay_alu instid0(VALU_DEP_2)
	v_add_nc_u64_e32 v[42:43], s[16:17], v[6:7]
	s_lshl_b64 s[16:17], s[38:39], 4
	s_branch .LBB118_4
.LBB118_2:                              ;   in Loop: Header=BB118_4 Depth=1
	s_add_co_i32 s34, s34, 0x10000
	s_delay_alu instid0(SALU_CYCLE_1)
	s_cmp_ge_u32 s34, s11
	s_cselect_b32 s4, -1, 0
.LBB118_3:                              ;   in Loop: Header=BB118_4 Depth=1
	s_delay_alu instid0(SALU_CYCLE_1)
	s_and_b32 vcc_lo, exec_lo, s4
	s_cbranch_vccnz .LBB118_67
.LBB118_4:                              ; =>This Loop Header: Depth=1
                                        ;     Child Loop BB118_8 Depth 2
                                        ;       Child Loop BB118_11 Depth 3
	s_mul_u64 s[4:5], s[14:15], s[34:35]
	s_delay_alu instid0(SALU_CYCLE_1) | instskip(NEXT) | instid1(SALU_CYCLE_1)
	s_lshl_b64 s[4:5], s[4:5], 4
	s_add_nc_u64 s[4:5], s[12:13], s[4:5]
	global_load_b128 v[4:7], v0, s[4:5]
	s_wait_loadcnt 0x0
	v_cmp_eq_f64_e32 vcc_lo, 0, v[4:5]
	s_wait_xcnt 0x0
	v_cmp_eq_f64_e64 s4, 0, v[6:7]
	s_and_b32 s4, vcc_lo, s4
	s_delay_alu instid0(SALU_CYCLE_1)
	s_and_b32 vcc_lo, exec_lo, s4
	s_mov_b32 s4, -1
	s_cbranch_vccnz .LBB118_3
; %bb.5:                                ;   in Loop: Header=BB118_4 Depth=1
	s_and_not1_b32 vcc_lo, exec_lo, s49
	s_cbranch_vccnz .LBB118_2
; %bb.6:                                ;   in Loop: Header=BB118_4 Depth=1
	s_load_b32 s9, s[18:19], 0x4
	v_mad_nc_u64_u32 v[44:45], s16, s34, v[34:35]
	v_mad_nc_u64_u32 v[46:47], s22, s34, v[40:41]
	;; [unrolled: 1-line block ×3, first 2 shown]
	s_mul_i32 s6, s23, s34
	s_wait_kmcnt 0x0
	s_mul_u64 s[4:5], s[30:31], s[34:35]
	v_mov_b32_e32 v50, v80
	s_lshl_b64 s[4:5], s[4:5], 4
	s_mov_b32 s54, s48
	s_add_nc_u64 s[26:27], s[40:41], s[4:5]
	s_delay_alu instid0(VALU_DEP_4) | instskip(NEXT) | instid1(VALU_DEP_3)
	v_mad_u32 v45, s17, s34, v45
	v_dual_add_nc_u32 v47, s6, v47 :: v_dual_add_nc_u32 v49, s6, v49
	s_lshl_b32 s53, s9, 5
	s_branch .LBB118_8
.LBB118_7:                              ;   in Loop: Header=BB118_8 Depth=2
	s_wait_xcnt 0x0
	s_or_b32 exec_lo, exec_lo, s4
	v_add_nc_u32_e32 v50, s53, v50
	s_add_co_i32 s54, s9, s54
	s_delay_alu instid0(SALU_CYCLE_1)
	s_cmp_gt_i32 s54, s33
	s_cbranch_scc1 .LBB118_2
.LBB118_8:                              ;   Parent Loop BB118_4 Depth=1
                                        ; =>  This Loop Header: Depth=2
                                        ;       Child Loop BB118_11 Depth 3
	v_lshl_add_u32 v52, s54, 5, v24
	v_mov_b64_e32 v[62:63], 0
	v_mov_b64_e32 v[64:65], 0
	;; [unrolled: 1-line block ×8, first 2 shown]
	v_ashrrev_i32_e32 v53, 31, v52
	s_and_not1_b32 vcc_lo, exec_lo, s51
	s_cbranch_vccnz .LBB118_59
; %bb.9:                                ;   in Loop: Header=BB118_8 Depth=2
	v_ashrrev_i32_e32 v51, 31, v50
	v_mad_nc_u64_u32 v[54:55], s24, v50, v[44:45]
	v_sub_nc_u64_e32 v[8:9], s[44:45], v[52:53]
	v_mov_b64_e32 v[66:67], 0
	v_mov_b64_e32 v[72:73], 0
	v_lshl_add_u64 v[2:3], v[50:51], 4, 0x100
	v_mov_b64_e32 v[68:69], 0
	v_mov_b64_e32 v[70:71], 0
	;; [unrolled: 1-line block ×3, first 2 shown]
	v_cmp_lt_i64_e64 s4, 16, v[8:9]
	v_mad_nc_u64_u32 v[56:57], s36, v2, v[44:45]
	v_mov_b64_e32 v[58:59], 0
	v_mad_u32 v10, s25, v50, v55
	v_mov_b64_e32 v[64:65], 0
	v_mov_b64_e32 v[62:63], 0
	s_mov_b64 s[38:39], 0
	s_mov_b64 s[46:47], 0
	v_cmp_lt_i64_e32 vcc_lo, 0, v[8:9]
	v_mad_u32 v2, s37, v2, v57
	v_mad_u32 v55, s24, v51, v10
	s_delay_alu instid0(VALU_DEP_2)
	v_mad_u32 v57, s36, v3, v2
	s_branch .LBB118_11
.LBB118_10:                             ;   in Loop: Header=BB118_11 Depth=3
	s_wait_xcnt 0x0
	s_or_b32 exec_lo, exec_lo, s5
	s_wait_dscnt 0x0
	s_barrier_signal -1
	s_barrier_wait -1
	ds_load_b128 v[82:85], v74
	ds_load_b128 v[16:19], v74 offset:16
	ds_load_b128 v[12:15], v74 offset:32
	;; [unrolled: 1-line block ×3, first 2 shown]
	ds_load_b128 v[86:89], v26
	s_add_nc_u64 s[46:47], s[46:47], 32
	s_add_nc_u64 s[38:39], s[38:39], 0x200
	s_sub_co_i32 s5, s46, 32
	s_delay_alu instid0(SALU_CYCLE_1) | instskip(SKIP_3) | instid1(VALU_DEP_2)
	s_cmp_ge_i32 s5, s50
	s_wait_dscnt 0x0
	v_mul_f64_e32 v[90:91], v[82:83], v[88:89]
	v_mul_f64_e32 v[2:3], v[84:85], v[88:89]
	v_fmac_f64_e32 v[90:91], v[84:85], v[86:87]
	s_delay_alu instid0(VALU_DEP_2) | instskip(NEXT) | instid1(VALU_DEP_2)
	v_fma_f64 v[2:3], v[82:83], v[86:87], -v[2:3]
	v_add_f64_e32 v[96:97], v[90:91], v[64:65]
	ds_load_b128 v[90:93], v26 offset:256
	v_add_f64_e32 v[94:95], v[62:63], v[2:3]
	s_wait_dscnt 0x0
	v_mul_f64_e32 v[2:3], v[84:85], v[92:93]
	v_mul_f64_e32 v[62:63], v[82:83], v[92:93]
	s_delay_alu instid0(VALU_DEP_2) | instskip(NEXT) | instid1(VALU_DEP_2)
	v_fma_f64 v[2:3], v[82:83], v[90:91], -v[2:3]
	v_fmac_f64_e32 v[62:63], v[84:85], v[90:91]
	ds_load_b128 v[82:85], v74 offset:8192
	v_add_f64_e32 v[98:99], v[58:59], v[2:3]
	s_wait_dscnt 0x0
	v_mul_f64_e32 v[2:3], v[84:85], v[88:89]
	v_mul_f64_e32 v[58:59], v[82:83], v[88:89]
	v_add_f64_e32 v[100:101], v[62:63], v[60:61]
	s_delay_alu instid0(VALU_DEP_3) | instskip(NEXT) | instid1(VALU_DEP_3)
	v_fma_f64 v[2:3], v[82:83], v[86:87], -v[2:3]
	v_fmac_f64_e32 v[58:59], v[84:85], v[86:87]
	s_delay_alu instid0(VALU_DEP_2) | instskip(NEXT) | instid1(VALU_DEP_2)
	v_add_f64_e32 v[60:61], v[70:71], v[2:3]
	v_add_f64_e32 v[62:63], v[58:59], v[68:69]
	v_mul_f64_e32 v[2:3], v[84:85], v[92:93]
	v_mul_f64_e32 v[58:59], v[82:83], v[92:93]
	ds_load_b128 v[68:71], v26 offset:512
	v_fma_f64 v[2:3], v[82:83], v[90:91], -v[2:3]
	v_fmac_f64_e32 v[58:59], v[84:85], v[90:91]
	ds_load_b128 v[82:85], v26 offset:768
	s_wait_dscnt 0x1
	v_mul_f64_e32 v[64:65], v[18:19], v[70:71]
	s_wait_dscnt 0x0
	v_mul_f64_e32 v[86:87], v[16:17], v[84:85]
	v_add_f64_e32 v[2:3], v[72:73], v[2:3]
	v_mul_f64_e32 v[72:73], v[18:19], v[84:85]
	v_add_f64_e32 v[58:59], v[58:59], v[66:67]
	v_mul_f64_e32 v[66:67], v[16:17], v[70:71]
	v_fma_f64 v[64:65], v[16:17], v[68:69], -v[64:65]
	v_fmac_f64_e32 v[86:87], v[18:19], v[82:83]
	v_fma_f64 v[72:73], v[16:17], v[82:83], -v[72:73]
	s_delay_alu instid0(VALU_DEP_4) | instskip(NEXT) | instid1(VALU_DEP_4)
	v_fmac_f64_e32 v[66:67], v[18:19], v[68:69]
	v_add_f64_e32 v[64:65], v[94:95], v[64:65]
	s_delay_alu instid0(VALU_DEP_4)
	v_add_f64_e32 v[18:19], v[86:87], v[100:101]
	ds_load_b128 v[86:89], v74 offset:8208
	v_add_f64_e32 v[16:17], v[98:99], v[72:73]
	v_add_f64_e32 v[66:67], v[66:67], v[96:97]
	s_wait_dscnt 0x0
	v_mul_f64_e32 v[72:73], v[88:89], v[70:71]
	v_mul_f64_e32 v[70:71], v[86:87], v[70:71]
	s_delay_alu instid0(VALU_DEP_2) | instskip(NEXT) | instid1(VALU_DEP_2)
	v_fma_f64 v[72:73], v[86:87], v[68:69], -v[72:73]
	v_fmac_f64_e32 v[70:71], v[88:89], v[68:69]
	v_mul_f64_e32 v[68:69], v[88:89], v[84:85]
	s_delay_alu instid0(VALU_DEP_3) | instskip(NEXT) | instid1(VALU_DEP_3)
	v_add_f64_e32 v[60:61], v[60:61], v[72:73]
	v_add_f64_e32 v[62:63], v[70:71], v[62:63]
	v_mul_f64_e32 v[70:71], v[86:87], v[84:85]
	s_delay_alu instid0(VALU_DEP_4) | instskip(NEXT) | instid1(VALU_DEP_2)
	v_fma_f64 v[68:69], v[86:87], v[82:83], -v[68:69]
	v_fmac_f64_e32 v[70:71], v[88:89], v[82:83]
	s_delay_alu instid0(VALU_DEP_2) | instskip(NEXT) | instid1(VALU_DEP_2)
	v_add_f64_e32 v[2:3], v[2:3], v[68:69]
	v_add_f64_e32 v[58:59], v[70:71], v[58:59]
	ds_load_b128 v[68:71], v26 offset:1024
	s_wait_dscnt 0x0
	v_mul_f64_e32 v[82:83], v[12:13], v[70:71]
	v_mul_f64_e32 v[72:73], v[14:15], v[70:71]
	s_delay_alu instid0(VALU_DEP_2) | instskip(NEXT) | instid1(VALU_DEP_2)
	v_fmac_f64_e32 v[82:83], v[14:15], v[68:69]
	v_fma_f64 v[72:73], v[12:13], v[68:69], -v[72:73]
	s_delay_alu instid0(VALU_DEP_2) | instskip(SKIP_4) | instid1(VALU_DEP_1)
	v_add_f64_e32 v[86:87], v[82:83], v[66:67]
	ds_load_b128 v[82:85], v26 offset:1280
	v_add_f64_e32 v[72:73], v[64:65], v[72:73]
	s_wait_dscnt 0x0
	v_mul_f64_e32 v[64:65], v[14:15], v[84:85]
	v_fma_f64 v[64:65], v[12:13], v[82:83], -v[64:65]
	v_mul_f64_e32 v[12:13], v[12:13], v[84:85]
	s_delay_alu instid0(VALU_DEP_2) | instskip(NEXT) | instid1(VALU_DEP_2)
	v_add_f64_e32 v[88:89], v[16:17], v[64:65]
	v_fmac_f64_e32 v[12:13], v[14:15], v[82:83]
	s_delay_alu instid0(VALU_DEP_1) | instskip(SKIP_4) | instid1(VALU_DEP_2)
	v_add_f64_e32 v[90:91], v[12:13], v[18:19]
	ds_load_b128 v[12:15], v74 offset:8224
	s_wait_dscnt 0x0
	v_mul_f64_e32 v[16:17], v[14:15], v[70:71]
	v_mul_f64_e32 v[18:19], v[12:13], v[70:71]
	v_fma_f64 v[16:17], v[12:13], v[68:69], -v[16:17]
	s_delay_alu instid0(VALU_DEP_2) | instskip(NEXT) | instid1(VALU_DEP_2)
	v_fmac_f64_e32 v[18:19], v[14:15], v[68:69]
	v_add_f64_e32 v[66:67], v[60:61], v[16:17]
	v_mul_f64_e32 v[16:17], v[14:15], v[84:85]
	s_delay_alu instid0(VALU_DEP_3) | instskip(NEXT) | instid1(VALU_DEP_2)
	v_add_f64_e32 v[68:69], v[18:19], v[62:63]
	v_fma_f64 v[16:17], v[12:13], v[82:83], -v[16:17]
	v_mul_f64_e32 v[12:13], v[12:13], v[84:85]
	s_delay_alu instid0(VALU_DEP_2) | instskip(NEXT) | instid1(VALU_DEP_2)
	v_add_f64_e32 v[62:63], v[2:3], v[16:17]
	v_fmac_f64_e32 v[12:13], v[14:15], v[82:83]
	ds_load_b128 v[16:19], v26 offset:1536
	s_wait_dscnt 0x0
	v_mul_f64_e32 v[2:3], v[10:11], v[18:19]
	v_add_f64_e32 v[64:65], v[12:13], v[58:59]
	v_mul_f64_e32 v[12:13], v[8:9], v[18:19]
	s_delay_alu instid0(VALU_DEP_3) | instskip(NEXT) | instid1(VALU_DEP_2)
	v_fma_f64 v[2:3], v[8:9], v[16:17], -v[2:3]
	v_fmac_f64_e32 v[12:13], v[10:11], v[16:17]
	s_delay_alu instid0(VALU_DEP_2)
	v_add_f64_e32 v[58:59], v[72:73], v[2:3]
	ds_load_b128 v[70:73], v74 offset:8240
	v_add_f64_e32 v[60:61], v[12:13], v[86:87]
	ds_load_b128 v[12:15], v26 offset:1792
	s_wait_dscnt 0x0
	v_mul_f64_e32 v[2:3], v[10:11], v[14:15]
	s_delay_alu instid0(VALU_DEP_1) | instskip(SKIP_1) | instid1(VALU_DEP_2)
	v_fma_f64 v[2:3], v[8:9], v[12:13], -v[2:3]
	v_mul_f64_e32 v[8:9], v[8:9], v[14:15]
	v_add_f64_e32 v[2:3], v[88:89], v[2:3]
	s_delay_alu instid0(VALU_DEP_2) | instskip(SKIP_2) | instid1(VALU_DEP_3)
	v_fmac_f64_e32 v[8:9], v[10:11], v[12:13]
	v_mul_f64_e32 v[10:11], v[72:73], v[18:19]
	v_mul_f64_e32 v[18:19], v[70:71], v[18:19]
	v_add_f64_e32 v[8:9], v[8:9], v[90:91]
	s_delay_alu instid0(VALU_DEP_3) | instskip(NEXT) | instid1(VALU_DEP_3)
	v_fma_f64 v[10:11], v[70:71], v[16:17], -v[10:11]
	v_fmac_f64_e32 v[18:19], v[72:73], v[16:17]
	s_delay_alu instid0(VALU_DEP_2) | instskip(SKIP_2) | instid1(VALU_DEP_4)
	v_add_f64_e32 v[66:67], v[66:67], v[10:11]
	v_mul_f64_e32 v[10:11], v[72:73], v[14:15]
	v_mul_f64_e32 v[14:15], v[70:71], v[14:15]
	v_add_f64_e32 v[18:19], v[18:19], v[68:69]
	s_delay_alu instid0(VALU_DEP_3) | instskip(NEXT) | instid1(VALU_DEP_3)
	v_fma_f64 v[10:11], v[70:71], v[12:13], -v[10:11]
	v_fmac_f64_e32 v[14:15], v[72:73], v[12:13]
	s_delay_alu instid0(VALU_DEP_2) | instskip(NEXT) | instid1(VALU_DEP_2)
	v_add_f64_e32 v[62:63], v[62:63], v[10:11]
	v_add_f64_e32 v[64:65], v[14:15], v[64:65]
	ds_load_b128 v[10:13], v74 offset:64
	ds_load_b128 v[14:17], v26 offset:2048
	s_wait_dscnt 0x0
	v_mul_f64_e32 v[68:69], v[12:13], v[16:17]
	v_mul_f64_e32 v[70:71], v[10:11], v[16:17]
	s_delay_alu instid0(VALU_DEP_2) | instskip(NEXT) | instid1(VALU_DEP_2)
	v_fma_f64 v[68:69], v[10:11], v[14:15], -v[68:69]
	v_fmac_f64_e32 v[70:71], v[12:13], v[14:15]
	s_delay_alu instid0(VALU_DEP_2) | instskip(NEXT) | instid1(VALU_DEP_2)
	v_add_f64_e32 v[72:73], v[58:59], v[68:69]
	v_add_f64_e32 v[82:83], v[70:71], v[60:61]
	ds_load_b128 v[58:61], v26 offset:2304
	s_wait_dscnt 0x0
	v_mul_f64_e32 v[68:69], v[12:13], v[60:61]
	s_delay_alu instid0(VALU_DEP_1) | instskip(SKIP_1) | instid1(VALU_DEP_2)
	v_fma_f64 v[68:69], v[10:11], v[58:59], -v[68:69]
	v_mul_f64_e32 v[10:11], v[10:11], v[60:61]
	v_add_f64_e32 v[84:85], v[2:3], v[68:69]
	s_delay_alu instid0(VALU_DEP_2) | instskip(NEXT) | instid1(VALU_DEP_1)
	v_fmac_f64_e32 v[10:11], v[12:13], v[58:59]
	v_add_f64_e32 v[86:87], v[10:11], v[8:9]
	ds_load_b128 v[8:11], v74 offset:8256
	s_wait_dscnt 0x0
	v_mul_f64_e32 v[2:3], v[10:11], v[16:17]
	v_mul_f64_e32 v[12:13], v[8:9], v[16:17]
	s_delay_alu instid0(VALU_DEP_2) | instskip(NEXT) | instid1(VALU_DEP_2)
	v_fma_f64 v[2:3], v[8:9], v[14:15], -v[2:3]
	v_fmac_f64_e32 v[12:13], v[10:11], v[14:15]
	s_delay_alu instid0(VALU_DEP_2) | instskip(SKIP_1) | instid1(VALU_DEP_3)
	v_add_f64_e32 v[14:15], v[66:67], v[2:3]
	v_mul_f64_e32 v[2:3], v[10:11], v[60:61]
	v_add_f64_e32 v[16:17], v[12:13], v[18:19]
	s_delay_alu instid0(VALU_DEP_2) | instskip(SKIP_1) | instid1(VALU_DEP_2)
	v_fma_f64 v[2:3], v[8:9], v[58:59], -v[2:3]
	v_mul_f64_e32 v[8:9], v[8:9], v[60:61]
	v_add_f64_e32 v[2:3], v[62:63], v[2:3]
	s_delay_alu instid0(VALU_DEP_2) | instskip(NEXT) | instid1(VALU_DEP_1)
	v_fmac_f64_e32 v[8:9], v[10:11], v[58:59]
	v_add_f64_e32 v[12:13], v[8:9], v[64:65]
	ds_load_b128 v[64:67], v74 offset:80
	ds_load_b128 v[68:71], v26 offset:2560
	s_wait_dscnt 0x0
	v_mul_f64_e32 v[8:9], v[66:67], v[70:71]
	v_mul_f64_e32 v[10:11], v[64:65], v[70:71]
	s_delay_alu instid0(VALU_DEP_2) | instskip(NEXT) | instid1(VALU_DEP_2)
	v_fma_f64 v[8:9], v[64:65], v[68:69], -v[8:9]
	v_fmac_f64_e32 v[10:11], v[66:67], v[68:69]
	s_delay_alu instid0(VALU_DEP_2) | instskip(NEXT) | instid1(VALU_DEP_2)
	v_add_f64_e32 v[60:61], v[72:73], v[8:9]
	v_add_f64_e32 v[62:63], v[10:11], v[82:83]
	ds_load_b128 v[8:11], v26 offset:2816
	s_wait_dscnt 0x0
	v_mul_f64_e32 v[18:19], v[66:67], v[10:11]
	v_mul_f64_e32 v[58:59], v[64:65], v[10:11]
	s_delay_alu instid0(VALU_DEP_2) | instskip(NEXT) | instid1(VALU_DEP_2)
	v_fma_f64 v[18:19], v[64:65], v[8:9], -v[18:19]
	v_fmac_f64_e32 v[58:59], v[66:67], v[8:9]
	ds_load_b128 v[64:67], v74 offset:8272
	s_wait_dscnt 0x0
	v_mul_f64_e32 v[72:73], v[66:67], v[70:71]
	v_mul_f64_e32 v[70:71], v[64:65], v[70:71]
	v_add_f64_e32 v[18:19], v[84:85], v[18:19]
	v_add_f64_e32 v[58:59], v[58:59], v[86:87]
	s_delay_alu instid0(VALU_DEP_4) | instskip(NEXT) | instid1(VALU_DEP_4)
	v_fma_f64 v[72:73], v[64:65], v[68:69], -v[72:73]
	v_fmac_f64_e32 v[70:71], v[66:67], v[68:69]
	s_delay_alu instid0(VALU_DEP_2) | instskip(SKIP_2) | instid1(VALU_DEP_4)
	v_add_f64_e32 v[68:69], v[14:15], v[72:73]
	v_mul_f64_e32 v[14:15], v[66:67], v[10:11]
	v_mul_f64_e32 v[10:11], v[64:65], v[10:11]
	v_add_f64_e32 v[16:17], v[70:71], v[16:17]
	s_delay_alu instid0(VALU_DEP_3) | instskip(NEXT) | instid1(VALU_DEP_3)
	v_fma_f64 v[14:15], v[64:65], v[8:9], -v[14:15]
	v_fmac_f64_e32 v[10:11], v[66:67], v[8:9]
	s_delay_alu instid0(VALU_DEP_2) | instskip(NEXT) | instid1(VALU_DEP_2)
	v_add_f64_e32 v[2:3], v[2:3], v[14:15]
	v_add_f64_e32 v[64:65], v[10:11], v[12:13]
	ds_load_b128 v[8:11], v74 offset:96
	ds_load_b128 v[12:15], v26 offset:3072
	s_wait_dscnt 0x0
	v_mul_f64_e32 v[66:67], v[10:11], v[14:15]
	v_mul_f64_e32 v[70:71], v[8:9], v[14:15]
	s_delay_alu instid0(VALU_DEP_2) | instskip(NEXT) | instid1(VALU_DEP_2)
	v_fma_f64 v[66:67], v[8:9], v[12:13], -v[66:67]
	v_fmac_f64_e32 v[70:71], v[10:11], v[12:13]
	s_delay_alu instid0(VALU_DEP_2) | instskip(NEXT) | instid1(VALU_DEP_2)
	v_add_f64_e32 v[72:73], v[60:61], v[66:67]
	v_add_f64_e32 v[82:83], v[70:71], v[62:63]
	ds_load_b128 v[60:63], v26 offset:3328
	s_wait_dscnt 0x0
	v_mul_f64_e32 v[66:67], v[10:11], v[62:63]
	s_delay_alu instid0(VALU_DEP_1) | instskip(SKIP_1) | instid1(VALU_DEP_2)
	v_fma_f64 v[66:67], v[8:9], v[60:61], -v[66:67]
	v_mul_f64_e32 v[8:9], v[8:9], v[62:63]
	v_add_f64_e32 v[18:19], v[18:19], v[66:67]
	s_delay_alu instid0(VALU_DEP_2) | instskip(NEXT) | instid1(VALU_DEP_1)
	v_fmac_f64_e32 v[8:9], v[10:11], v[60:61]
	v_add_f64_e32 v[58:59], v[8:9], v[58:59]
	ds_load_b128 v[8:11], v74 offset:8288
	s_wait_dscnt 0x0
	v_mul_f64_e32 v[66:67], v[10:11], v[14:15]
	v_mul_f64_e32 v[70:71], v[8:9], v[14:15]
	s_delay_alu instid0(VALU_DEP_2) | instskip(NEXT) | instid1(VALU_DEP_2)
	v_fma_f64 v[66:67], v[8:9], v[12:13], -v[66:67]
	v_fmac_f64_e32 v[70:71], v[10:11], v[12:13]
	v_mul_f64_e32 v[12:13], v[10:11], v[62:63]
	s_delay_alu instid0(VALU_DEP_3) | instskip(NEXT) | instid1(VALU_DEP_3)
	v_add_f64_e32 v[14:15], v[68:69], v[66:67]
	v_add_f64_e32 v[16:17], v[70:71], v[16:17]
	s_delay_alu instid0(VALU_DEP_3) | instskip(SKIP_1) | instid1(VALU_DEP_2)
	v_fma_f64 v[12:13], v[8:9], v[60:61], -v[12:13]
	v_mul_f64_e32 v[8:9], v[8:9], v[62:63]
	v_add_f64_e32 v[2:3], v[2:3], v[12:13]
	s_delay_alu instid0(VALU_DEP_2) | instskip(NEXT) | instid1(VALU_DEP_1)
	v_fmac_f64_e32 v[8:9], v[10:11], v[60:61]
	v_add_f64_e32 v[12:13], v[8:9], v[64:65]
	ds_load_b128 v[64:67], v74 offset:112
	ds_load_b128 v[68:71], v26 offset:3584
	s_wait_dscnt 0x0
	v_mul_f64_e32 v[8:9], v[66:67], v[70:71]
	v_mul_f64_e32 v[10:11], v[64:65], v[70:71]
	s_delay_alu instid0(VALU_DEP_2) | instskip(NEXT) | instid1(VALU_DEP_2)
	v_fma_f64 v[8:9], v[64:65], v[68:69], -v[8:9]
	v_fmac_f64_e32 v[10:11], v[66:67], v[68:69]
	s_delay_alu instid0(VALU_DEP_2) | instskip(NEXT) | instid1(VALU_DEP_2)
	v_add_f64_e32 v[60:61], v[72:73], v[8:9]
	v_add_f64_e32 v[62:63], v[10:11], v[82:83]
	ds_load_b128 v[8:11], v26 offset:3840
	s_wait_dscnt 0x0
	v_mul_f64_e32 v[72:73], v[66:67], v[10:11]
	s_delay_alu instid0(VALU_DEP_1) | instskip(SKIP_1) | instid1(VALU_DEP_2)
	v_fma_f64 v[72:73], v[64:65], v[8:9], -v[72:73]
	v_mul_f64_e32 v[64:65], v[64:65], v[10:11]
	v_add_f64_e32 v[18:19], v[18:19], v[72:73]
	s_delay_alu instid0(VALU_DEP_2) | instskip(NEXT) | instid1(VALU_DEP_1)
	v_fmac_f64_e32 v[64:65], v[66:67], v[8:9]
	v_add_f64_e32 v[58:59], v[64:65], v[58:59]
	ds_load_b128 v[64:67], v74 offset:8304
	s_wait_dscnt 0x0
	v_mul_f64_e32 v[72:73], v[66:67], v[70:71]
	v_mul_f64_e32 v[70:71], v[64:65], v[70:71]
	s_delay_alu instid0(VALU_DEP_2) | instskip(NEXT) | instid1(VALU_DEP_2)
	v_fma_f64 v[72:73], v[64:65], v[68:69], -v[72:73]
	v_fmac_f64_e32 v[70:71], v[66:67], v[68:69]
	s_delay_alu instid0(VALU_DEP_2) | instskip(SKIP_2) | instid1(VALU_DEP_4)
	v_add_f64_e32 v[68:69], v[14:15], v[72:73]
	v_mul_f64_e32 v[14:15], v[66:67], v[10:11]
	v_mul_f64_e32 v[10:11], v[64:65], v[10:11]
	v_add_f64_e32 v[16:17], v[70:71], v[16:17]
	s_delay_alu instid0(VALU_DEP_3) | instskip(NEXT) | instid1(VALU_DEP_3)
	v_fma_f64 v[14:15], v[64:65], v[8:9], -v[14:15]
	v_fmac_f64_e32 v[10:11], v[66:67], v[8:9]
	s_delay_alu instid0(VALU_DEP_2) | instskip(NEXT) | instid1(VALU_DEP_2)
	v_add_f64_e32 v[2:3], v[2:3], v[14:15]
	v_add_f64_e32 v[64:65], v[10:11], v[12:13]
	ds_load_b128 v[8:11], v74 offset:128
	ds_load_b128 v[12:15], v26 offset:4096
	s_wait_dscnt 0x0
	v_mul_f64_e32 v[66:67], v[10:11], v[14:15]
	v_mul_f64_e32 v[70:71], v[8:9], v[14:15]
	s_delay_alu instid0(VALU_DEP_2) | instskip(NEXT) | instid1(VALU_DEP_2)
	v_fma_f64 v[66:67], v[8:9], v[12:13], -v[66:67]
	v_fmac_f64_e32 v[70:71], v[10:11], v[12:13]
	s_delay_alu instid0(VALU_DEP_2) | instskip(NEXT) | instid1(VALU_DEP_2)
	v_add_f64_e32 v[72:73], v[60:61], v[66:67]
	v_add_f64_e32 v[82:83], v[70:71], v[62:63]
	ds_load_b128 v[60:63], v26 offset:4352
	s_wait_dscnt 0x0
	v_mul_f64_e32 v[66:67], v[10:11], v[62:63]
	s_delay_alu instid0(VALU_DEP_1) | instskip(SKIP_1) | instid1(VALU_DEP_2)
	v_fma_f64 v[66:67], v[8:9], v[60:61], -v[66:67]
	v_mul_f64_e32 v[8:9], v[8:9], v[62:63]
	v_add_f64_e32 v[18:19], v[18:19], v[66:67]
	s_delay_alu instid0(VALU_DEP_2) | instskip(NEXT) | instid1(VALU_DEP_1)
	v_fmac_f64_e32 v[8:9], v[10:11], v[60:61]
	v_add_f64_e32 v[58:59], v[8:9], v[58:59]
	ds_load_b128 v[8:11], v74 offset:8320
	s_wait_dscnt 0x0
	v_mul_f64_e32 v[66:67], v[10:11], v[14:15]
	v_mul_f64_e32 v[70:71], v[8:9], v[14:15]
	s_delay_alu instid0(VALU_DEP_2) | instskip(NEXT) | instid1(VALU_DEP_2)
	v_fma_f64 v[66:67], v[8:9], v[12:13], -v[66:67]
	v_fmac_f64_e32 v[70:71], v[10:11], v[12:13]
	v_mul_f64_e32 v[12:13], v[10:11], v[62:63]
	s_delay_alu instid0(VALU_DEP_3) | instskip(NEXT) | instid1(VALU_DEP_3)
	v_add_f64_e32 v[14:15], v[68:69], v[66:67]
	v_add_f64_e32 v[16:17], v[70:71], v[16:17]
	s_delay_alu instid0(VALU_DEP_3) | instskip(SKIP_1) | instid1(VALU_DEP_2)
	v_fma_f64 v[12:13], v[8:9], v[60:61], -v[12:13]
	v_mul_f64_e32 v[8:9], v[8:9], v[62:63]
	v_add_f64_e32 v[2:3], v[2:3], v[12:13]
	s_delay_alu instid0(VALU_DEP_2) | instskip(NEXT) | instid1(VALU_DEP_1)
	v_fmac_f64_e32 v[8:9], v[10:11], v[60:61]
	v_add_f64_e32 v[12:13], v[8:9], v[64:65]
	ds_load_b128 v[64:67], v74 offset:144
	ds_load_b128 v[68:71], v26 offset:4608
	s_wait_dscnt 0x0
	v_mul_f64_e32 v[8:9], v[66:67], v[70:71]
	v_mul_f64_e32 v[10:11], v[64:65], v[70:71]
	s_delay_alu instid0(VALU_DEP_2) | instskip(NEXT) | instid1(VALU_DEP_2)
	v_fma_f64 v[8:9], v[64:65], v[68:69], -v[8:9]
	v_fmac_f64_e32 v[10:11], v[66:67], v[68:69]
	s_delay_alu instid0(VALU_DEP_2) | instskip(NEXT) | instid1(VALU_DEP_2)
	v_add_f64_e32 v[60:61], v[72:73], v[8:9]
	v_add_f64_e32 v[62:63], v[10:11], v[82:83]
	ds_load_b128 v[8:11], v26 offset:4864
	s_wait_dscnt 0x0
	v_mul_f64_e32 v[72:73], v[66:67], v[10:11]
	s_delay_alu instid0(VALU_DEP_1) | instskip(SKIP_1) | instid1(VALU_DEP_2)
	v_fma_f64 v[72:73], v[64:65], v[8:9], -v[72:73]
	v_mul_f64_e32 v[64:65], v[64:65], v[10:11]
	v_add_f64_e32 v[18:19], v[18:19], v[72:73]
	s_delay_alu instid0(VALU_DEP_2) | instskip(NEXT) | instid1(VALU_DEP_1)
	v_fmac_f64_e32 v[64:65], v[66:67], v[8:9]
	v_add_f64_e32 v[58:59], v[64:65], v[58:59]
	ds_load_b128 v[64:67], v74 offset:8336
	s_wait_dscnt 0x0
	v_mul_f64_e32 v[72:73], v[66:67], v[70:71]
	v_mul_f64_e32 v[70:71], v[64:65], v[70:71]
	s_delay_alu instid0(VALU_DEP_2) | instskip(NEXT) | instid1(VALU_DEP_2)
	v_fma_f64 v[72:73], v[64:65], v[68:69], -v[72:73]
	v_fmac_f64_e32 v[70:71], v[66:67], v[68:69]
	s_delay_alu instid0(VALU_DEP_2) | instskip(SKIP_2) | instid1(VALU_DEP_4)
	v_add_f64_e32 v[68:69], v[14:15], v[72:73]
	v_mul_f64_e32 v[14:15], v[66:67], v[10:11]
	v_mul_f64_e32 v[10:11], v[64:65], v[10:11]
	v_add_f64_e32 v[16:17], v[70:71], v[16:17]
	s_delay_alu instid0(VALU_DEP_3) | instskip(NEXT) | instid1(VALU_DEP_3)
	v_fma_f64 v[14:15], v[64:65], v[8:9], -v[14:15]
	v_fmac_f64_e32 v[10:11], v[66:67], v[8:9]
	s_delay_alu instid0(VALU_DEP_2) | instskip(NEXT) | instid1(VALU_DEP_2)
	v_add_f64_e32 v[2:3], v[2:3], v[14:15]
	v_add_f64_e32 v[64:65], v[10:11], v[12:13]
	ds_load_b128 v[8:11], v74 offset:160
	ds_load_b128 v[12:15], v26 offset:5120
	s_wait_dscnt 0x0
	v_mul_f64_e32 v[66:67], v[10:11], v[14:15]
	v_mul_f64_e32 v[70:71], v[8:9], v[14:15]
	s_delay_alu instid0(VALU_DEP_2) | instskip(NEXT) | instid1(VALU_DEP_2)
	v_fma_f64 v[66:67], v[8:9], v[12:13], -v[66:67]
	v_fmac_f64_e32 v[70:71], v[10:11], v[12:13]
	s_delay_alu instid0(VALU_DEP_2) | instskip(NEXT) | instid1(VALU_DEP_2)
	v_add_f64_e32 v[72:73], v[60:61], v[66:67]
	v_add_f64_e32 v[82:83], v[70:71], v[62:63]
	ds_load_b128 v[60:63], v26 offset:5376
	s_wait_dscnt 0x0
	v_mul_f64_e32 v[66:67], v[10:11], v[62:63]
	s_delay_alu instid0(VALU_DEP_1) | instskip(SKIP_1) | instid1(VALU_DEP_2)
	v_fma_f64 v[66:67], v[8:9], v[60:61], -v[66:67]
	v_mul_f64_e32 v[8:9], v[8:9], v[62:63]
	v_add_f64_e32 v[18:19], v[18:19], v[66:67]
	s_delay_alu instid0(VALU_DEP_2) | instskip(NEXT) | instid1(VALU_DEP_1)
	v_fmac_f64_e32 v[8:9], v[10:11], v[60:61]
	v_add_f64_e32 v[58:59], v[8:9], v[58:59]
	ds_load_b128 v[8:11], v74 offset:8352
	s_wait_dscnt 0x0
	v_mul_f64_e32 v[66:67], v[10:11], v[14:15]
	v_mul_f64_e32 v[70:71], v[8:9], v[14:15]
	s_delay_alu instid0(VALU_DEP_2) | instskip(NEXT) | instid1(VALU_DEP_2)
	v_fma_f64 v[66:67], v[8:9], v[12:13], -v[66:67]
	v_fmac_f64_e32 v[70:71], v[10:11], v[12:13]
	v_mul_f64_e32 v[12:13], v[10:11], v[62:63]
	s_delay_alu instid0(VALU_DEP_3) | instskip(NEXT) | instid1(VALU_DEP_3)
	v_add_f64_e32 v[14:15], v[68:69], v[66:67]
	v_add_f64_e32 v[16:17], v[70:71], v[16:17]
	s_delay_alu instid0(VALU_DEP_3) | instskip(SKIP_1) | instid1(VALU_DEP_2)
	v_fma_f64 v[12:13], v[8:9], v[60:61], -v[12:13]
	v_mul_f64_e32 v[8:9], v[8:9], v[62:63]
	v_add_f64_e32 v[2:3], v[2:3], v[12:13]
	s_delay_alu instid0(VALU_DEP_2) | instskip(NEXT) | instid1(VALU_DEP_1)
	v_fmac_f64_e32 v[8:9], v[10:11], v[60:61]
	v_add_f64_e32 v[12:13], v[8:9], v[64:65]
	ds_load_b128 v[64:67], v74 offset:176
	ds_load_b128 v[68:71], v26 offset:5632
	s_wait_dscnt 0x0
	v_mul_f64_e32 v[8:9], v[66:67], v[70:71]
	v_mul_f64_e32 v[10:11], v[64:65], v[70:71]
	s_delay_alu instid0(VALU_DEP_2) | instskip(NEXT) | instid1(VALU_DEP_2)
	v_fma_f64 v[8:9], v[64:65], v[68:69], -v[8:9]
	v_fmac_f64_e32 v[10:11], v[66:67], v[68:69]
	s_delay_alu instid0(VALU_DEP_2) | instskip(NEXT) | instid1(VALU_DEP_2)
	v_add_f64_e32 v[60:61], v[72:73], v[8:9]
	v_add_f64_e32 v[62:63], v[10:11], v[82:83]
	ds_load_b128 v[8:11], v26 offset:5888
	s_wait_dscnt 0x0
	v_mul_f64_e32 v[72:73], v[66:67], v[10:11]
	s_delay_alu instid0(VALU_DEP_1) | instskip(SKIP_1) | instid1(VALU_DEP_2)
	v_fma_f64 v[72:73], v[64:65], v[8:9], -v[72:73]
	v_mul_f64_e32 v[64:65], v[64:65], v[10:11]
	v_add_f64_e32 v[18:19], v[18:19], v[72:73]
	s_delay_alu instid0(VALU_DEP_2) | instskip(NEXT) | instid1(VALU_DEP_1)
	v_fmac_f64_e32 v[64:65], v[66:67], v[8:9]
	v_add_f64_e32 v[58:59], v[64:65], v[58:59]
	ds_load_b128 v[64:67], v74 offset:8368
	s_wait_dscnt 0x0
	v_mul_f64_e32 v[72:73], v[66:67], v[70:71]
	v_mul_f64_e32 v[70:71], v[64:65], v[70:71]
	s_delay_alu instid0(VALU_DEP_2) | instskip(NEXT) | instid1(VALU_DEP_2)
	v_fma_f64 v[72:73], v[64:65], v[68:69], -v[72:73]
	v_fmac_f64_e32 v[70:71], v[66:67], v[68:69]
	s_delay_alu instid0(VALU_DEP_2) | instskip(SKIP_2) | instid1(VALU_DEP_4)
	v_add_f64_e32 v[68:69], v[14:15], v[72:73]
	v_mul_f64_e32 v[14:15], v[66:67], v[10:11]
	v_mul_f64_e32 v[10:11], v[64:65], v[10:11]
	v_add_f64_e32 v[16:17], v[70:71], v[16:17]
	s_delay_alu instid0(VALU_DEP_3) | instskip(NEXT) | instid1(VALU_DEP_3)
	v_fma_f64 v[14:15], v[64:65], v[8:9], -v[14:15]
	v_fmac_f64_e32 v[10:11], v[66:67], v[8:9]
	s_delay_alu instid0(VALU_DEP_2) | instskip(NEXT) | instid1(VALU_DEP_2)
	v_add_f64_e32 v[2:3], v[2:3], v[14:15]
	v_add_f64_e32 v[64:65], v[10:11], v[12:13]
	ds_load_b128 v[8:11], v74 offset:192
	ds_load_b128 v[12:15], v26 offset:6144
	s_wait_dscnt 0x0
	v_mul_f64_e32 v[66:67], v[10:11], v[14:15]
	v_mul_f64_e32 v[70:71], v[8:9], v[14:15]
	s_delay_alu instid0(VALU_DEP_2) | instskip(NEXT) | instid1(VALU_DEP_2)
	v_fma_f64 v[66:67], v[8:9], v[12:13], -v[66:67]
	v_fmac_f64_e32 v[70:71], v[10:11], v[12:13]
	s_delay_alu instid0(VALU_DEP_2) | instskip(NEXT) | instid1(VALU_DEP_2)
	v_add_f64_e32 v[72:73], v[60:61], v[66:67]
	v_add_f64_e32 v[82:83], v[70:71], v[62:63]
	ds_load_b128 v[60:63], v26 offset:6400
	s_wait_dscnt 0x0
	v_mul_f64_e32 v[66:67], v[10:11], v[62:63]
	s_delay_alu instid0(VALU_DEP_1) | instskip(SKIP_1) | instid1(VALU_DEP_2)
	v_fma_f64 v[66:67], v[8:9], v[60:61], -v[66:67]
	v_mul_f64_e32 v[8:9], v[8:9], v[62:63]
	v_add_f64_e32 v[18:19], v[18:19], v[66:67]
	s_delay_alu instid0(VALU_DEP_2) | instskip(NEXT) | instid1(VALU_DEP_1)
	v_fmac_f64_e32 v[8:9], v[10:11], v[60:61]
	v_add_f64_e32 v[58:59], v[8:9], v[58:59]
	ds_load_b128 v[8:11], v74 offset:8384
	s_wait_dscnt 0x0
	v_mul_f64_e32 v[66:67], v[10:11], v[14:15]
	v_mul_f64_e32 v[70:71], v[8:9], v[14:15]
	s_delay_alu instid0(VALU_DEP_2) | instskip(NEXT) | instid1(VALU_DEP_2)
	v_fma_f64 v[66:67], v[8:9], v[12:13], -v[66:67]
	v_fmac_f64_e32 v[70:71], v[10:11], v[12:13]
	v_mul_f64_e32 v[12:13], v[10:11], v[62:63]
	s_delay_alu instid0(VALU_DEP_3) | instskip(NEXT) | instid1(VALU_DEP_3)
	v_add_f64_e32 v[14:15], v[68:69], v[66:67]
	v_add_f64_e32 v[16:17], v[70:71], v[16:17]
	s_delay_alu instid0(VALU_DEP_3) | instskip(SKIP_1) | instid1(VALU_DEP_2)
	v_fma_f64 v[12:13], v[8:9], v[60:61], -v[12:13]
	v_mul_f64_e32 v[8:9], v[8:9], v[62:63]
	v_add_f64_e32 v[2:3], v[2:3], v[12:13]
	s_delay_alu instid0(VALU_DEP_2) | instskip(NEXT) | instid1(VALU_DEP_1)
	v_fmac_f64_e32 v[8:9], v[10:11], v[60:61]
	v_add_f64_e32 v[12:13], v[8:9], v[64:65]
	ds_load_b128 v[64:67], v74 offset:208
	ds_load_b128 v[68:71], v26 offset:6656
	s_wait_dscnt 0x0
	v_mul_f64_e32 v[8:9], v[66:67], v[70:71]
	v_mul_f64_e32 v[10:11], v[64:65], v[70:71]
	s_delay_alu instid0(VALU_DEP_2) | instskip(NEXT) | instid1(VALU_DEP_2)
	v_fma_f64 v[8:9], v[64:65], v[68:69], -v[8:9]
	v_fmac_f64_e32 v[10:11], v[66:67], v[68:69]
	s_delay_alu instid0(VALU_DEP_2) | instskip(NEXT) | instid1(VALU_DEP_2)
	v_add_f64_e32 v[60:61], v[72:73], v[8:9]
	v_add_f64_e32 v[62:63], v[10:11], v[82:83]
	ds_load_b128 v[8:11], v26 offset:6912
	s_wait_dscnt 0x0
	v_mul_f64_e32 v[72:73], v[66:67], v[10:11]
	s_delay_alu instid0(VALU_DEP_1) | instskip(SKIP_1) | instid1(VALU_DEP_2)
	v_fma_f64 v[72:73], v[64:65], v[8:9], -v[72:73]
	v_mul_f64_e32 v[64:65], v[64:65], v[10:11]
	v_add_f64_e32 v[18:19], v[18:19], v[72:73]
	s_delay_alu instid0(VALU_DEP_2) | instskip(NEXT) | instid1(VALU_DEP_1)
	v_fmac_f64_e32 v[64:65], v[66:67], v[8:9]
	v_add_f64_e32 v[58:59], v[64:65], v[58:59]
	ds_load_b128 v[64:67], v74 offset:8400
	s_wait_dscnt 0x0
	v_mul_f64_e32 v[72:73], v[66:67], v[70:71]
	v_mul_f64_e32 v[70:71], v[64:65], v[70:71]
	s_delay_alu instid0(VALU_DEP_2) | instskip(NEXT) | instid1(VALU_DEP_2)
	v_fma_f64 v[72:73], v[64:65], v[68:69], -v[72:73]
	v_fmac_f64_e32 v[70:71], v[66:67], v[68:69]
	s_delay_alu instid0(VALU_DEP_2) | instskip(SKIP_2) | instid1(VALU_DEP_4)
	v_add_f64_e32 v[68:69], v[14:15], v[72:73]
	v_mul_f64_e32 v[14:15], v[66:67], v[10:11]
	v_mul_f64_e32 v[10:11], v[64:65], v[10:11]
	v_add_f64_e32 v[16:17], v[70:71], v[16:17]
	s_delay_alu instid0(VALU_DEP_3) | instskip(NEXT) | instid1(VALU_DEP_3)
	v_fma_f64 v[14:15], v[64:65], v[8:9], -v[14:15]
	v_fmac_f64_e32 v[10:11], v[66:67], v[8:9]
	s_delay_alu instid0(VALU_DEP_2) | instskip(NEXT) | instid1(VALU_DEP_2)
	v_add_f64_e32 v[2:3], v[2:3], v[14:15]
	v_add_f64_e32 v[64:65], v[10:11], v[12:13]
	ds_load_b128 v[8:11], v74 offset:224
	ds_load_b128 v[12:15], v26 offset:7168
	s_wait_dscnt 0x0
	v_mul_f64_e32 v[66:67], v[10:11], v[14:15]
	v_mul_f64_e32 v[70:71], v[8:9], v[14:15]
	s_delay_alu instid0(VALU_DEP_2) | instskip(NEXT) | instid1(VALU_DEP_2)
	v_fma_f64 v[66:67], v[8:9], v[12:13], -v[66:67]
	v_fmac_f64_e32 v[70:71], v[10:11], v[12:13]
	s_delay_alu instid0(VALU_DEP_2) | instskip(NEXT) | instid1(VALU_DEP_2)
	v_add_f64_e32 v[72:73], v[60:61], v[66:67]
	v_add_f64_e32 v[82:83], v[70:71], v[62:63]
	ds_load_b128 v[60:63], v26 offset:7424
	s_wait_dscnt 0x0
	v_mul_f64_e32 v[66:67], v[10:11], v[62:63]
	s_delay_alu instid0(VALU_DEP_1) | instskip(SKIP_1) | instid1(VALU_DEP_2)
	v_fma_f64 v[66:67], v[8:9], v[60:61], -v[66:67]
	v_mul_f64_e32 v[8:9], v[8:9], v[62:63]
	v_add_f64_e32 v[18:19], v[18:19], v[66:67]
	s_delay_alu instid0(VALU_DEP_2) | instskip(NEXT) | instid1(VALU_DEP_1)
	v_fmac_f64_e32 v[8:9], v[10:11], v[60:61]
	v_add_f64_e32 v[58:59], v[8:9], v[58:59]
	ds_load_b128 v[8:11], v74 offset:8416
	s_wait_dscnt 0x0
	v_mul_f64_e32 v[66:67], v[10:11], v[14:15]
	v_mul_f64_e32 v[70:71], v[8:9], v[14:15]
	s_delay_alu instid0(VALU_DEP_2) | instskip(NEXT) | instid1(VALU_DEP_2)
	v_fma_f64 v[66:67], v[8:9], v[12:13], -v[66:67]
	v_fmac_f64_e32 v[70:71], v[10:11], v[12:13]
	v_mul_f64_e32 v[12:13], v[10:11], v[62:63]
	s_delay_alu instid0(VALU_DEP_3) | instskip(NEXT) | instid1(VALU_DEP_3)
	v_add_f64_e32 v[14:15], v[68:69], v[66:67]
	v_add_f64_e32 v[16:17], v[70:71], v[16:17]
	s_delay_alu instid0(VALU_DEP_3) | instskip(SKIP_1) | instid1(VALU_DEP_2)
	v_fma_f64 v[12:13], v[8:9], v[60:61], -v[12:13]
	v_mul_f64_e32 v[8:9], v[8:9], v[62:63]
	v_add_f64_e32 v[2:3], v[2:3], v[12:13]
	s_delay_alu instid0(VALU_DEP_2) | instskip(NEXT) | instid1(VALU_DEP_1)
	v_fmac_f64_e32 v[8:9], v[10:11], v[60:61]
	v_add_f64_e32 v[12:13], v[8:9], v[64:65]
	ds_load_b128 v[64:67], v74 offset:240
	ds_load_b128 v[68:71], v26 offset:7680
	s_wait_dscnt 0x0
	v_mul_f64_e32 v[8:9], v[66:67], v[70:71]
	v_mul_f64_e32 v[10:11], v[64:65], v[70:71]
	s_delay_alu instid0(VALU_DEP_2) | instskip(NEXT) | instid1(VALU_DEP_2)
	v_fma_f64 v[8:9], v[64:65], v[68:69], -v[8:9]
	v_fmac_f64_e32 v[10:11], v[66:67], v[68:69]
	s_delay_alu instid0(VALU_DEP_2) | instskip(NEXT) | instid1(VALU_DEP_2)
	v_add_f64_e32 v[60:61], v[72:73], v[8:9]
	v_add_f64_e32 v[62:63], v[10:11], v[82:83]
	ds_load_b128 v[8:11], v26 offset:7936
	s_wait_dscnt 0x0
	v_mul_f64_e32 v[72:73], v[66:67], v[10:11]
	s_delay_alu instid0(VALU_DEP_1) | instskip(SKIP_1) | instid1(VALU_DEP_2)
	v_fma_f64 v[72:73], v[64:65], v[8:9], -v[72:73]
	v_mul_f64_e32 v[64:65], v[64:65], v[10:11]
	v_add_f64_e32 v[18:19], v[18:19], v[72:73]
	s_delay_alu instid0(VALU_DEP_2) | instskip(NEXT) | instid1(VALU_DEP_1)
	v_fmac_f64_e32 v[64:65], v[66:67], v[8:9]
	v_add_f64_e32 v[58:59], v[64:65], v[58:59]
	ds_load_b128 v[64:67], v74 offset:8432
	s_wait_dscnt 0x0
	v_mul_f64_e32 v[72:73], v[66:67], v[70:71]
	v_mul_f64_e32 v[70:71], v[64:65], v[70:71]
	s_delay_alu instid0(VALU_DEP_2) | instskip(NEXT) | instid1(VALU_DEP_2)
	v_fma_f64 v[72:73], v[64:65], v[68:69], -v[72:73]
	v_fmac_f64_e32 v[70:71], v[66:67], v[68:69]
	s_delay_alu instid0(VALU_DEP_2) | instskip(SKIP_2) | instid1(VALU_DEP_4)
	v_add_f64_e32 v[68:69], v[14:15], v[72:73]
	v_mul_f64_e32 v[14:15], v[66:67], v[10:11]
	v_mul_f64_e32 v[10:11], v[64:65], v[10:11]
	v_add_f64_e32 v[16:17], v[70:71], v[16:17]
	s_delay_alu instid0(VALU_DEP_3) | instskip(NEXT) | instid1(VALU_DEP_3)
	v_fma_f64 v[14:15], v[64:65], v[8:9], -v[14:15]
	v_fmac_f64_e32 v[10:11], v[66:67], v[8:9]
	s_delay_alu instid0(VALU_DEP_2) | instskip(NEXT) | instid1(VALU_DEP_2)
	v_add_f64_e32 v[2:3], v[2:3], v[14:15]
	v_add_f64_e32 v[64:65], v[10:11], v[12:13]
	ds_load_b128 v[8:11], v74 offset:256
	ds_load_b128 v[12:15], v26 offset:8192
	s_wait_dscnt 0x0
	v_mul_f64_e32 v[66:67], v[10:11], v[14:15]
	v_mul_f64_e32 v[70:71], v[8:9], v[14:15]
	s_delay_alu instid0(VALU_DEP_2) | instskip(NEXT) | instid1(VALU_DEP_2)
	v_fma_f64 v[66:67], v[8:9], v[12:13], -v[66:67]
	v_fmac_f64_e32 v[70:71], v[10:11], v[12:13]
	s_delay_alu instid0(VALU_DEP_2) | instskip(NEXT) | instid1(VALU_DEP_2)
	v_add_f64_e32 v[72:73], v[60:61], v[66:67]
	v_add_f64_e32 v[82:83], v[70:71], v[62:63]
	ds_load_b128 v[60:63], v26 offset:8448
	s_wait_dscnt 0x0
	v_mul_f64_e32 v[66:67], v[10:11], v[62:63]
	s_delay_alu instid0(VALU_DEP_1) | instskip(SKIP_1) | instid1(VALU_DEP_2)
	v_fma_f64 v[66:67], v[8:9], v[60:61], -v[66:67]
	v_mul_f64_e32 v[8:9], v[8:9], v[62:63]
	v_add_f64_e32 v[18:19], v[18:19], v[66:67]
	s_delay_alu instid0(VALU_DEP_2) | instskip(NEXT) | instid1(VALU_DEP_1)
	v_fmac_f64_e32 v[8:9], v[10:11], v[60:61]
	v_add_f64_e32 v[58:59], v[8:9], v[58:59]
	ds_load_b128 v[8:11], v74 offset:8448
	s_wait_dscnt 0x0
	v_mul_f64_e32 v[66:67], v[10:11], v[14:15]
	v_mul_f64_e32 v[70:71], v[8:9], v[14:15]
	s_delay_alu instid0(VALU_DEP_2) | instskip(NEXT) | instid1(VALU_DEP_2)
	v_fma_f64 v[66:67], v[8:9], v[12:13], -v[66:67]
	v_fmac_f64_e32 v[70:71], v[10:11], v[12:13]
	v_mul_f64_e32 v[12:13], v[10:11], v[62:63]
	s_delay_alu instid0(VALU_DEP_3) | instskip(NEXT) | instid1(VALU_DEP_3)
	v_add_f64_e32 v[14:15], v[68:69], v[66:67]
	v_add_f64_e32 v[16:17], v[70:71], v[16:17]
	s_delay_alu instid0(VALU_DEP_3) | instskip(SKIP_1) | instid1(VALU_DEP_2)
	v_fma_f64 v[12:13], v[8:9], v[60:61], -v[12:13]
	v_mul_f64_e32 v[8:9], v[8:9], v[62:63]
	v_add_f64_e32 v[2:3], v[2:3], v[12:13]
	s_delay_alu instid0(VALU_DEP_2) | instskip(NEXT) | instid1(VALU_DEP_1)
	v_fmac_f64_e32 v[8:9], v[10:11], v[60:61]
	v_add_f64_e32 v[12:13], v[8:9], v[64:65]
	ds_load_b128 v[64:67], v74 offset:272
	ds_load_b128 v[68:71], v26 offset:8704
	s_wait_dscnt 0x0
	v_mul_f64_e32 v[8:9], v[66:67], v[70:71]
	v_mul_f64_e32 v[10:11], v[64:65], v[70:71]
	s_delay_alu instid0(VALU_DEP_2) | instskip(NEXT) | instid1(VALU_DEP_2)
	v_fma_f64 v[8:9], v[64:65], v[68:69], -v[8:9]
	v_fmac_f64_e32 v[10:11], v[66:67], v[68:69]
	s_delay_alu instid0(VALU_DEP_2) | instskip(NEXT) | instid1(VALU_DEP_2)
	v_add_f64_e32 v[60:61], v[72:73], v[8:9]
	v_add_f64_e32 v[62:63], v[10:11], v[82:83]
	ds_load_b128 v[8:11], v26 offset:8960
	s_wait_dscnt 0x0
	v_mul_f64_e32 v[72:73], v[66:67], v[10:11]
	s_delay_alu instid0(VALU_DEP_1) | instskip(SKIP_1) | instid1(VALU_DEP_2)
	v_fma_f64 v[72:73], v[64:65], v[8:9], -v[72:73]
	v_mul_f64_e32 v[64:65], v[64:65], v[10:11]
	v_add_f64_e32 v[18:19], v[18:19], v[72:73]
	s_delay_alu instid0(VALU_DEP_2) | instskip(NEXT) | instid1(VALU_DEP_1)
	v_fmac_f64_e32 v[64:65], v[66:67], v[8:9]
	v_add_f64_e32 v[58:59], v[64:65], v[58:59]
	ds_load_b128 v[64:67], v74 offset:8464
	s_wait_dscnt 0x0
	v_mul_f64_e32 v[72:73], v[66:67], v[70:71]
	v_mul_f64_e32 v[70:71], v[64:65], v[70:71]
	s_delay_alu instid0(VALU_DEP_2) | instskip(NEXT) | instid1(VALU_DEP_2)
	v_fma_f64 v[72:73], v[64:65], v[68:69], -v[72:73]
	v_fmac_f64_e32 v[70:71], v[66:67], v[68:69]
	s_delay_alu instid0(VALU_DEP_2) | instskip(SKIP_2) | instid1(VALU_DEP_4)
	v_add_f64_e32 v[68:69], v[14:15], v[72:73]
	v_mul_f64_e32 v[14:15], v[66:67], v[10:11]
	v_mul_f64_e32 v[10:11], v[64:65], v[10:11]
	v_add_f64_e32 v[16:17], v[70:71], v[16:17]
	s_delay_alu instid0(VALU_DEP_3) | instskip(NEXT) | instid1(VALU_DEP_3)
	v_fma_f64 v[14:15], v[64:65], v[8:9], -v[14:15]
	v_fmac_f64_e32 v[10:11], v[66:67], v[8:9]
	s_delay_alu instid0(VALU_DEP_2) | instskip(NEXT) | instid1(VALU_DEP_2)
	v_add_f64_e32 v[2:3], v[2:3], v[14:15]
	v_add_f64_e32 v[64:65], v[10:11], v[12:13]
	ds_load_b128 v[8:11], v74 offset:288
	ds_load_b128 v[12:15], v26 offset:9216
	s_wait_dscnt 0x0
	v_mul_f64_e32 v[66:67], v[10:11], v[14:15]
	v_mul_f64_e32 v[70:71], v[8:9], v[14:15]
	s_delay_alu instid0(VALU_DEP_2) | instskip(NEXT) | instid1(VALU_DEP_2)
	v_fma_f64 v[66:67], v[8:9], v[12:13], -v[66:67]
	v_fmac_f64_e32 v[70:71], v[10:11], v[12:13]
	s_delay_alu instid0(VALU_DEP_2) | instskip(NEXT) | instid1(VALU_DEP_2)
	v_add_f64_e32 v[72:73], v[60:61], v[66:67]
	v_add_f64_e32 v[82:83], v[70:71], v[62:63]
	ds_load_b128 v[60:63], v26 offset:9472
	s_wait_dscnt 0x0
	v_mul_f64_e32 v[66:67], v[10:11], v[62:63]
	s_delay_alu instid0(VALU_DEP_1) | instskip(SKIP_1) | instid1(VALU_DEP_2)
	v_fma_f64 v[66:67], v[8:9], v[60:61], -v[66:67]
	v_mul_f64_e32 v[8:9], v[8:9], v[62:63]
	v_add_f64_e32 v[18:19], v[18:19], v[66:67]
	s_delay_alu instid0(VALU_DEP_2) | instskip(NEXT) | instid1(VALU_DEP_1)
	v_fmac_f64_e32 v[8:9], v[10:11], v[60:61]
	v_add_f64_e32 v[58:59], v[8:9], v[58:59]
	ds_load_b128 v[8:11], v74 offset:8480
	s_wait_dscnt 0x0
	v_mul_f64_e32 v[66:67], v[10:11], v[14:15]
	v_mul_f64_e32 v[70:71], v[8:9], v[14:15]
	s_delay_alu instid0(VALU_DEP_2) | instskip(NEXT) | instid1(VALU_DEP_2)
	v_fma_f64 v[66:67], v[8:9], v[12:13], -v[66:67]
	v_fmac_f64_e32 v[70:71], v[10:11], v[12:13]
	v_mul_f64_e32 v[12:13], v[10:11], v[62:63]
	s_delay_alu instid0(VALU_DEP_3) | instskip(NEXT) | instid1(VALU_DEP_3)
	v_add_f64_e32 v[14:15], v[68:69], v[66:67]
	v_add_f64_e32 v[16:17], v[70:71], v[16:17]
	s_delay_alu instid0(VALU_DEP_3) | instskip(SKIP_1) | instid1(VALU_DEP_2)
	v_fma_f64 v[12:13], v[8:9], v[60:61], -v[12:13]
	v_mul_f64_e32 v[8:9], v[8:9], v[62:63]
	v_add_f64_e32 v[2:3], v[2:3], v[12:13]
	s_delay_alu instid0(VALU_DEP_2) | instskip(NEXT) | instid1(VALU_DEP_1)
	v_fmac_f64_e32 v[8:9], v[10:11], v[60:61]
	v_add_f64_e32 v[12:13], v[8:9], v[64:65]
	ds_load_b128 v[64:67], v74 offset:304
	ds_load_b128 v[68:71], v26 offset:9728
	s_wait_dscnt 0x0
	v_mul_f64_e32 v[8:9], v[66:67], v[70:71]
	v_mul_f64_e32 v[10:11], v[64:65], v[70:71]
	s_delay_alu instid0(VALU_DEP_2) | instskip(NEXT) | instid1(VALU_DEP_2)
	v_fma_f64 v[8:9], v[64:65], v[68:69], -v[8:9]
	v_fmac_f64_e32 v[10:11], v[66:67], v[68:69]
	s_delay_alu instid0(VALU_DEP_2) | instskip(NEXT) | instid1(VALU_DEP_2)
	v_add_f64_e32 v[60:61], v[72:73], v[8:9]
	v_add_f64_e32 v[62:63], v[10:11], v[82:83]
	ds_load_b128 v[8:11], v26 offset:9984
	s_wait_dscnt 0x0
	v_mul_f64_e32 v[72:73], v[66:67], v[10:11]
	s_delay_alu instid0(VALU_DEP_1) | instskip(SKIP_1) | instid1(VALU_DEP_2)
	v_fma_f64 v[72:73], v[64:65], v[8:9], -v[72:73]
	v_mul_f64_e32 v[64:65], v[64:65], v[10:11]
	v_add_f64_e32 v[18:19], v[18:19], v[72:73]
	s_delay_alu instid0(VALU_DEP_2) | instskip(NEXT) | instid1(VALU_DEP_1)
	v_fmac_f64_e32 v[64:65], v[66:67], v[8:9]
	v_add_f64_e32 v[58:59], v[64:65], v[58:59]
	ds_load_b128 v[64:67], v74 offset:8496
	s_wait_dscnt 0x0
	v_mul_f64_e32 v[72:73], v[66:67], v[70:71]
	v_mul_f64_e32 v[70:71], v[64:65], v[70:71]
	s_delay_alu instid0(VALU_DEP_2) | instskip(NEXT) | instid1(VALU_DEP_2)
	v_fma_f64 v[72:73], v[64:65], v[68:69], -v[72:73]
	v_fmac_f64_e32 v[70:71], v[66:67], v[68:69]
	s_delay_alu instid0(VALU_DEP_2) | instskip(SKIP_2) | instid1(VALU_DEP_4)
	v_add_f64_e32 v[68:69], v[14:15], v[72:73]
	v_mul_f64_e32 v[14:15], v[66:67], v[10:11]
	v_mul_f64_e32 v[10:11], v[64:65], v[10:11]
	v_add_f64_e32 v[16:17], v[70:71], v[16:17]
	s_delay_alu instid0(VALU_DEP_3) | instskip(NEXT) | instid1(VALU_DEP_3)
	v_fma_f64 v[14:15], v[64:65], v[8:9], -v[14:15]
	v_fmac_f64_e32 v[10:11], v[66:67], v[8:9]
	s_delay_alu instid0(VALU_DEP_2) | instskip(NEXT) | instid1(VALU_DEP_2)
	v_add_f64_e32 v[2:3], v[2:3], v[14:15]
	v_add_f64_e32 v[70:71], v[10:11], v[12:13]
	ds_load_b128 v[8:11], v74 offset:320
	ds_load_b128 v[12:15], v26 offset:10240
	s_wait_dscnt 0x0
	v_mul_f64_e32 v[64:65], v[10:11], v[14:15]
	v_mul_f64_e32 v[66:67], v[8:9], v[14:15]
	s_delay_alu instid0(VALU_DEP_2) | instskip(NEXT) | instid1(VALU_DEP_2)
	v_fma_f64 v[64:65], v[8:9], v[12:13], -v[64:65]
	v_fmac_f64_e32 v[66:67], v[10:11], v[12:13]
	s_delay_alu instid0(VALU_DEP_2) | instskip(NEXT) | instid1(VALU_DEP_2)
	v_add_f64_e32 v[72:73], v[60:61], v[64:65]
	v_add_f64_e32 v[82:83], v[66:67], v[62:63]
	ds_load_b128 v[60:63], v26 offset:10496
	s_wait_dscnt 0x0
	v_mul_f64_e32 v[64:65], v[10:11], v[62:63]
	s_delay_alu instid0(VALU_DEP_1) | instskip(SKIP_1) | instid1(VALU_DEP_2)
	v_fma_f64 v[64:65], v[8:9], v[60:61], -v[64:65]
	v_mul_f64_e32 v[8:9], v[8:9], v[62:63]
	v_add_f64_e32 v[18:19], v[18:19], v[64:65]
	s_delay_alu instid0(VALU_DEP_2) | instskip(NEXT) | instid1(VALU_DEP_1)
	v_fmac_f64_e32 v[8:9], v[10:11], v[60:61]
	v_add_f64_e32 v[58:59], v[8:9], v[58:59]
	ds_load_b128 v[8:11], v74 offset:8512
	s_wait_dscnt 0x0
	v_mul_f64_e32 v[64:65], v[10:11], v[14:15]
	v_mul_f64_e32 v[14:15], v[8:9], v[14:15]
	s_delay_alu instid0(VALU_DEP_2) | instskip(NEXT) | instid1(VALU_DEP_2)
	v_fma_f64 v[64:65], v[8:9], v[12:13], -v[64:65]
	v_fmac_f64_e32 v[14:15], v[10:11], v[12:13]
	v_mul_f64_e32 v[12:13], v[10:11], v[62:63]
	s_delay_alu instid0(VALU_DEP_3) | instskip(NEXT) | instid1(VALU_DEP_3)
	v_add_f64_e32 v[64:65], v[68:69], v[64:65]
	v_add_f64_e32 v[66:67], v[14:15], v[16:17]
	s_delay_alu instid0(VALU_DEP_3) | instskip(SKIP_1) | instid1(VALU_DEP_2)
	v_fma_f64 v[12:13], v[8:9], v[60:61], -v[12:13]
	v_mul_f64_e32 v[8:9], v[8:9], v[62:63]
	v_add_f64_e32 v[2:3], v[2:3], v[12:13]
	s_delay_alu instid0(VALU_DEP_2) | instskip(NEXT) | instid1(VALU_DEP_1)
	v_fmac_f64_e32 v[8:9], v[10:11], v[60:61]
	v_add_f64_e32 v[16:17], v[8:9], v[70:71]
	ds_load_b128 v[12:15], v74 offset:336
	ds_load_b128 v[68:71], v26 offset:10752
	s_wait_dscnt 0x0
	v_mul_f64_e32 v[8:9], v[14:15], v[70:71]
	v_mul_f64_e32 v[10:11], v[12:13], v[70:71]
	s_delay_alu instid0(VALU_DEP_2) | instskip(NEXT) | instid1(VALU_DEP_2)
	v_fma_f64 v[8:9], v[12:13], v[68:69], -v[8:9]
	v_fmac_f64_e32 v[10:11], v[14:15], v[68:69]
	s_delay_alu instid0(VALU_DEP_2) | instskip(NEXT) | instid1(VALU_DEP_2)
	v_add_f64_e32 v[60:61], v[72:73], v[8:9]
	v_add_f64_e32 v[62:63], v[10:11], v[82:83]
	ds_load_b128 v[8:11], v26 offset:11008
	s_wait_dscnt 0x0
	v_mul_f64_e32 v[72:73], v[14:15], v[10:11]
	s_delay_alu instid0(VALU_DEP_1) | instskip(SKIP_1) | instid1(VALU_DEP_2)
	v_fma_f64 v[72:73], v[12:13], v[8:9], -v[72:73]
	v_mul_f64_e32 v[12:13], v[12:13], v[10:11]
	v_add_f64_e32 v[18:19], v[18:19], v[72:73]
	s_delay_alu instid0(VALU_DEP_2) | instskip(NEXT) | instid1(VALU_DEP_1)
	v_fmac_f64_e32 v[12:13], v[14:15], v[8:9]
	v_add_f64_e32 v[58:59], v[12:13], v[58:59]
	ds_load_b128 v[12:15], v74 offset:8528
	s_wait_dscnt 0x0
	v_mul_f64_e32 v[72:73], v[14:15], v[70:71]
	v_mul_f64_e32 v[70:71], v[12:13], v[70:71]
	s_delay_alu instid0(VALU_DEP_2) | instskip(NEXT) | instid1(VALU_DEP_2)
	v_fma_f64 v[72:73], v[12:13], v[68:69], -v[72:73]
	v_fmac_f64_e32 v[70:71], v[14:15], v[68:69]
	v_mul_f64_e32 v[68:69], v[14:15], v[10:11]
	v_mul_f64_e32 v[10:11], v[12:13], v[10:11]
	s_delay_alu instid0(VALU_DEP_4) | instskip(NEXT) | instid1(VALU_DEP_4)
	v_add_f64_e32 v[64:65], v[64:65], v[72:73]
	v_add_f64_e32 v[66:67], v[70:71], v[66:67]
	s_delay_alu instid0(VALU_DEP_4) | instskip(NEXT) | instid1(VALU_DEP_4)
	v_fma_f64 v[68:69], v[12:13], v[8:9], -v[68:69]
	v_fmac_f64_e32 v[10:11], v[14:15], v[8:9]
	s_delay_alu instid0(VALU_DEP_2) | instskip(NEXT) | instid1(VALU_DEP_2)
	v_add_f64_e32 v[68:69], v[2:3], v[68:69]
	v_add_f64_e32 v[70:71], v[10:11], v[16:17]
	ds_load_b128 v[8:11], v74 offset:352
	ds_load_b128 v[12:15], v26 offset:11264
	s_wait_dscnt 0x0
	v_mul_f64_e32 v[2:3], v[10:11], v[14:15]
	v_mul_f64_e32 v[16:17], v[8:9], v[14:15]
	s_delay_alu instid0(VALU_DEP_2) | instskip(NEXT) | instid1(VALU_DEP_2)
	v_fma_f64 v[2:3], v[8:9], v[12:13], -v[2:3]
	v_fmac_f64_e32 v[16:17], v[10:11], v[12:13]
	s_delay_alu instid0(VALU_DEP_2) | instskip(NEXT) | instid1(VALU_DEP_2)
	v_add_f64_e32 v[72:73], v[60:61], v[2:3]
	v_add_f64_e32 v[82:83], v[16:17], v[62:63]
	ds_load_b128 v[60:63], v26 offset:11520
	s_wait_dscnt 0x0
	v_mul_f64_e32 v[2:3], v[10:11], v[62:63]
	s_delay_alu instid0(VALU_DEP_1) | instskip(SKIP_1) | instid1(VALU_DEP_2)
	v_fma_f64 v[2:3], v[8:9], v[60:61], -v[2:3]
	v_mul_f64_e32 v[8:9], v[8:9], v[62:63]
	v_add_f64_e32 v[84:85], v[18:19], v[2:3]
	s_delay_alu instid0(VALU_DEP_2) | instskip(NEXT) | instid1(VALU_DEP_1)
	v_fmac_f64_e32 v[8:9], v[10:11], v[60:61]
	v_add_f64_e32 v[86:87], v[8:9], v[58:59]
	ds_load_b128 v[8:11], v74 offset:8544
	s_wait_dscnt 0x0
	v_mul_f64_e32 v[2:3], v[10:11], v[14:15]
	v_mul_f64_e32 v[14:15], v[8:9], v[14:15]
	s_delay_alu instid0(VALU_DEP_2) | instskip(NEXT) | instid1(VALU_DEP_2)
	v_fma_f64 v[2:3], v[8:9], v[12:13], -v[2:3]
	v_fmac_f64_e32 v[14:15], v[10:11], v[12:13]
	v_mul_f64_e32 v[12:13], v[10:11], v[62:63]
	s_delay_alu instid0(VALU_DEP_3) | instskip(NEXT) | instid1(VALU_DEP_3)
	v_add_f64_e32 v[2:3], v[64:65], v[2:3]
	v_add_f64_e32 v[16:17], v[14:15], v[66:67]
	s_delay_alu instid0(VALU_DEP_3) | instskip(SKIP_1) | instid1(VALU_DEP_2)
	v_fma_f64 v[12:13], v[8:9], v[60:61], -v[12:13]
	v_mul_f64_e32 v[8:9], v[8:9], v[62:63]
	v_add_f64_e32 v[18:19], v[68:69], v[12:13]
	s_delay_alu instid0(VALU_DEP_2) | instskip(NEXT) | instid1(VALU_DEP_1)
	v_fmac_f64_e32 v[8:9], v[10:11], v[60:61]
	v_add_f64_e32 v[58:59], v[8:9], v[70:71]
	ds_load_b128 v[60:63], v74 offset:368
	ds_load_b128 v[8:11], v26 offset:11776
	s_wait_dscnt 0x0
	v_mul_f64_e32 v[12:13], v[62:63], v[10:11]
	v_mul_f64_e32 v[14:15], v[60:61], v[10:11]
	s_delay_alu instid0(VALU_DEP_2) | instskip(NEXT) | instid1(VALU_DEP_2)
	v_fma_f64 v[12:13], v[60:61], v[8:9], -v[12:13]
	v_fmac_f64_e32 v[14:15], v[62:63], v[8:9]
	s_delay_alu instid0(VALU_DEP_2) | instskip(NEXT) | instid1(VALU_DEP_2)
	v_add_f64_e32 v[64:65], v[72:73], v[12:13]
	v_add_f64_e32 v[66:67], v[14:15], v[82:83]
	ds_load_b128 v[12:15], v26 offset:12032
	s_wait_dscnt 0x0
	v_mul_f64_e32 v[68:69], v[62:63], v[14:15]
	v_mul_f64_e32 v[70:71], v[60:61], v[14:15]
	s_delay_alu instid0(VALU_DEP_2) | instskip(NEXT) | instid1(VALU_DEP_2)
	v_fma_f64 v[68:69], v[60:61], v[12:13], -v[68:69]
	v_fmac_f64_e32 v[70:71], v[62:63], v[12:13]
	s_delay_alu instid0(VALU_DEP_2) | instskip(NEXT) | instid1(VALU_DEP_2)
	v_add_f64_e32 v[60:61], v[84:85], v[68:69]
	v_add_f64_e32 v[62:63], v[70:71], v[86:87]
	ds_load_b128 v[68:71], v74 offset:8560
	s_wait_dscnt 0x0
	v_mul_f64_e32 v[72:73], v[70:71], v[10:11]
	v_mul_f64_e32 v[10:11], v[68:69], v[10:11]
	s_delay_alu instid0(VALU_DEP_2) | instskip(NEXT) | instid1(VALU_DEP_2)
	v_fma_f64 v[72:73], v[68:69], v[8:9], -v[72:73]
	v_fmac_f64_e32 v[10:11], v[70:71], v[8:9]
	v_mul_f64_e32 v[8:9], v[70:71], v[14:15]
	s_delay_alu instid0(VALU_DEP_3) | instskip(NEXT) | instid1(VALU_DEP_3)
	v_add_f64_e32 v[2:3], v[2:3], v[72:73]
	v_add_f64_e32 v[72:73], v[10:11], v[16:17]
	v_mul_f64_e32 v[10:11], v[68:69], v[14:15]
	s_delay_alu instid0(VALU_DEP_4) | instskip(NEXT) | instid1(VALU_DEP_2)
	v_fma_f64 v[8:9], v[68:69], v[12:13], -v[8:9]
	v_fmac_f64_e32 v[10:11], v[70:71], v[12:13]
	s_delay_alu instid0(VALU_DEP_2) | instskip(NEXT) | instid1(VALU_DEP_2)
	v_add_f64_e32 v[68:69], v[18:19], v[8:9]
	v_add_f64_e32 v[70:71], v[10:11], v[58:59]
	ds_load_b128 v[8:11], v74 offset:384
	ds_load_b128 v[12:15], v26 offset:12288
	s_wait_dscnt 0x0
	v_mul_f64_e32 v[16:17], v[10:11], v[14:15]
	v_mul_f64_e32 v[18:19], v[8:9], v[14:15]
	s_delay_alu instid0(VALU_DEP_2) | instskip(NEXT) | instid1(VALU_DEP_2)
	v_fma_f64 v[16:17], v[8:9], v[12:13], -v[16:17]
	v_fmac_f64_e32 v[18:19], v[10:11], v[12:13]
	s_delay_alu instid0(VALU_DEP_2) | instskip(NEXT) | instid1(VALU_DEP_2)
	v_add_f64_e32 v[64:65], v[64:65], v[16:17]
	v_add_f64_e32 v[66:67], v[18:19], v[66:67]
	ds_load_b128 v[16:19], v26 offset:12544
	s_wait_dscnt 0x0
	v_mul_f64_e32 v[58:59], v[10:11], v[18:19]
	s_delay_alu instid0(VALU_DEP_1) | instskip(SKIP_1) | instid1(VALU_DEP_2)
	v_fma_f64 v[58:59], v[8:9], v[16:17], -v[58:59]
	v_mul_f64_e32 v[8:9], v[8:9], v[18:19]
	v_add_f64_e32 v[82:83], v[60:61], v[58:59]
	s_delay_alu instid0(VALU_DEP_2)
	v_fmac_f64_e32 v[8:9], v[10:11], v[16:17]
	ds_load_b128 v[58:61], v74 offset:8576
	v_add_f64_e32 v[84:85], v[8:9], v[62:63]
	s_wait_dscnt 0x0
	v_mul_f64_e32 v[8:9], v[60:61], v[14:15]
	v_mul_f64_e32 v[14:15], v[58:59], v[14:15]
	s_delay_alu instid0(VALU_DEP_2) | instskip(NEXT) | instid1(VALU_DEP_2)
	v_fma_f64 v[8:9], v[58:59], v[12:13], -v[8:9]
	v_fmac_f64_e32 v[14:15], v[60:61], v[12:13]
	s_delay_alu instid0(VALU_DEP_2) | instskip(SKIP_2) | instid1(VALU_DEP_4)
	v_add_f64_e32 v[10:11], v[2:3], v[8:9]
	v_mul_f64_e32 v[2:3], v[60:61], v[18:19]
	v_mul_f64_e32 v[8:9], v[58:59], v[18:19]
	v_add_f64_e32 v[12:13], v[14:15], v[72:73]
	s_delay_alu instid0(VALU_DEP_3) | instskip(NEXT) | instid1(VALU_DEP_3)
	v_fma_f64 v[2:3], v[58:59], v[16:17], -v[2:3]
	v_fmac_f64_e32 v[8:9], v[60:61], v[16:17]
	ds_load_b128 v[14:17], v74 offset:400
	ds_load_b128 v[60:63], v26 offset:12800
	s_wait_dscnt 0x0
	v_mul_f64_e32 v[18:19], v[16:17], v[62:63]
	v_mul_f64_e32 v[58:59], v[14:15], v[62:63]
	v_add_f64_e32 v[2:3], v[68:69], v[2:3]
	v_add_f64_e32 v[8:9], v[8:9], v[70:71]
	s_delay_alu instid0(VALU_DEP_4) | instskip(NEXT) | instid1(VALU_DEP_4)
	v_fma_f64 v[18:19], v[14:15], v[60:61], -v[18:19]
	v_fmac_f64_e32 v[58:59], v[16:17], v[60:61]
	s_delay_alu instid0(VALU_DEP_2) | instskip(NEXT) | instid1(VALU_DEP_2)
	v_add_f64_e32 v[18:19], v[64:65], v[18:19]
	v_add_f64_e32 v[58:59], v[58:59], v[66:67]
	ds_load_b128 v[64:67], v26 offset:13056
	s_wait_dscnt 0x0
	v_mul_f64_e32 v[68:69], v[16:17], v[66:67]
	v_mul_f64_e32 v[70:71], v[14:15], v[66:67]
	s_delay_alu instid0(VALU_DEP_2) | instskip(NEXT) | instid1(VALU_DEP_2)
	v_fma_f64 v[68:69], v[14:15], v[64:65], -v[68:69]
	v_fmac_f64_e32 v[70:71], v[16:17], v[64:65]
	s_delay_alu instid0(VALU_DEP_2) | instskip(NEXT) | instid1(VALU_DEP_2)
	v_add_f64_e32 v[14:15], v[82:83], v[68:69]
	v_add_f64_e32 v[16:17], v[70:71], v[84:85]
	ds_load_b128 v[68:71], v74 offset:8592
	s_wait_dscnt 0x0
	v_mul_f64_e32 v[72:73], v[70:71], v[62:63]
	v_mul_f64_e32 v[62:63], v[68:69], v[62:63]
	s_delay_alu instid0(VALU_DEP_2) | instskip(NEXT) | instid1(VALU_DEP_2)
	v_fma_f64 v[72:73], v[68:69], v[60:61], -v[72:73]
	v_fmac_f64_e32 v[62:63], v[70:71], v[60:61]
	v_mul_f64_e32 v[60:61], v[68:69], v[66:67]
	s_delay_alu instid0(VALU_DEP_3) | instskip(SKIP_1) | instid1(VALU_DEP_3)
	v_add_f64_e32 v[72:73], v[10:11], v[72:73]
	v_mul_f64_e32 v[10:11], v[70:71], v[66:67]
	v_fmac_f64_e32 v[60:61], v[70:71], v[64:65]
	v_add_f64_e32 v[12:13], v[62:63], v[12:13]
	s_delay_alu instid0(VALU_DEP_3) | instskip(NEXT) | instid1(VALU_DEP_3)
	v_fma_f64 v[10:11], v[68:69], v[64:65], -v[10:11]
	v_add_f64_e32 v[68:69], v[60:61], v[8:9]
	s_delay_alu instid0(VALU_DEP_2)
	v_add_f64_e32 v[2:3], v[2:3], v[10:11]
	ds_load_b128 v[8:11], v74 offset:416
	ds_load_b128 v[60:63], v26 offset:13312
	s_wait_dscnt 0x0
	v_mul_f64_e32 v[64:65], v[10:11], v[62:63]
	v_mul_f64_e32 v[66:67], v[8:9], v[62:63]
	s_delay_alu instid0(VALU_DEP_2) | instskip(NEXT) | instid1(VALU_DEP_2)
	v_fma_f64 v[64:65], v[8:9], v[60:61], -v[64:65]
	v_fmac_f64_e32 v[66:67], v[10:11], v[60:61]
	s_delay_alu instid0(VALU_DEP_2) | instskip(NEXT) | instid1(VALU_DEP_2)
	v_add_f64_e32 v[70:71], v[18:19], v[64:65]
	v_add_f64_e32 v[82:83], v[66:67], v[58:59]
	ds_load_b128 v[64:67], v26 offset:13568
	s_wait_dscnt 0x0
	v_mul_f64_e32 v[18:19], v[10:11], v[66:67]
	s_delay_alu instid0(VALU_DEP_1) | instskip(SKIP_1) | instid1(VALU_DEP_2)
	v_fma_f64 v[18:19], v[8:9], v[64:65], -v[18:19]
	v_mul_f64_e32 v[8:9], v[8:9], v[66:67]
	v_add_f64_e32 v[84:85], v[14:15], v[18:19]
	s_delay_alu instid0(VALU_DEP_2) | instskip(NEXT) | instid1(VALU_DEP_1)
	v_fmac_f64_e32 v[8:9], v[10:11], v[64:65]
	v_add_f64_e32 v[86:87], v[8:9], v[16:17]
	ds_load_b128 v[8:11], v74 offset:8608
	s_wait_dscnt 0x0
	v_mul_f64_e32 v[16:17], v[8:9], v[62:63]
	v_mul_f64_e32 v[14:15], v[10:11], v[62:63]
	s_delay_alu instid0(VALU_DEP_2) | instskip(NEXT) | instid1(VALU_DEP_2)
	v_fmac_f64_e32 v[16:17], v[10:11], v[60:61]
	v_fma_f64 v[14:15], v[8:9], v[60:61], -v[14:15]
	s_delay_alu instid0(VALU_DEP_2) | instskip(SKIP_1) | instid1(VALU_DEP_3)
	v_add_f64_e32 v[16:17], v[16:17], v[12:13]
	v_mul_f64_e32 v[12:13], v[10:11], v[66:67]
	v_add_f64_e32 v[14:15], v[72:73], v[14:15]
	s_delay_alu instid0(VALU_DEP_2) | instskip(SKIP_1) | instid1(VALU_DEP_2)
	v_fma_f64 v[12:13], v[8:9], v[64:65], -v[12:13]
	v_mul_f64_e32 v[8:9], v[8:9], v[66:67]
	v_add_f64_e32 v[18:19], v[2:3], v[12:13]
	s_delay_alu instid0(VALU_DEP_2)
	v_fmac_f64_e32 v[8:9], v[10:11], v[64:65]
	ds_load_b128 v[60:63], v74 offset:432
	ds_load_b128 v[64:67], v26 offset:13824
	s_wait_dscnt 0x0
	v_mul_f64_e32 v[2:3], v[62:63], v[66:67]
	v_add_f64_e32 v[58:59], v[8:9], v[68:69]
	v_mul_f64_e32 v[8:9], v[60:61], v[66:67]
	s_delay_alu instid0(VALU_DEP_3) | instskip(NEXT) | instid1(VALU_DEP_2)
	v_fma_f64 v[2:3], v[60:61], v[64:65], -v[2:3]
	v_fmac_f64_e32 v[8:9], v[62:63], v[64:65]
	s_delay_alu instid0(VALU_DEP_2)
	v_add_f64_e32 v[10:11], v[70:71], v[2:3]
	ds_load_b128 v[68:71], v26 offset:14080
	v_add_f64_e32 v[12:13], v[8:9], v[82:83]
	s_wait_dscnt 0x0
	v_mul_f64_e32 v[2:3], v[62:63], v[70:71]
	v_mul_f64_e32 v[8:9], v[60:61], v[70:71]
	s_delay_alu instid0(VALU_DEP_2) | instskip(NEXT) | instid1(VALU_DEP_2)
	v_fma_f64 v[2:3], v[60:61], v[68:69], -v[2:3]
	v_fmac_f64_e32 v[8:9], v[62:63], v[68:69]
	ds_load_b128 v[60:63], v74 offset:8624
	s_wait_dscnt 0x0
	v_mul_f64_e32 v[72:73], v[62:63], v[66:67]
	v_mul_f64_e32 v[66:67], v[60:61], v[66:67]
	v_add_f64_e32 v[2:3], v[84:85], v[2:3]
	v_add_f64_e32 v[8:9], v[8:9], v[86:87]
	s_delay_alu instid0(VALU_DEP_4) | instskip(NEXT) | instid1(VALU_DEP_4)
	v_fma_f64 v[72:73], v[60:61], v[64:65], -v[72:73]
	v_fmac_f64_e32 v[66:67], v[62:63], v[64:65]
	v_mul_f64_e32 v[64:65], v[62:63], v[70:71]
	s_delay_alu instid0(VALU_DEP_3) | instskip(NEXT) | instid1(VALU_DEP_3)
	v_add_f64_e32 v[14:15], v[14:15], v[72:73]
	v_add_f64_e32 v[16:17], v[66:67], v[16:17]
	s_delay_alu instid0(VALU_DEP_3) | instskip(SKIP_1) | instid1(VALU_DEP_2)
	v_fma_f64 v[64:65], v[60:61], v[68:69], -v[64:65]
	v_mul_f64_e32 v[60:61], v[60:61], v[70:71]
	v_add_f64_e32 v[18:19], v[18:19], v[64:65]
	s_delay_alu instid0(VALU_DEP_2) | instskip(NEXT) | instid1(VALU_DEP_1)
	v_fmac_f64_e32 v[60:61], v[62:63], v[68:69]
	v_add_f64_e32 v[58:59], v[60:61], v[58:59]
	ds_load_b128 v[60:63], v74 offset:448
	ds_load_b128 v[64:67], v26 offset:14336
	s_wait_dscnt 0x0
	v_mul_f64_e32 v[68:69], v[62:63], v[66:67]
	v_mul_f64_e32 v[70:71], v[60:61], v[66:67]
	s_delay_alu instid0(VALU_DEP_2) | instskip(NEXT) | instid1(VALU_DEP_2)
	v_fma_f64 v[68:69], v[60:61], v[64:65], -v[68:69]
	v_fmac_f64_e32 v[70:71], v[62:63], v[64:65]
	s_delay_alu instid0(VALU_DEP_2) | instskip(NEXT) | instid1(VALU_DEP_2)
	v_add_f64_e32 v[72:73], v[10:11], v[68:69]
	v_add_f64_e32 v[82:83], v[70:71], v[12:13]
	ds_load_b128 v[68:71], v26 offset:14592
	s_wait_dscnt 0x0
	v_mul_f64_e32 v[10:11], v[62:63], v[70:71]
	v_mul_f64_e32 v[12:13], v[60:61], v[70:71]
	s_delay_alu instid0(VALU_DEP_2) | instskip(NEXT) | instid1(VALU_DEP_2)
	v_fma_f64 v[10:11], v[60:61], v[68:69], -v[10:11]
	v_fmac_f64_e32 v[12:13], v[62:63], v[68:69]
	ds_load_b128 v[60:63], v74 offset:8640
	v_add_f64_e32 v[84:85], v[2:3], v[10:11]
	s_wait_dscnt 0x0
	v_mul_f64_e32 v[2:3], v[62:63], v[66:67]
	v_add_f64_e32 v[86:87], v[12:13], v[8:9]
	v_mul_f64_e32 v[8:9], v[60:61], v[66:67]
	s_delay_alu instid0(VALU_DEP_3) | instskip(NEXT) | instid1(VALU_DEP_2)
	v_fma_f64 v[2:3], v[60:61], v[64:65], -v[2:3]
	v_fmac_f64_e32 v[8:9], v[62:63], v[64:65]
	s_delay_alu instid0(VALU_DEP_2) | instskip(SKIP_1) | instid1(VALU_DEP_3)
	v_add_f64_e32 v[10:11], v[14:15], v[2:3]
	v_mul_f64_e32 v[2:3], v[62:63], v[70:71]
	v_add_f64_e32 v[12:13], v[8:9], v[16:17]
	v_mul_f64_e32 v[8:9], v[60:61], v[70:71]
	s_delay_alu instid0(VALU_DEP_3) | instskip(NEXT) | instid1(VALU_DEP_2)
	v_fma_f64 v[2:3], v[60:61], v[68:69], -v[2:3]
	v_fmac_f64_e32 v[8:9], v[62:63], v[68:69]
	ds_load_b128 v[60:63], v74 offset:464
	ds_load_b128 v[64:67], v26 offset:14848
	;; [unrolled: 1-line block ×3, first 2 shown]
	s_wait_dscnt 0x1
	v_mul_f64_e32 v[14:15], v[62:63], v[66:67]
	v_add_f64_e32 v[2:3], v[18:19], v[2:3]
	v_mul_f64_e32 v[18:19], v[60:61], v[66:67]
	v_add_f64_e32 v[8:9], v[8:9], v[58:59]
	s_delay_alu instid0(VALU_DEP_4) | instskip(NEXT) | instid1(VALU_DEP_3)
	v_fma_f64 v[14:15], v[60:61], v[64:65], -v[14:15]
	v_fmac_f64_e32 v[18:19], v[62:63], v[64:65]
	s_delay_alu instid0(VALU_DEP_2) | instskip(SKIP_2) | instid1(VALU_DEP_3)
	v_add_f64_e32 v[16:17], v[72:73], v[14:15]
	s_wait_dscnt 0x0
	v_mul_f64_e32 v[14:15], v[62:63], v[70:71]
	v_add_f64_e32 v[58:59], v[18:19], v[82:83]
	v_mul_f64_e32 v[18:19], v[60:61], v[70:71]
	s_delay_alu instid0(VALU_DEP_3) | instskip(NEXT) | instid1(VALU_DEP_2)
	v_fma_f64 v[14:15], v[60:61], v[68:69], -v[14:15]
	v_fmac_f64_e32 v[18:19], v[62:63], v[68:69]
	ds_load_b128 v[60:63], v74 offset:8656
	s_wait_dscnt 0x0
	v_mul_f64_e32 v[72:73], v[62:63], v[66:67]
	v_mul_f64_e32 v[66:67], v[60:61], v[66:67]
	v_add_f64_e32 v[14:15], v[84:85], v[14:15]
	v_add_f64_e32 v[18:19], v[18:19], v[86:87]
	s_delay_alu instid0(VALU_DEP_4) | instskip(NEXT) | instid1(VALU_DEP_4)
	v_fma_f64 v[72:73], v[60:61], v[64:65], -v[72:73]
	v_fmac_f64_e32 v[66:67], v[62:63], v[64:65]
	s_delay_alu instid0(VALU_DEP_2) | instskip(SKIP_1) | instid1(VALU_DEP_3)
	v_add_f64_e32 v[72:73], v[10:11], v[72:73]
	v_mul_f64_e32 v[10:11], v[62:63], v[70:71]
	v_add_f64_e32 v[86:87], v[66:67], v[12:13]
	v_mul_f64_e32 v[12:13], v[60:61], v[70:71]
	s_delay_alu instid0(VALU_DEP_3) | instskip(NEXT) | instid1(VALU_DEP_2)
	v_fma_f64 v[10:11], v[60:61], v[68:69], -v[10:11]
	v_fmac_f64_e32 v[12:13], v[62:63], v[68:69]
	ds_load_b128 v[60:63], v74 offset:480
	ds_load_b128 v[64:67], v26 offset:15360
	;; [unrolled: 1-line block ×3, first 2 shown]
	v_add_f64_e32 v[2:3], v[2:3], v[10:11]
	s_wait_dscnt 0x1
	v_mul_f64_e32 v[10:11], v[60:61], v[66:67]
	v_add_f64_e32 v[70:71], v[12:13], v[8:9]
	v_mul_f64_e32 v[8:9], v[62:63], v[66:67]
	s_wait_dscnt 0x0
	v_mul_f64_e32 v[12:13], v[62:63], v[84:85]
	s_delay_alu instid0(VALU_DEP_4) | instskip(NEXT) | instid1(VALU_DEP_3)
	v_fmac_f64_e32 v[10:11], v[62:63], v[64:65]
	v_fma_f64 v[8:9], v[60:61], v[64:65], -v[8:9]
	s_delay_alu instid0(VALU_DEP_3) | instskip(NEXT) | instid1(VALU_DEP_3)
	v_fma_f64 v[12:13], v[60:61], v[82:83], -v[12:13]
	v_add_f64_e32 v[10:11], v[10:11], v[58:59]
	v_mul_f64_e32 v[58:59], v[60:61], v[84:85]
	s_delay_alu instid0(VALU_DEP_4) | instskip(NEXT) | instid1(VALU_DEP_4)
	v_add_f64_e32 v[8:9], v[16:17], v[8:9]
	v_add_f64_e32 v[16:17], v[14:15], v[12:13]
	ds_load_b128 v[12:15], v74 offset:8672
	s_wait_dscnt 0x0
	v_mul_f64_e32 v[60:61], v[12:13], v[66:67]
	v_fmac_f64_e32 v[58:59], v[62:63], v[82:83]
	s_delay_alu instid0(VALU_DEP_2) | instskip(NEXT) | instid1(VALU_DEP_2)
	v_fmac_f64_e32 v[60:61], v[14:15], v[64:65]
	v_add_f64_e32 v[18:19], v[58:59], v[18:19]
	v_mul_f64_e32 v[58:59], v[14:15], v[66:67]
	s_delay_alu instid0(VALU_DEP_1) | instskip(NEXT) | instid1(VALU_DEP_1)
	v_fma_f64 v[58:59], v[12:13], v[64:65], -v[58:59]
	v_add_f64_e32 v[68:69], v[72:73], v[58:59]
	v_mul_f64_e32 v[58:59], v[14:15], v[84:85]
	v_add_f64_e32 v[72:73], v[60:61], v[86:87]
	s_delay_alu instid0(VALU_DEP_2) | instskip(SKIP_1) | instid1(VALU_DEP_2)
	v_fma_f64 v[58:59], v[12:13], v[82:83], -v[58:59]
	v_mul_f64_e32 v[12:13], v[12:13], v[84:85]
	v_add_f64_e32 v[2:3], v[2:3], v[58:59]
	s_delay_alu instid0(VALU_DEP_2) | instskip(NEXT) | instid1(VALU_DEP_1)
	v_fmac_f64_e32 v[12:13], v[14:15], v[82:83]
	v_add_f64_e32 v[66:67], v[12:13], v[70:71]
	ds_load_b128 v[58:61], v74 offset:496
	ds_load_b128 v[12:15], v26 offset:15872
	s_wait_dscnt 0x0
	v_mul_f64_e32 v[62:63], v[60:61], v[14:15]
	v_mul_f64_e32 v[64:65], v[58:59], v[14:15]
	s_delay_alu instid0(VALU_DEP_2) | instskip(NEXT) | instid1(VALU_DEP_2)
	v_fma_f64 v[62:63], v[58:59], v[12:13], -v[62:63]
	v_fmac_f64_e32 v[64:65], v[60:61], v[12:13]
	s_delay_alu instid0(VALU_DEP_2) | instskip(NEXT) | instid1(VALU_DEP_2)
	v_add_f64_e32 v[62:63], v[8:9], v[62:63]
	v_add_f64_e32 v[64:65], v[64:65], v[10:11]
	ds_load_b128 v[8:11], v26 offset:16128
	s_wait_dscnt 0x0
	v_mul_f64_e32 v[70:71], v[60:61], v[10:11]
	v_mul_f64_e32 v[82:83], v[58:59], v[10:11]
	s_delay_alu instid0(VALU_DEP_2) | instskip(NEXT) | instid1(VALU_DEP_2)
	v_fma_f64 v[70:71], v[58:59], v[8:9], -v[70:71]
	v_fmac_f64_e32 v[82:83], v[60:61], v[8:9]
	s_delay_alu instid0(VALU_DEP_2) | instskip(NEXT) | instid1(VALU_DEP_2)
	v_add_f64_e32 v[58:59], v[16:17], v[70:71]
	v_add_f64_e32 v[60:61], v[82:83], v[18:19]
	ds_load_b128 v[16:19], v74 offset:8688
	s_wait_dscnt 0x0
	s_barrier_signal -1
	s_barrier_wait -1
	v_mul_f64_e32 v[70:71], v[18:19], v[14:15]
	v_mul_f64_e32 v[14:15], v[16:17], v[14:15]
	s_delay_alu instid0(VALU_DEP_2) | instskip(NEXT) | instid1(VALU_DEP_2)
	v_fma_f64 v[70:71], v[16:17], v[12:13], -v[70:71]
	v_fmac_f64_e32 v[14:15], v[18:19], v[12:13]
	v_mul_f64_e32 v[12:13], v[18:19], v[10:11]
	v_mul_f64_e32 v[10:11], v[16:17], v[10:11]
	s_delay_alu instid0(VALU_DEP_4) | instskip(NEXT) | instid1(VALU_DEP_4)
	v_add_f64_e32 v[70:71], v[68:69], v[70:71]
	v_add_f64_e32 v[68:69], v[14:15], v[72:73]
	s_delay_alu instid0(VALU_DEP_4) | instskip(NEXT) | instid1(VALU_DEP_4)
	v_fma_f64 v[12:13], v[16:17], v[8:9], -v[12:13]
	v_fmac_f64_e32 v[10:11], v[18:19], v[8:9]
	s_delay_alu instid0(VALU_DEP_2) | instskip(NEXT) | instid1(VALU_DEP_2)
	v_add_f64_e32 v[72:73], v[2:3], v[12:13]
	v_add_f64_e32 v[66:67], v[10:11], v[66:67]
	s_cbranch_scc1 .LBB118_59
.LBB118_11:                             ;   Parent Loop BB118_4 Depth=1
                                        ;     Parent Loop BB118_8 Depth=2
                                        ; =>    This Inner Loop Header: Depth=3
	v_add_nc_u64_e32 v[10:11], s[46:47], v[24:25]
	v_cmp_eq_u64_e64 s7, s[46:47], v[32:33]
	v_add_nc_u64_e32 v[8:9], s[38:39], v[46:47]
	s_delay_alu instid0(VALU_DEP_3) | instskip(SKIP_3) | instid1(SALU_CYCLE_1)
	v_cmp_le_i64_e64 s6, s[42:43], v[10:11]
	v_cmp_gt_i64_e64 s5, v[10:11], v[22:23]
	s_and_b32 s56, s52, s7
	s_or_b32 s7, s6, s5
	s_or_b32 s7, s7, s56
	s_delay_alu instid0(SALU_CYCLE_1) | instskip(NEXT) | instid1(SALU_CYCLE_1)
	s_nor_b32 s7, s0, s7
	s_and_saveexec_b32 s8, s7
	s_delay_alu instid0(SALU_CYCLE_1)
	s_xor_b32 s7, exec_lo, s8
	s_cbranch_execz .LBB118_13
; %bb.12:                               ;   in Loop: Header=BB118_11 Depth=3
	global_load_b128 v[12:15], v[8:9], off
	s_wait_loadcnt 0x0
	v_xor_b32_e32 v15, 0x80000000, v15
	ds_store_b128 v76, v[12:15]
.LBB118_13:                             ;   in Loop: Header=BB118_11 Depth=3
	s_wait_xcnt 0x0
	s_or_saveexec_b32 s7, s7
	s_xor_b32 s55, s56, -1
	s_xor_b32 exec_lo, exec_lo, s7
	s_cbranch_execz .LBB118_19
; %bb.14:                               ;   in Loop: Header=BB118_11 Depth=3
	s_and_saveexec_b32 s8, s55
	s_delay_alu instid0(SALU_CYCLE_1)
	s_xor_b32 s8, exec_lo, s8
; %bb.15:                               ;   in Loop: Header=BB118_11 Depth=3
	v_dual_mov_b32 v12, v0 :: v_dual_mov_b32 v13, v0
	v_dual_mov_b32 v14, v0 :: v_dual_mov_b32 v15, v0
	ds_store_b128 v76, v[12:15]
; %bb.16:                               ;   in Loop: Header=BB118_11 Depth=3
	s_and_not1_saveexec_b32 s8, s8
; %bb.17:                               ;   in Loop: Header=BB118_11 Depth=3
	v_dual_mov_b32 v2, v0 :: v_dual_mov_b32 v3, v0
	ds_store_b128 v76, v[0:3]
; %bb.18:                               ;   in Loop: Header=BB118_11 Depth=3
	s_or_b32 exec_lo, exec_lo, s8
.LBB118_19:                             ;   in Loop: Header=BB118_11 Depth=3
	s_delay_alu instid0(SALU_CYCLE_1)
	s_or_b32 exec_lo, exec_lo, s7
	v_cmp_eq_u64_e64 s7, s[46:47], v[36:37]
	v_cmp_lt_i64_e64 s8, v[30:31], v[10:11]
	v_add_nc_u64_e32 v[12:13], s[38:39], v[48:49]
	s_and_b32 s7, s52, s7
	s_or_b32 s6, s6, s8
	s_delay_alu instid0(SALU_CYCLE_1) | instskip(NEXT) | instid1(SALU_CYCLE_1)
	s_or_b32 s6, s6, s7
	s_nor_b32 s6, s3, s6
	s_delay_alu instid0(SALU_CYCLE_1) | instskip(NEXT) | instid1(SALU_CYCLE_1)
	s_and_saveexec_b32 s8, s6
	s_xor_b32 s6, exec_lo, s8
	s_cbranch_execz .LBB118_21
; %bb.20:                               ;   in Loop: Header=BB118_11 Depth=3
	global_load_b128 v[14:17], v[12:13], off
	s_wait_loadcnt 0x0
	v_xor_b32_e32 v17, 0x80000000, v17
	ds_store_b128 v76, v[14:17] offset:256
.LBB118_21:                             ;   in Loop: Header=BB118_11 Depth=3
	s_wait_xcnt 0x0
	s_and_not1_saveexec_b32 s6, s6
	s_cbranch_execz .LBB118_27
; %bb.22:                               ;   in Loop: Header=BB118_11 Depth=3
	s_xor_b32 s7, s7, -1
	s_delay_alu instid0(SALU_CYCLE_1) | instskip(NEXT) | instid1(SALU_CYCLE_1)
	s_and_saveexec_b32 s8, s7
	s_xor_b32 s7, exec_lo, s8
; %bb.23:                               ;   in Loop: Header=BB118_11 Depth=3
	v_dual_mov_b32 v14, v0 :: v_dual_mov_b32 v15, v0
	v_dual_mov_b32 v16, v0 :: v_dual_mov_b32 v17, v0
	ds_store_b128 v76, v[14:17] offset:256
; %bb.24:                               ;   in Loop: Header=BB118_11 Depth=3
	s_and_not1_saveexec_b32 s7, s7
; %bb.25:                               ;   in Loop: Header=BB118_11 Depth=3
	v_dual_mov_b32 v2, v0 :: v_dual_mov_b32 v3, v0
	ds_store_b128 v76, v[0:3] offset:256
; %bb.26:                               ;   in Loop: Header=BB118_11 Depth=3
	s_or_b32 exec_lo, exec_lo, s7
.LBB118_27:                             ;   in Loop: Header=BB118_11 Depth=3
	s_delay_alu instid0(SALU_CYCLE_1) | instskip(SKIP_2) | instid1(VALU_DEP_2)
	s_or_b32 exec_lo, exec_lo, s6
	v_add_nc_u64_e32 v[2:3], 16, v[10:11]
	v_cmp_eq_u64_e64 s7, s[46:47], v[38:39]
	v_cmp_le_i64_e64 s6, s[42:43], v[2:3]
	v_cmp_gt_i64_e64 s8, v[2:3], v[22:23]
	s_and_b32 s57, s52, s7
	s_or_b32 s7, s6, s8
	s_delay_alu instid0(SALU_CYCLE_1) | instskip(NEXT) | instid1(SALU_CYCLE_1)
	s_or_b32 s7, s7, s57
	s_nor_b32 s7, s0, s7
	s_delay_alu instid0(SALU_CYCLE_1) | instskip(NEXT) | instid1(SALU_CYCLE_1)
	s_and_saveexec_b32 s8, s7
	s_xor_b32 s7, exec_lo, s8
	s_cbranch_execz .LBB118_29
; %bb.28:                               ;   in Loop: Header=BB118_11 Depth=3
	global_load_b128 v[8:11], v[8:9], off offset:256
	s_wait_loadcnt 0x0
	v_xor_b32_e32 v11, 0x80000000, v11
	ds_store_b128 v76, v[8:11] offset:8192
.LBB118_29:                             ;   in Loop: Header=BB118_11 Depth=3
	s_wait_xcnt 0x0
	s_and_not1_saveexec_b32 s7, s7
	s_cbranch_execz .LBB118_35
; %bb.30:                               ;   in Loop: Header=BB118_11 Depth=3
	s_xor_b32 s8, s57, -1
	s_delay_alu instid0(SALU_CYCLE_1) | instskip(NEXT) | instid1(SALU_CYCLE_1)
	s_and_saveexec_b32 s57, s8
	s_xor_b32 s8, exec_lo, s57
; %bb.31:                               ;   in Loop: Header=BB118_11 Depth=3
	v_dual_mov_b32 v8, v0 :: v_dual_mov_b32 v9, v0
	v_dual_mov_b32 v10, v0 :: v_dual_mov_b32 v11, v0
	ds_store_b128 v76, v[8:11] offset:8192
; %bb.32:                               ;   in Loop: Header=BB118_11 Depth=3
	s_and_not1_saveexec_b32 s8, s8
; %bb.33:                               ;   in Loop: Header=BB118_11 Depth=3
	v_dual_mov_b32 v2, v0 :: v_dual_mov_b32 v3, v0
	ds_store_b128 v76, v[0:3] offset:8192
; %bb.34:                               ;   in Loop: Header=BB118_11 Depth=3
	s_or_b32 exec_lo, exec_lo, s8
.LBB118_35:                             ;   in Loop: Header=BB118_11 Depth=3
	s_delay_alu instid0(SALU_CYCLE_1) | instskip(SKIP_1) | instid1(SALU_CYCLE_1)
	s_or_b32 exec_lo, exec_lo, s7
	s_or_b32 s5, s6, s5
	s_or_b32 s5, s5, s56
	s_delay_alu instid0(SALU_CYCLE_1) | instskip(NEXT) | instid1(SALU_CYCLE_1)
	s_nor_b32 s5, s3, s5
	s_and_saveexec_b32 s6, s5
	s_delay_alu instid0(SALU_CYCLE_1)
	s_xor_b32 s5, exec_lo, s6
	s_cbranch_execz .LBB118_37
; %bb.36:                               ;   in Loop: Header=BB118_11 Depth=3
	global_load_b128 v[8:11], v[12:13], off offset:256
	s_wait_loadcnt 0x0
	v_xor_b32_e32 v11, 0x80000000, v11
	ds_store_b128 v76, v[8:11] offset:8448
.LBB118_37:                             ;   in Loop: Header=BB118_11 Depth=3
	s_wait_xcnt 0x0
	s_and_not1_saveexec_b32 s5, s5
	s_cbranch_execz .LBB118_43
; %bb.38:                               ;   in Loop: Header=BB118_11 Depth=3
	s_and_saveexec_b32 s6, s55
	s_delay_alu instid0(SALU_CYCLE_1)
	s_xor_b32 s6, exec_lo, s6
; %bb.39:                               ;   in Loop: Header=BB118_11 Depth=3
	v_dual_mov_b32 v8, v0 :: v_dual_mov_b32 v9, v0
	v_dual_mov_b32 v10, v0 :: v_dual_mov_b32 v11, v0
	ds_store_b128 v76, v[8:11] offset:8448
; %bb.40:                               ;   in Loop: Header=BB118_11 Depth=3
	s_and_not1_saveexec_b32 s6, s6
; %bb.41:                               ;   in Loop: Header=BB118_11 Depth=3
	v_dual_mov_b32 v2, v0 :: v_dual_mov_b32 v3, v0
	ds_store_b128 v76, v[0:3] offset:8448
; %bb.42:                               ;   in Loop: Header=BB118_11 Depth=3
	s_or_b32 exec_lo, exec_lo, s6
.LBB118_43:                             ;   in Loop: Header=BB118_11 Depth=3
	s_delay_alu instid0(SALU_CYCLE_1) | instskip(SKIP_1) | instid1(VALU_DEP_1)
	s_or_b32 exec_lo, exec_lo, s5
	v_add_nc_u64_e32 v[2:3], s[46:47], v[20:21]
	v_cmp_gt_i64_e64 s5, s[42:43], v[2:3]
	s_and_b32 s6, vcc_lo, s5
	s_delay_alu instid0(SALU_CYCLE_1) | instskip(NEXT) | instid1(SALU_CYCLE_1)
	s_xor_b32 s6, s6, -1
	s_and_saveexec_b32 s7, s6
	s_delay_alu instid0(SALU_CYCLE_1)
	s_xor_b32 s6, exec_lo, s7
; %bb.44:                               ;   in Loop: Header=BB118_11 Depth=3
	v_dual_mov_b32 v8, v0 :: v_dual_mov_b32 v9, v0
	v_dual_mov_b32 v10, v0 :: v_dual_mov_b32 v11, v0
	ds_store_b128 v75, v[8:11]
; %bb.45:                               ;   in Loop: Header=BB118_11 Depth=3
	s_or_saveexec_b32 s6, s6
	v_add_nc_u64_e32 v[8:9], s[38:39], v[54:55]
	s_xor_b32 exec_lo, exec_lo, s6
	s_cbranch_execz .LBB118_47
; %bb.46:                               ;   in Loop: Header=BB118_11 Depth=3
	global_load_b128 v[10:13], v[8:9], off offset:-256
	s_wait_loadcnt 0x0
	ds_store_2addr_b64 v75, v[10:11], v[12:13] offset1:1
.LBB118_47:                             ;   in Loop: Header=BB118_11 Depth=3
	s_wait_xcnt 0x0
	s_or_b32 exec_lo, exec_lo, s6
	v_cmp_gt_i64_e64 s6, s[20:21], v[2:3]
	s_and_b32 s7, vcc_lo, s6
	s_delay_alu instid0(SALU_CYCLE_1) | instskip(NEXT) | instid1(SALU_CYCLE_1)
	s_xor_b32 s7, s7, -1
	s_and_saveexec_b32 s8, s7
	s_delay_alu instid0(SALU_CYCLE_1)
	s_xor_b32 s7, exec_lo, s8
; %bb.48:                               ;   in Loop: Header=BB118_11 Depth=3
	v_dual_mov_b32 v8, v0 :: v_dual_mov_b32 v9, v0
	v_dual_mov_b32 v10, v0 :: v_dual_mov_b32 v11, v0
	ds_store_b128 v75, v[8:11] offset:256
                                        ; implicit-def: $vgpr8_vgpr9
; %bb.49:                               ;   in Loop: Header=BB118_11 Depth=3
	s_and_not1_saveexec_b32 s7, s7
	s_cbranch_execz .LBB118_51
; %bb.50:                               ;   in Loop: Header=BB118_11 Depth=3
	global_load_b128 v[8:11], v[8:9], off
	s_wait_loadcnt 0x0
	ds_store_2addr_b64 v77, v[8:9], v[10:11] offset1:1
.LBB118_51:                             ;   in Loop: Header=BB118_11 Depth=3
	s_wait_xcnt 0x0
	s_or_b32 exec_lo, exec_lo, s7
	s_and_b32 s5, s4, s5
	s_delay_alu instid0(SALU_CYCLE_1) | instskip(NEXT) | instid1(SALU_CYCLE_1)
	s_xor_b32 s5, s5, -1
	s_and_saveexec_b32 s7, s5
	s_delay_alu instid0(SALU_CYCLE_1)
	s_xor_b32 s5, exec_lo, s7
; %bb.52:                               ;   in Loop: Header=BB118_11 Depth=3
	v_dual_mov_b32 v8, v0 :: v_dual_mov_b32 v9, v0
	v_dual_mov_b32 v10, v0 :: v_dual_mov_b32 v11, v0
	ds_store_b128 v75, v[8:11] offset:8192
; %bb.53:                               ;   in Loop: Header=BB118_11 Depth=3
	s_or_saveexec_b32 s5, s5
	v_add_nc_u64_e32 v[2:3], s[38:39], v[56:57]
	s_xor_b32 exec_lo, exec_lo, s5
	s_cbranch_execz .LBB118_55
; %bb.54:                               ;   in Loop: Header=BB118_11 Depth=3
	global_load_b128 v[8:11], v[2:3], off offset:-256
	s_wait_loadcnt 0x0
	ds_store_2addr_b64 v78, v[8:9], v[10:11] offset1:1
.LBB118_55:                             ;   in Loop: Header=BB118_11 Depth=3
	s_wait_xcnt 0x0
	s_or_b32 exec_lo, exec_lo, s5
	s_and_b32 s5, s4, s6
	s_delay_alu instid0(SALU_CYCLE_1) | instskip(NEXT) | instid1(SALU_CYCLE_1)
	s_xor_b32 s5, s5, -1
	s_and_saveexec_b32 s6, s5
	s_delay_alu instid0(SALU_CYCLE_1)
	s_xor_b32 s5, exec_lo, s6
; %bb.56:                               ;   in Loop: Header=BB118_11 Depth=3
	v_dual_mov_b32 v8, v0 :: v_dual_mov_b32 v9, v0
	v_dual_mov_b32 v10, v0 :: v_dual_mov_b32 v11, v0
                                        ; implicit-def: $vgpr2_vgpr3
	ds_store_b128 v75, v[8:11] offset:8448
; %bb.57:                               ;   in Loop: Header=BB118_11 Depth=3
	s_and_not1_saveexec_b32 s5, s5
	s_cbranch_execz .LBB118_10
; %bb.58:                               ;   in Loop: Header=BB118_11 Depth=3
	global_load_b128 v[8:11], v[2:3], off
	s_wait_loadcnt 0x0
	ds_store_2addr_b64 v79, v[8:9], v[10:11] offset1:1
	s_branch .LBB118_10
.LBB118_59:                             ;   in Loop: Header=BB118_8 Depth=2
	s_delay_alu instid0(VALU_DEP_1) | instskip(SKIP_2) | instid1(VALU_DEP_2)
	v_mul_u64_e32 v[2:3], s[28:29], v[52:53]
	v_cmp_gt_i32_e32 vcc_lo, s10, v52
	s_and_b32 s5, s1, vcc_lo
	v_lshl_add_u64 v[2:3], v[2:3], 4, s[26:27]
	s_and_saveexec_b32 s4, s5
	s_cbranch_execz .LBB118_61
; %bb.60:                               ;   in Loop: Header=BB118_8 Depth=2
	s_delay_alu instid0(VALU_DEP_1)
	v_lshl_add_u64 v[12:13], v[22:23], 4, v[2:3]
	v_mul_f64_e32 v[14:15], v[6:7], v[64:65]
	v_mul_f64_e32 v[16:17], v[4:5], v[64:65]
	global_load_b128 v[8:11], v[12:13], off
	v_fma_f64 v[14:15], v[4:5], v[62:63], -v[14:15]
	v_fmac_f64_e32 v[16:17], v[6:7], v[62:63]
	s_wait_loadcnt 0x0
	s_delay_alu instid0(VALU_DEP_2) | instskip(NEXT) | instid1(VALU_DEP_2)
	v_add_f64_e32 v[8:9], v[8:9], v[14:15]
	v_add_f64_e32 v[10:11], v[16:17], v[10:11]
	global_store_b128 v[12:13], v[8:11], off
.LBB118_61:                             ;   in Loop: Header=BB118_8 Depth=2
	s_wait_xcnt 0x0
	s_or_b32 exec_lo, exec_lo, s4
	s_and_b32 s5, s2, vcc_lo
	s_delay_alu instid0(SALU_CYCLE_1)
	s_and_saveexec_b32 s4, s5
	s_cbranch_execz .LBB118_63
; %bb.62:                               ;   in Loop: Header=BB118_8 Depth=2
	v_lshl_add_u64 v[2:3], v[28:29], 4, v[2:3]
	v_mul_f64_e32 v[12:13], v[6:7], v[60:61]
	v_mul_f64_e32 v[14:15], v[4:5], v[60:61]
	global_load_b128 v[8:11], v[2:3], off
	v_fma_f64 v[12:13], v[4:5], v[58:59], -v[12:13]
	v_fmac_f64_e32 v[14:15], v[6:7], v[58:59]
	s_wait_loadcnt 0x0
	s_delay_alu instid0(VALU_DEP_2) | instskip(NEXT) | instid1(VALU_DEP_2)
	v_add_f64_e32 v[8:9], v[8:9], v[12:13]
	v_add_f64_e32 v[10:11], v[14:15], v[10:11]
	global_store_b128 v[2:3], v[8:11], off
.LBB118_63:                             ;   in Loop: Header=BB118_8 Depth=2
	s_wait_xcnt 0x0
	s_or_b32 exec_lo, exec_lo, s4
	v_add_nc_u32_e32 v2, 16, v52
	s_delay_alu instid0(VALU_DEP_1) | instskip(SKIP_1) | instid1(VALU_DEP_2)
	v_ashrrev_i32_e32 v3, 31, v2
	v_cmp_gt_i32_e32 vcc_lo, s10, v2
	v_mul_u64_e32 v[8:9], s[28:29], v[2:3]
	s_and_b32 s5, s1, vcc_lo
	s_delay_alu instid0(VALU_DEP_1)
	v_lshl_add_u64 v[2:3], v[8:9], 4, s[26:27]
	s_and_saveexec_b32 s4, s5
	s_cbranch_execz .LBB118_65
; %bb.64:                               ;   in Loop: Header=BB118_8 Depth=2
	s_delay_alu instid0(VALU_DEP_1)
	v_lshl_add_u64 v[12:13], v[22:23], 4, v[2:3]
	v_mul_f64_e32 v[14:15], v[6:7], v[68:69]
	v_mul_f64_e32 v[16:17], v[4:5], v[68:69]
	global_load_b128 v[8:11], v[12:13], off
	v_fma_f64 v[14:15], v[4:5], v[70:71], -v[14:15]
	v_fmac_f64_e32 v[16:17], v[6:7], v[70:71]
	s_wait_loadcnt 0x0
	s_delay_alu instid0(VALU_DEP_2) | instskip(NEXT) | instid1(VALU_DEP_2)
	v_add_f64_e32 v[8:9], v[8:9], v[14:15]
	v_add_f64_e32 v[10:11], v[16:17], v[10:11]
	global_store_b128 v[12:13], v[8:11], off
.LBB118_65:                             ;   in Loop: Header=BB118_8 Depth=2
	s_wait_xcnt 0x0
	s_or_b32 exec_lo, exec_lo, s4
	s_and_b32 s5, s2, vcc_lo
	s_delay_alu instid0(SALU_CYCLE_1)
	s_and_saveexec_b32 s4, s5
	s_cbranch_execz .LBB118_7
; %bb.66:                               ;   in Loop: Header=BB118_8 Depth=2
	v_lshl_add_u64 v[2:3], v[28:29], 4, v[2:3]
	v_mul_f64_e32 v[12:13], v[6:7], v[66:67]
	v_mul_f64_e32 v[14:15], v[4:5], v[66:67]
	global_load_b128 v[8:11], v[2:3], off
	v_fma_f64 v[12:13], v[4:5], v[72:73], -v[12:13]
	v_fmac_f64_e32 v[14:15], v[6:7], v[72:73]
	s_wait_loadcnt 0x0
	s_delay_alu instid0(VALU_DEP_2) | instskip(NEXT) | instid1(VALU_DEP_2)
	v_add_f64_e32 v[8:9], v[8:9], v[12:13]
	v_add_f64_e32 v[10:11], v[14:15], v[10:11]
	global_store_b128 v[2:3], v[8:11], off
	s_branch .LBB118_7
.LBB118_67:
	s_sendmsg sendmsg(MSG_DEALLOC_VGPRS)
	s_endpgm
	.section	.rodata,"a",@progbits
	.p2align	6, 0x0
	.amdhsa_kernel _ZL30rocblas_trmm_outofplace_kernelI19rocblas_complex_numIdELi32ELi2ELb1ELb1ELb1ELb1EPKS1_S2_S1_Ev17rocblas_diagonal_iiT6_lPT7_lllS7_lllPT8_llli
		.amdhsa_group_segment_fixed_size 32768
		.amdhsa_private_segment_fixed_size 0
		.amdhsa_kernarg_size 392
		.amdhsa_user_sgpr_count 2
		.amdhsa_user_sgpr_dispatch_ptr 0
		.amdhsa_user_sgpr_queue_ptr 0
		.amdhsa_user_sgpr_kernarg_segment_ptr 1
		.amdhsa_user_sgpr_dispatch_id 0
		.amdhsa_user_sgpr_kernarg_preload_length 0
		.amdhsa_user_sgpr_kernarg_preload_offset 0
		.amdhsa_user_sgpr_private_segment_size 0
		.amdhsa_wavefront_size32 1
		.amdhsa_uses_dynamic_stack 0
		.amdhsa_enable_private_segment 0
		.amdhsa_system_sgpr_workgroup_id_x 1
		.amdhsa_system_sgpr_workgroup_id_y 1
		.amdhsa_system_sgpr_workgroup_id_z 1
		.amdhsa_system_sgpr_workgroup_info 0
		.amdhsa_system_vgpr_workitem_id 1
		.amdhsa_next_free_vgpr 102
		.amdhsa_next_free_sgpr 58
		.amdhsa_named_barrier_count 0
		.amdhsa_reserve_vcc 1
		.amdhsa_float_round_mode_32 0
		.amdhsa_float_round_mode_16_64 0
		.amdhsa_float_denorm_mode_32 3
		.amdhsa_float_denorm_mode_16_64 3
		.amdhsa_fp16_overflow 0
		.amdhsa_memory_ordered 1
		.amdhsa_forward_progress 1
		.amdhsa_inst_pref_size 67
		.amdhsa_round_robin_scheduling 0
		.amdhsa_exception_fp_ieee_invalid_op 0
		.amdhsa_exception_fp_denorm_src 0
		.amdhsa_exception_fp_ieee_div_zero 0
		.amdhsa_exception_fp_ieee_overflow 0
		.amdhsa_exception_fp_ieee_underflow 0
		.amdhsa_exception_fp_ieee_inexact 0
		.amdhsa_exception_int_div_zero 0
	.end_amdhsa_kernel
	.section	.text._ZL30rocblas_trmm_outofplace_kernelI19rocblas_complex_numIdELi32ELi2ELb1ELb1ELb1ELb1EPKS1_S2_S1_Ev17rocblas_diagonal_iiT6_lPT7_lllS7_lllPT8_llli,"axG",@progbits,_ZL30rocblas_trmm_outofplace_kernelI19rocblas_complex_numIdELi32ELi2ELb1ELb1ELb1ELb1EPKS1_S2_S1_Ev17rocblas_diagonal_iiT6_lPT7_lllS7_lllPT8_llli,comdat
.Lfunc_end118:
	.size	_ZL30rocblas_trmm_outofplace_kernelI19rocblas_complex_numIdELi32ELi2ELb1ELb1ELb1ELb1EPKS1_S2_S1_Ev17rocblas_diagonal_iiT6_lPT7_lllS7_lllPT8_llli, .Lfunc_end118-_ZL30rocblas_trmm_outofplace_kernelI19rocblas_complex_numIdELi32ELi2ELb1ELb1ELb1ELb1EPKS1_S2_S1_Ev17rocblas_diagonal_iiT6_lPT7_lllS7_lllPT8_llli
                                        ; -- End function
	.set _ZL30rocblas_trmm_outofplace_kernelI19rocblas_complex_numIdELi32ELi2ELb1ELb1ELb1ELb1EPKS1_S2_S1_Ev17rocblas_diagonal_iiT6_lPT7_lllS7_lllPT8_llli.num_vgpr, 102
	.set _ZL30rocblas_trmm_outofplace_kernelI19rocblas_complex_numIdELi32ELi2ELb1ELb1ELb1ELb1EPKS1_S2_S1_Ev17rocblas_diagonal_iiT6_lPT7_lllS7_lllPT8_llli.num_agpr, 0
	.set _ZL30rocblas_trmm_outofplace_kernelI19rocblas_complex_numIdELi32ELi2ELb1ELb1ELb1ELb1EPKS1_S2_S1_Ev17rocblas_diagonal_iiT6_lPT7_lllS7_lllPT8_llli.numbered_sgpr, 58
	.set _ZL30rocblas_trmm_outofplace_kernelI19rocblas_complex_numIdELi32ELi2ELb1ELb1ELb1ELb1EPKS1_S2_S1_Ev17rocblas_diagonal_iiT6_lPT7_lllS7_lllPT8_llli.num_named_barrier, 0
	.set _ZL30rocblas_trmm_outofplace_kernelI19rocblas_complex_numIdELi32ELi2ELb1ELb1ELb1ELb1EPKS1_S2_S1_Ev17rocblas_diagonal_iiT6_lPT7_lllS7_lllPT8_llli.private_seg_size, 0
	.set _ZL30rocblas_trmm_outofplace_kernelI19rocblas_complex_numIdELi32ELi2ELb1ELb1ELb1ELb1EPKS1_S2_S1_Ev17rocblas_diagonal_iiT6_lPT7_lllS7_lllPT8_llli.uses_vcc, 1
	.set _ZL30rocblas_trmm_outofplace_kernelI19rocblas_complex_numIdELi32ELi2ELb1ELb1ELb1ELb1EPKS1_S2_S1_Ev17rocblas_diagonal_iiT6_lPT7_lllS7_lllPT8_llli.uses_flat_scratch, 0
	.set _ZL30rocblas_trmm_outofplace_kernelI19rocblas_complex_numIdELi32ELi2ELb1ELb1ELb1ELb1EPKS1_S2_S1_Ev17rocblas_diagonal_iiT6_lPT7_lllS7_lllPT8_llli.has_dyn_sized_stack, 0
	.set _ZL30rocblas_trmm_outofplace_kernelI19rocblas_complex_numIdELi32ELi2ELb1ELb1ELb1ELb1EPKS1_S2_S1_Ev17rocblas_diagonal_iiT6_lPT7_lllS7_lllPT8_llli.has_recursion, 0
	.set _ZL30rocblas_trmm_outofplace_kernelI19rocblas_complex_numIdELi32ELi2ELb1ELb1ELb1ELb1EPKS1_S2_S1_Ev17rocblas_diagonal_iiT6_lPT7_lllS7_lllPT8_llli.has_indirect_call, 0
	.section	.AMDGPU.csdata,"",@progbits
; Kernel info:
; codeLenInByte = 8488
; TotalNumSgprs: 60
; NumVgprs: 102
; ScratchSize: 0
; MemoryBound: 0
; FloatMode: 240
; IeeeMode: 1
; LDSByteSize: 32768 bytes/workgroup (compile time only)
; SGPRBlocks: 0
; VGPRBlocks: 6
; NumSGPRsForWavesPerEU: 60
; NumVGPRsForWavesPerEU: 102
; NamedBarCnt: 0
; Occupancy: 9
; WaveLimiterHint : 0
; COMPUTE_PGM_RSRC2:SCRATCH_EN: 0
; COMPUTE_PGM_RSRC2:USER_SGPR: 2
; COMPUTE_PGM_RSRC2:TRAP_HANDLER: 0
; COMPUTE_PGM_RSRC2:TGID_X_EN: 1
; COMPUTE_PGM_RSRC2:TGID_Y_EN: 1
; COMPUTE_PGM_RSRC2:TGID_Z_EN: 1
; COMPUTE_PGM_RSRC2:TIDIG_COMP_CNT: 1
	.section	.text._ZL30rocblas_trmm_outofplace_kernelI19rocblas_complex_numIdELi32ELi2ELb1ELb1ELb1ELb1ES1_KS1_S1_Ev17rocblas_diagonal_iiT6_lPT7_lllS6_lllPT8_llli,"axG",@progbits,_ZL30rocblas_trmm_outofplace_kernelI19rocblas_complex_numIdELi32ELi2ELb1ELb1ELb1ELb1ES1_KS1_S1_Ev17rocblas_diagonal_iiT6_lPT7_lllS6_lllPT8_llli,comdat
	.globl	_ZL30rocblas_trmm_outofplace_kernelI19rocblas_complex_numIdELi32ELi2ELb1ELb1ELb1ELb1ES1_KS1_S1_Ev17rocblas_diagonal_iiT6_lPT7_lllS6_lllPT8_llli ; -- Begin function _ZL30rocblas_trmm_outofplace_kernelI19rocblas_complex_numIdELi32ELi2ELb1ELb1ELb1ELb1ES1_KS1_S1_Ev17rocblas_diagonal_iiT6_lPT7_lllS6_lllPT8_llli
	.p2align	8
	.type	_ZL30rocblas_trmm_outofplace_kernelI19rocblas_complex_numIdELi32ELi2ELb1ELb1ELb1ELb1ES1_KS1_S1_Ev17rocblas_diagonal_iiT6_lPT7_lllS6_lllPT8_llli,@function
_ZL30rocblas_trmm_outofplace_kernelI19rocblas_complex_numIdELi32ELi2ELb1ELb1ELb1ELb1ES1_KS1_S1_Ev17rocblas_diagonal_iiT6_lPT7_lllS6_lllPT8_llli: ; @_ZL30rocblas_trmm_outofplace_kernelI19rocblas_complex_numIdELi32ELi2ELb1ELb1ELb1ELb1ES1_KS1_S1_Ev17rocblas_diagonal_iiT6_lPT7_lllS6_lllPT8_llli
; %bb.0:
	s_load_b32 s33, s[0:1], 0x88
	s_bfe_u32 s2, ttmp6, 0x40014
	s_lshr_b32 s3, ttmp7, 16
	s_add_co_i32 s2, s2, 1
	s_bfe_u32 s5, ttmp6, 0x40008
	s_mul_i32 s4, s3, s2
	s_getreg_b32 s2, hwreg(HW_REG_IB_STS2, 6, 4)
	s_add_co_i32 s5, s5, s4
	s_cmp_eq_u32 s2, 0
	s_cselect_b32 s34, s3, s5
	s_wait_kmcnt 0x0
	s_cmp_ge_u32 s34, s33
	s_cbranch_scc1 .LBB119_66
; %bb.1:
	s_load_b128 s[28:31], s[0:1], 0x10
	s_wait_kmcnt 0x0
	v_cmp_eq_f64_e64 s3, s[28:29], 0
	v_cmp_eq_f64_e64 s4, s[30:31], 0
	s_and_b32 s3, s3, s4
	s_delay_alu instid0(SALU_CYCLE_1)
	s_and_b32 vcc_lo, exec_lo, s3
	s_cbranch_vccnz .LBB119_66
; %bb.2:
	s_clause 0x1
	s_load_b96 s[36:38], s[0:1], 0x0
	s_load_b512 s[4:19], s[0:1], 0x28
	s_bfe_u32 s20, ttmp6, 0x4000c
	s_bfe_u32 s22, ttmp6, 0x40010
	s_and_b32 s21, ttmp7, 0xffff
	s_add_co_i32 s20, s20, 1
	s_add_co_i32 s22, s22, 1
	s_and_b32 s3, ttmp6, 15
	s_bfe_u32 s23, ttmp6, 0x40004
	s_mul_i32 s20, ttmp9, s20
	s_mul_i32 s22, s21, s22
	s_add_co_i32 s3, s3, s20
	s_add_co_i32 s23, s23, s22
	v_and_b32_e32 v14, 0x3ff, v0
	v_bfe_u32 v18, v0, 10, 10
	s_add_nc_u64 s[40:41], s[0:1], 0x90
	s_mov_b32 s35, 0
	s_delay_alu instid0(VALU_DEP_2) | instskip(NEXT) | instid1(VALU_DEP_2)
	v_dual_mov_b32 v0, 0 :: v_dual_lshlrev_b32 v20, 4, v14
	v_lshlrev_b32_e32 v1, 9, v18
	s_wait_kmcnt 0x0
	s_add_co_i32 s24, s38, -1
	s_delay_alu instid0(VALU_DEP_2)
	v_dual_mov_b32 v21, v0 :: v_dual_lshlrev_b32 v8, 4, v18
	s_ashr_i32 s25, s24, 31
	v_mov_b32_e32 v19, v0
	s_lshr_b32 s25, s25, 27
	s_mov_b32 s42, s37
	s_add_co_i32 s24, s24, s25
	s_mov_b32 s44, s38
	s_ashr_i32 s39, s24, 5
	s_cmp_eq_u32 s2, 0
	v_dual_mov_b32 v15, v0 :: v_dual_add_nc_u32 v70, 0x4000, v1
	s_cselect_b32 s48, s21, s23
	s_cselect_b32 s2, ttmp9, s3
	s_cmp_le_i32 s48, s39
	s_load_b256 s[20:27], s[0:1], 0x68
	s_cselect_b32 s49, -1, 0
	s_lshl_b32 s50, s2, 5
	s_cmp_gt_i32 s2, -1
	v_add_nc_u32_e32 v16, s50, v14
	s_cselect_b32 s51, -1, 0
	s_cmp_eq_u32 s36, 0x84
	v_add_nc_u32_e32 v72, v20, v1
	s_cselect_b32 s52, -1, 0
	v_ashrrev_i32_e32 v17, 31, v16
	s_lshl_b64 s[2:3], s[6:7], 4
	v_dual_mov_b32 v9, v0 :: v_dual_add_nc_u32 v71, v70, v20
	s_lshl_b64 s[6:7], s[14:15], 4
	s_delay_alu instid0(VALU_DEP_2)
	v_lshl_add_u64 v[4:5], v[16:17], 4, 0x100
	v_mul_u64_e32 v[2:3], s[8:9], v[16:17]
	s_add_nc_u64 s[6:7], s[12:13], s[6:7]
	v_add_nc_u64_e32 v[24:25], 16, v[16:17]
	v_sub_nc_u64_e32 v[26:27], v[16:17], v[18:19]
	v_mad_nc_u64_u32 v[6:7], s8, v4, s[2:3]
	v_add_nc_u32_e32 v22, 16, v16
	s_ashr_i32 s43, s37, 31
	s_wait_kmcnt 0x0
	s_lshl_b64 s[0:1], s[22:23], 4
	v_add_nc_u32_e32 v73, 0x100, v71
	v_add_nc_u32_e32 v74, 0x2000, v71
	v_add_nc_u64_e32 v[30:31], 16, v[26:27]
	v_add_nc_u64_e32 v[32:33], -16, v[26:27]
	v_add_nc_u32_e32 v75, 0x2100, v71
	v_lshl_add_u32 v76, s48, 5, v18
	s_add_nc_u64 s[14:15], s[20:21], s[0:1]
	v_mad_u32 v1, s9, v4, v7
	v_cmp_le_i32_e64 s0, s37, v16
	v_cmp_gt_i32_e64 s1, s37, v16
	v_ashrrev_i32_e32 v23, 31, v22
	s_ashr_i32 s45, s38, 31
	s_add_nc_u64 s[20:21], s[42:43], -16
	s_lshl_b64 s[12:13], s[18:19], 4
	s_lshl_b64 s[18:19], s[16:17], 4
	;; [unrolled: 1-line block ×3, first 2 shown]
	v_mad_u32 v7, s8, v5, v1
	v_add_nc_u64_e32 v[4:5], s[6:7], v[20:21]
	v_mov_b32_e32 v1, 0x3ff00000
	v_lshl_add_u64 v[2:3], v[2:3], 4, s[2:3]
	v_cmp_le_i64_e64 s3, s[42:43], v[24:25]
	s_delay_alu instid0(VALU_DEP_4) | instskip(SKIP_1) | instid1(VALU_DEP_4)
	v_add_nc_u64_e32 v[28:29], 0x100, v[4:5]
	v_cmp_gt_i32_e64 s2, s37, v22
	v_add_nc_u64_e32 v[2:3], v[2:3], v[8:9]
	v_add_nc_u64_e32 v[6:7], v[6:7], v[8:9]
	s_delay_alu instid0(VALU_DEP_2) | instskip(NEXT) | instid1(VALU_DEP_2)
	v_add_nc_u64_e32 v[34:35], s[4:5], v[2:3]
	v_add_nc_u64_e32 v[36:37], s[4:5], v[6:7]
	s_branch .LBB119_4
.LBB119_3:                              ;   in Loop: Header=BB119_4 Depth=1
	s_add_co_i32 s34, s34, 0x10000
	s_delay_alu instid0(SALU_CYCLE_1)
	s_cmp_ge_u32 s34, s33
	s_cbranch_scc1 .LBB119_66
.LBB119_4:                              ; =>This Loop Header: Depth=1
                                        ;     Child Loop BB119_7 Depth 2
                                        ;       Child Loop BB119_10 Depth 3
	s_and_not1_b32 vcc_lo, exec_lo, s49
	s_cbranch_vccnz .LBB119_3
; %bb.5:                                ;   in Loop: Header=BB119_4 Depth=1
	s_load_b32 s9, s[40:41], 0x4
	v_mad_nc_u64_u32 v[38:39], s12, s34, v[28:29]
	v_mad_nc_u64_u32 v[40:41], s10, s34, v[34:35]
	;; [unrolled: 1-line block ×3, first 2 shown]
	s_mul_i32 s6, s11, s34
	s_mul_u64 s[4:5], s[26:27], s[34:35]
	v_mov_b32_e32 v44, v76
	s_lshl_b64 s[4:5], s[4:5], 4
	s_mov_b32 s54, s48
	s_add_nc_u64 s[22:23], s[14:15], s[4:5]
	s_delay_alu instid0(VALU_DEP_4) | instskip(NEXT) | instid1(VALU_DEP_3)
	v_mad_u32 v39, s13, s34, v39
	v_dual_add_nc_u32 v41, s6, v41 :: v_dual_add_nc_u32 v43, s6, v43
	s_wait_kmcnt 0x0
	s_lshl_b32 s53, s9, 5
	s_branch .LBB119_7
.LBB119_6:                              ;   in Loop: Header=BB119_7 Depth=2
	s_wait_xcnt 0x0
	s_or_b32 exec_lo, exec_lo, s4
	v_add_nc_u32_e32 v44, s53, v44
	s_add_co_i32 s54, s9, s54
	s_delay_alu instid0(SALU_CYCLE_1)
	s_cmp_gt_i32 s54, s39
	s_cbranch_scc1 .LBB119_3
.LBB119_7:                              ;   Parent Loop BB119_4 Depth=1
                                        ; =>  This Loop Header: Depth=2
                                        ;       Child Loop BB119_10 Depth 3
	v_lshl_add_u32 v46, s54, 5, v18
	v_mov_b64_e32 v[56:57], 0
	v_mov_b64_e32 v[58:59], 0
	;; [unrolled: 1-line block ×8, first 2 shown]
	v_ashrrev_i32_e32 v47, 31, v46
	s_and_not1_b32 vcc_lo, exec_lo, s51
	s_cbranch_vccnz .LBB119_58
; %bb.8:                                ;   in Loop: Header=BB119_7 Depth=2
	v_ashrrev_i32_e32 v45, 31, v44
	v_mad_nc_u64_u32 v[48:49], s18, v44, v[38:39]
	v_sub_nc_u64_e32 v[4:5], s[44:45], v[46:47]
	v_mov_b64_e32 v[60:61], 0
	v_mov_b64_e32 v[68:69], 0
	v_lshl_add_u64 v[2:3], v[44:45], 4, 0x100
	v_mov_b64_e32 v[64:65], 0
	v_mov_b64_e32 v[66:67], 0
	;; [unrolled: 1-line block ×3, first 2 shown]
	v_cmp_lt_i64_e64 s4, 16, v[4:5]
	v_mad_nc_u64_u32 v[50:51], s16, v2, v[38:39]
	v_mov_b64_e32 v[52:53], 0
	v_mad_u32 v6, s19, v44, v49
	v_mov_b64_e32 v[58:59], 0
	v_mov_b64_e32 v[56:57], 0
	s_mov_b64 s[36:37], 0
	s_mov_b64 s[46:47], 0
	v_cmp_lt_i64_e32 vcc_lo, 0, v[4:5]
	v_mad_u32 v2, s17, v2, v51
	v_mad_u32 v49, s18, v45, v6
	s_delay_alu instid0(VALU_DEP_2)
	v_mad_u32 v51, s16, v3, v2
	s_branch .LBB119_10
.LBB119_9:                              ;   in Loop: Header=BB119_10 Depth=3
	s_wait_xcnt 0x0
	s_or_b32 exec_lo, exec_lo, s5
	s_wait_dscnt 0x0
	s_barrier_signal -1
	s_barrier_wait -1
	ds_load_b128 v[78:81], v70
	ds_load_b128 v[10:13], v70 offset:16
	ds_load_b128 v[6:9], v70 offset:32
	;; [unrolled: 1-line block ×3, first 2 shown]
	ds_load_b128 v[82:85], v20
	s_add_nc_u64 s[46:47], s[46:47], 32
	s_add_nc_u64 s[36:37], s[36:37], 0x200
	s_sub_co_i32 s5, s46, 32
	s_delay_alu instid0(SALU_CYCLE_1) | instskip(SKIP_3) | instid1(VALU_DEP_2)
	s_cmp_ge_i32 s5, s50
	s_wait_dscnt 0x0
	v_mul_f64_e32 v[86:87], v[78:79], v[84:85]
	v_mul_f64_e32 v[62:63], v[80:81], v[84:85]
	v_fmac_f64_e32 v[86:87], v[80:81], v[82:83]
	s_delay_alu instid0(VALU_DEP_2) | instskip(NEXT) | instid1(VALU_DEP_2)
	v_fma_f64 v[62:63], v[78:79], v[82:83], -v[62:63]
	v_add_f64_e32 v[90:91], v[86:87], v[58:59]
	ds_load_b128 v[86:89], v20 offset:256
	v_add_f64_e32 v[62:63], v[56:57], v[62:63]
	s_wait_dscnt 0x0
	v_mul_f64_e32 v[56:57], v[80:81], v[88:89]
	v_mul_f64_e32 v[58:59], v[78:79], v[88:89]
	s_delay_alu instid0(VALU_DEP_2) | instskip(NEXT) | instid1(VALU_DEP_2)
	v_fma_f64 v[56:57], v[78:79], v[86:87], -v[56:57]
	v_fmac_f64_e32 v[58:59], v[80:81], v[86:87]
	ds_load_b128 v[78:81], v20 offset:768
	v_add_f64_e32 v[92:93], v[52:53], v[56:57]
	v_add_f64_e32 v[94:95], v[58:59], v[54:55]
	ds_load_b128 v[52:55], v70 offset:8192
	s_wait_dscnt 0x0
	v_mul_f64_e32 v[56:57], v[54:55], v[84:85]
	v_mul_f64_e32 v[58:59], v[52:53], v[84:85]
	s_delay_alu instid0(VALU_DEP_2) | instskip(NEXT) | instid1(VALU_DEP_2)
	v_fma_f64 v[56:57], v[52:53], v[82:83], -v[56:57]
	v_fmac_f64_e32 v[58:59], v[54:55], v[82:83]
	v_mul_f64_e32 v[82:83], v[10:11], v[80:81]
	s_delay_alu instid0(VALU_DEP_3) | instskip(NEXT) | instid1(VALU_DEP_3)
	v_add_f64_e32 v[56:57], v[66:67], v[56:57]
	v_add_f64_e32 v[58:59], v[58:59], v[64:65]
	v_mul_f64_e32 v[64:65], v[54:55], v[88:89]
	v_mul_f64_e32 v[66:67], v[52:53], v[88:89]
	v_fmac_f64_e32 v[82:83], v[12:13], v[78:79]
	s_delay_alu instid0(VALU_DEP_3) | instskip(NEXT) | instid1(VALU_DEP_3)
	v_fma_f64 v[64:65], v[52:53], v[86:87], -v[64:65]
	v_fmac_f64_e32 v[66:67], v[54:55], v[86:87]
	s_delay_alu instid0(VALU_DEP_2) | instskip(NEXT) | instid1(VALU_DEP_2)
	v_add_f64_e32 v[52:53], v[68:69], v[64:65]
	v_add_f64_e32 v[54:55], v[66:67], v[60:61]
	ds_load_b128 v[64:67], v20 offset:512
	s_wait_dscnt 0x0
	v_mul_f64_e32 v[60:61], v[12:13], v[66:67]
	v_mul_f64_e32 v[68:69], v[10:11], v[66:67]
	s_delay_alu instid0(VALU_DEP_2) | instskip(NEXT) | instid1(VALU_DEP_2)
	v_fma_f64 v[60:61], v[10:11], v[64:65], -v[60:61]
	v_fmac_f64_e32 v[68:69], v[12:13], v[64:65]
	s_delay_alu instid0(VALU_DEP_2) | instskip(NEXT) | instid1(VALU_DEP_2)
	v_add_f64_e32 v[60:61], v[62:63], v[60:61]
	v_add_f64_e32 v[62:63], v[68:69], v[90:91]
	v_mul_f64_e32 v[68:69], v[12:13], v[80:81]
	v_add_f64_e32 v[12:13], v[82:83], v[94:95]
	ds_load_b128 v[82:85], v70 offset:8208
	v_fma_f64 v[68:69], v[10:11], v[78:79], -v[68:69]
	s_delay_alu instid0(VALU_DEP_1) | instskip(SKIP_3) | instid1(VALU_DEP_2)
	v_add_f64_e32 v[10:11], v[92:93], v[68:69]
	s_wait_dscnt 0x0
	v_mul_f64_e32 v[68:69], v[84:85], v[66:67]
	v_mul_f64_e32 v[66:67], v[82:83], v[66:67]
	v_fma_f64 v[68:69], v[82:83], v[64:65], -v[68:69]
	s_delay_alu instid0(VALU_DEP_2) | instskip(SKIP_1) | instid1(VALU_DEP_3)
	v_fmac_f64_e32 v[66:67], v[84:85], v[64:65]
	v_mul_f64_e32 v[64:65], v[84:85], v[80:81]
	v_add_f64_e32 v[56:57], v[56:57], v[68:69]
	s_delay_alu instid0(VALU_DEP_3) | instskip(SKIP_1) | instid1(VALU_DEP_4)
	v_add_f64_e32 v[58:59], v[66:67], v[58:59]
	v_mul_f64_e32 v[66:67], v[82:83], v[80:81]
	v_fma_f64 v[64:65], v[82:83], v[78:79], -v[64:65]
	s_delay_alu instid0(VALU_DEP_2) | instskip(NEXT) | instid1(VALU_DEP_2)
	v_fmac_f64_e32 v[66:67], v[84:85], v[78:79]
	v_add_f64_e32 v[68:69], v[52:53], v[64:65]
	s_delay_alu instid0(VALU_DEP_2) | instskip(SKIP_4) | instid1(VALU_DEP_2)
	v_add_f64_e32 v[78:79], v[66:67], v[54:55]
	ds_load_b128 v[52:55], v20 offset:1024
	s_wait_dscnt 0x0
	v_mul_f64_e32 v[64:65], v[8:9], v[54:55]
	v_mul_f64_e32 v[66:67], v[6:7], v[54:55]
	v_fma_f64 v[64:65], v[6:7], v[52:53], -v[64:65]
	s_delay_alu instid0(VALU_DEP_2) | instskip(NEXT) | instid1(VALU_DEP_2)
	v_fmac_f64_e32 v[66:67], v[8:9], v[52:53]
	v_add_f64_e32 v[80:81], v[60:61], v[64:65]
	s_delay_alu instid0(VALU_DEP_2) | instskip(SKIP_3) | instid1(VALU_DEP_1)
	v_add_f64_e32 v[82:83], v[66:67], v[62:63]
	ds_load_b128 v[64:67], v20 offset:1280
	s_wait_dscnt 0x0
	v_mul_f64_e32 v[60:61], v[8:9], v[66:67]
	v_fma_f64 v[60:61], v[6:7], v[64:65], -v[60:61]
	v_mul_f64_e32 v[6:7], v[6:7], v[66:67]
	s_delay_alu instid0(VALU_DEP_2) | instskip(NEXT) | instid1(VALU_DEP_2)
	v_add_f64_e32 v[84:85], v[10:11], v[60:61]
	v_fmac_f64_e32 v[6:7], v[8:9], v[64:65]
	s_delay_alu instid0(VALU_DEP_1) | instskip(SKIP_4) | instid1(VALU_DEP_2)
	v_add_f64_e32 v[86:87], v[6:7], v[12:13]
	ds_load_b128 v[6:9], v70 offset:8224
	s_wait_dscnt 0x0
	v_mul_f64_e32 v[10:11], v[8:9], v[54:55]
	v_mul_f64_e32 v[12:13], v[6:7], v[54:55]
	v_fma_f64 v[10:11], v[6:7], v[52:53], -v[10:11]
	s_delay_alu instid0(VALU_DEP_2) | instskip(NEXT) | instid1(VALU_DEP_2)
	v_fmac_f64_e32 v[12:13], v[8:9], v[52:53]
	v_add_f64_e32 v[60:61], v[56:57], v[10:11]
	v_mul_f64_e32 v[10:11], v[8:9], v[66:67]
	s_delay_alu instid0(VALU_DEP_3) | instskip(NEXT) | instid1(VALU_DEP_2)
	v_add_f64_e32 v[62:63], v[12:13], v[58:59]
	v_fma_f64 v[10:11], v[6:7], v[64:65], -v[10:11]
	v_mul_f64_e32 v[6:7], v[6:7], v[66:67]
	s_delay_alu instid0(VALU_DEP_2) | instskip(NEXT) | instid1(VALU_DEP_2)
	v_add_f64_e32 v[56:57], v[68:69], v[10:11]
	v_fmac_f64_e32 v[6:7], v[8:9], v[64:65]
	ds_load_b128 v[10:13], v20 offset:1536
	s_wait_dscnt 0x0
	v_mul_f64_e32 v[8:9], v[2:3], v[12:13]
	v_add_f64_e32 v[58:59], v[6:7], v[78:79]
	v_mul_f64_e32 v[6:7], v[4:5], v[12:13]
	s_delay_alu instid0(VALU_DEP_3) | instskip(NEXT) | instid1(VALU_DEP_2)
	v_fmac_f64_e32 v[8:9], v[4:5], v[10:11]
	v_fma_f64 v[6:7], v[2:3], v[10:11], -v[6:7]
	s_delay_alu instid0(VALU_DEP_2) | instskip(NEXT) | instid1(VALU_DEP_2)
	v_add_f64_e32 v[54:55], v[8:9], v[82:83]
	v_add_f64_e32 v[52:53], v[80:81], v[6:7]
	ds_load_b128 v[6:9], v20 offset:1792
	s_wait_dscnt 0x0
	v_mul_f64_e32 v[64:65], v[4:5], v[8:9]
	v_mul_f64_e32 v[66:67], v[2:3], v[8:9]
	s_delay_alu instid0(VALU_DEP_2) | instskip(NEXT) | instid1(VALU_DEP_2)
	v_fma_f64 v[64:65], v[2:3], v[6:7], -v[64:65]
	v_fmac_f64_e32 v[66:67], v[4:5], v[6:7]
	s_delay_alu instid0(VALU_DEP_2) | instskip(NEXT) | instid1(VALU_DEP_2)
	v_add_f64_e32 v[2:3], v[84:85], v[64:65]
	v_add_f64_e32 v[4:5], v[66:67], v[86:87]
	ds_load_b128 v[64:67], v70 offset:8240
	s_wait_dscnt 0x0
	v_mul_f64_e32 v[68:69], v[66:67], v[12:13]
	v_mul_f64_e32 v[12:13], v[64:65], v[12:13]
	s_delay_alu instid0(VALU_DEP_2) | instskip(NEXT) | instid1(VALU_DEP_2)
	v_fma_f64 v[68:69], v[64:65], v[10:11], -v[68:69]
	v_fmac_f64_e32 v[12:13], v[66:67], v[10:11]
	v_mul_f64_e32 v[10:11], v[66:67], v[8:9]
	v_mul_f64_e32 v[8:9], v[64:65], v[8:9]
	s_delay_alu instid0(VALU_DEP_4) | instskip(NEXT) | instid1(VALU_DEP_4)
	v_add_f64_e32 v[60:61], v[60:61], v[68:69]
	v_add_f64_e32 v[62:63], v[12:13], v[62:63]
	s_delay_alu instid0(VALU_DEP_4) | instskip(NEXT) | instid1(VALU_DEP_4)
	v_fma_f64 v[10:11], v[64:65], v[6:7], -v[10:11]
	v_fmac_f64_e32 v[8:9], v[66:67], v[6:7]
	s_delay_alu instid0(VALU_DEP_2) | instskip(NEXT) | instid1(VALU_DEP_2)
	v_add_f64_e32 v[56:57], v[56:57], v[10:11]
	v_add_f64_e32 v[58:59], v[8:9], v[58:59]
	ds_load_b128 v[6:9], v70 offset:64
	ds_load_b128 v[10:13], v20 offset:2048
	s_wait_dscnt 0x0
	v_mul_f64_e32 v[64:65], v[8:9], v[12:13]
	v_mul_f64_e32 v[66:67], v[6:7], v[12:13]
	s_delay_alu instid0(VALU_DEP_2) | instskip(NEXT) | instid1(VALU_DEP_2)
	v_fma_f64 v[64:65], v[6:7], v[10:11], -v[64:65]
	v_fmac_f64_e32 v[66:67], v[8:9], v[10:11]
	s_delay_alu instid0(VALU_DEP_2) | instskip(NEXT) | instid1(VALU_DEP_2)
	v_add_f64_e32 v[64:65], v[52:53], v[64:65]
	v_add_f64_e32 v[66:67], v[66:67], v[54:55]
	ds_load_b128 v[52:55], v20 offset:2304
	s_wait_dscnt 0x0
	v_mul_f64_e32 v[68:69], v[8:9], v[54:55]
	s_delay_alu instid0(VALU_DEP_1) | instskip(SKIP_1) | instid1(VALU_DEP_2)
	v_fma_f64 v[68:69], v[6:7], v[52:53], -v[68:69]
	v_mul_f64_e32 v[6:7], v[6:7], v[54:55]
	v_add_f64_e32 v[68:69], v[2:3], v[68:69]
	s_delay_alu instid0(VALU_DEP_2) | instskip(NEXT) | instid1(VALU_DEP_1)
	v_fmac_f64_e32 v[6:7], v[8:9], v[52:53]
	v_add_f64_e32 v[78:79], v[6:7], v[4:5]
	ds_load_b128 v[2:5], v70 offset:8256
	s_wait_dscnt 0x0
	v_mul_f64_e32 v[6:7], v[4:5], v[12:13]
	v_mul_f64_e32 v[8:9], v[2:3], v[12:13]
	s_delay_alu instid0(VALU_DEP_2) | instskip(NEXT) | instid1(VALU_DEP_2)
	v_fma_f64 v[6:7], v[2:3], v[10:11], -v[6:7]
	v_fmac_f64_e32 v[8:9], v[4:5], v[10:11]
	s_delay_alu instid0(VALU_DEP_2) | instskip(SKIP_1) | instid1(VALU_DEP_3)
	v_add_f64_e32 v[10:11], v[60:61], v[6:7]
	v_mul_f64_e32 v[6:7], v[4:5], v[54:55]
	v_add_f64_e32 v[12:13], v[8:9], v[62:63]
	s_delay_alu instid0(VALU_DEP_2) | instskip(SKIP_1) | instid1(VALU_DEP_2)
	v_fma_f64 v[6:7], v[2:3], v[52:53], -v[6:7]
	v_mul_f64_e32 v[2:3], v[2:3], v[54:55]
	v_add_f64_e32 v[6:7], v[56:57], v[6:7]
	s_delay_alu instid0(VALU_DEP_2)
	v_fmac_f64_e32 v[2:3], v[4:5], v[52:53]
	ds_load_b128 v[52:55], v70 offset:80
	ds_load_b128 v[60:63], v20 offset:2560
	s_wait_dscnt 0x0
	v_mul_f64_e32 v[4:5], v[52:53], v[62:63]
	v_add_f64_e32 v[8:9], v[2:3], v[58:59]
	v_mul_f64_e32 v[2:3], v[54:55], v[62:63]
	s_delay_alu instid0(VALU_DEP_3) | instskip(NEXT) | instid1(VALU_DEP_2)
	v_fmac_f64_e32 v[4:5], v[54:55], v[60:61]
	v_fma_f64 v[2:3], v[52:53], v[60:61], -v[2:3]
	s_delay_alu instid0(VALU_DEP_2) | instskip(NEXT) | instid1(VALU_DEP_2)
	v_add_f64_e32 v[58:59], v[4:5], v[66:67]
	v_add_f64_e32 v[56:57], v[64:65], v[2:3]
	ds_load_b128 v[2:5], v20 offset:2816
	s_wait_dscnt 0x0
	v_mul_f64_e32 v[64:65], v[54:55], v[4:5]
	v_mul_f64_e32 v[66:67], v[52:53], v[4:5]
	s_delay_alu instid0(VALU_DEP_2) | instskip(NEXT) | instid1(VALU_DEP_2)
	v_fma_f64 v[64:65], v[52:53], v[2:3], -v[64:65]
	v_fmac_f64_e32 v[66:67], v[54:55], v[2:3]
	s_delay_alu instid0(VALU_DEP_2) | instskip(NEXT) | instid1(VALU_DEP_2)
	v_add_f64_e32 v[52:53], v[68:69], v[64:65]
	v_add_f64_e32 v[54:55], v[66:67], v[78:79]
	ds_load_b128 v[64:67], v70 offset:8272
	s_wait_dscnt 0x0
	v_mul_f64_e32 v[68:69], v[66:67], v[62:63]
	v_mul_f64_e32 v[62:63], v[64:65], v[62:63]
	s_delay_alu instid0(VALU_DEP_2) | instskip(NEXT) | instid1(VALU_DEP_2)
	v_fma_f64 v[68:69], v[64:65], v[60:61], -v[68:69]
	v_fmac_f64_e32 v[62:63], v[66:67], v[60:61]
	v_mul_f64_e32 v[60:61], v[66:67], v[4:5]
	v_mul_f64_e32 v[4:5], v[64:65], v[4:5]
	s_delay_alu instid0(VALU_DEP_4) | instskip(NEXT) | instid1(VALU_DEP_4)
	v_add_f64_e32 v[10:11], v[10:11], v[68:69]
	v_add_f64_e32 v[12:13], v[62:63], v[12:13]
	s_delay_alu instid0(VALU_DEP_4) | instskip(NEXT) | instid1(VALU_DEP_4)
	v_fma_f64 v[60:61], v[64:65], v[2:3], -v[60:61]
	v_fmac_f64_e32 v[4:5], v[66:67], v[2:3]
	s_delay_alu instid0(VALU_DEP_2) | instskip(NEXT) | instid1(VALU_DEP_2)
	v_add_f64_e32 v[60:61], v[6:7], v[60:61]
	v_add_f64_e32 v[62:63], v[4:5], v[8:9]
	ds_load_b128 v[2:5], v70 offset:96
	ds_load_b128 v[6:9], v20 offset:3072
	s_wait_dscnt 0x0
	v_mul_f64_e32 v[64:65], v[4:5], v[8:9]
	v_mul_f64_e32 v[66:67], v[2:3], v[8:9]
	s_delay_alu instid0(VALU_DEP_2) | instskip(NEXT) | instid1(VALU_DEP_2)
	v_fma_f64 v[64:65], v[2:3], v[6:7], -v[64:65]
	v_fmac_f64_e32 v[66:67], v[4:5], v[6:7]
	s_delay_alu instid0(VALU_DEP_2) | instskip(NEXT) | instid1(VALU_DEP_2)
	v_add_f64_e32 v[64:65], v[56:57], v[64:65]
	v_add_f64_e32 v[66:67], v[66:67], v[58:59]
	ds_load_b128 v[56:59], v20 offset:3328
	s_wait_dscnt 0x0
	v_mul_f64_e32 v[68:69], v[4:5], v[58:59]
	s_delay_alu instid0(VALU_DEP_1) | instskip(SKIP_1) | instid1(VALU_DEP_2)
	v_fma_f64 v[68:69], v[2:3], v[56:57], -v[68:69]
	v_mul_f64_e32 v[2:3], v[2:3], v[58:59]
	v_add_f64_e32 v[68:69], v[52:53], v[68:69]
	s_delay_alu instid0(VALU_DEP_2) | instskip(NEXT) | instid1(VALU_DEP_1)
	v_fmac_f64_e32 v[2:3], v[4:5], v[56:57]
	v_add_f64_e32 v[78:79], v[2:3], v[54:55]
	ds_load_b128 v[2:5], v70 offset:8288
	s_wait_dscnt 0x0
	v_mul_f64_e32 v[52:53], v[4:5], v[8:9]
	v_mul_f64_e32 v[8:9], v[2:3], v[8:9]
	s_delay_alu instid0(VALU_DEP_2) | instskip(NEXT) | instid1(VALU_DEP_2)
	v_fma_f64 v[52:53], v[2:3], v[6:7], -v[52:53]
	v_fmac_f64_e32 v[8:9], v[4:5], v[6:7]
	v_mul_f64_e32 v[6:7], v[4:5], v[58:59]
	s_delay_alu instid0(VALU_DEP_3) | instskip(NEXT) | instid1(VALU_DEP_3)
	v_add_f64_e32 v[10:11], v[10:11], v[52:53]
	v_add_f64_e32 v[12:13], v[8:9], v[12:13]
	s_delay_alu instid0(VALU_DEP_3) | instskip(SKIP_1) | instid1(VALU_DEP_2)
	v_fma_f64 v[6:7], v[2:3], v[56:57], -v[6:7]
	v_mul_f64_e32 v[2:3], v[2:3], v[58:59]
	v_add_f64_e32 v[6:7], v[60:61], v[6:7]
	s_delay_alu instid0(VALU_DEP_2) | instskip(NEXT) | instid1(VALU_DEP_1)
	v_fmac_f64_e32 v[2:3], v[4:5], v[56:57]
	v_add_f64_e32 v[8:9], v[2:3], v[62:63]
	ds_load_b128 v[52:55], v70 offset:112
	ds_load_b128 v[60:63], v20 offset:3584
	s_wait_dscnt 0x0
	v_mul_f64_e32 v[2:3], v[54:55], v[62:63]
	v_mul_f64_e32 v[4:5], v[52:53], v[62:63]
	s_delay_alu instid0(VALU_DEP_2) | instskip(NEXT) | instid1(VALU_DEP_2)
	v_fma_f64 v[2:3], v[52:53], v[60:61], -v[2:3]
	v_fmac_f64_e32 v[4:5], v[54:55], v[60:61]
	s_delay_alu instid0(VALU_DEP_2) | instskip(NEXT) | instid1(VALU_DEP_2)
	v_add_f64_e32 v[56:57], v[64:65], v[2:3]
	v_add_f64_e32 v[58:59], v[4:5], v[66:67]
	ds_load_b128 v[2:5], v20 offset:3840
	s_wait_dscnt 0x0
	v_mul_f64_e32 v[64:65], v[54:55], v[4:5]
	v_mul_f64_e32 v[66:67], v[52:53], v[4:5]
	s_delay_alu instid0(VALU_DEP_2) | instskip(NEXT) | instid1(VALU_DEP_2)
	v_fma_f64 v[64:65], v[52:53], v[2:3], -v[64:65]
	v_fmac_f64_e32 v[66:67], v[54:55], v[2:3]
	s_delay_alu instid0(VALU_DEP_2) | instskip(NEXT) | instid1(VALU_DEP_2)
	v_add_f64_e32 v[52:53], v[68:69], v[64:65]
	v_add_f64_e32 v[54:55], v[66:67], v[78:79]
	ds_load_b128 v[64:67], v70 offset:8304
	s_wait_dscnt 0x0
	v_mul_f64_e32 v[68:69], v[66:67], v[62:63]
	v_mul_f64_e32 v[62:63], v[64:65], v[62:63]
	s_delay_alu instid0(VALU_DEP_2) | instskip(NEXT) | instid1(VALU_DEP_2)
	v_fma_f64 v[68:69], v[64:65], v[60:61], -v[68:69]
	v_fmac_f64_e32 v[62:63], v[66:67], v[60:61]
	v_mul_f64_e32 v[60:61], v[66:67], v[4:5]
	v_mul_f64_e32 v[4:5], v[64:65], v[4:5]
	s_delay_alu instid0(VALU_DEP_4) | instskip(NEXT) | instid1(VALU_DEP_4)
	v_add_f64_e32 v[10:11], v[10:11], v[68:69]
	v_add_f64_e32 v[12:13], v[62:63], v[12:13]
	s_delay_alu instid0(VALU_DEP_4) | instskip(NEXT) | instid1(VALU_DEP_4)
	v_fma_f64 v[60:61], v[64:65], v[2:3], -v[60:61]
	v_fmac_f64_e32 v[4:5], v[66:67], v[2:3]
	s_delay_alu instid0(VALU_DEP_2) | instskip(NEXT) | instid1(VALU_DEP_2)
	v_add_f64_e32 v[60:61], v[6:7], v[60:61]
	v_add_f64_e32 v[62:63], v[4:5], v[8:9]
	ds_load_b128 v[2:5], v70 offset:128
	ds_load_b128 v[6:9], v20 offset:4096
	s_wait_dscnt 0x0
	v_mul_f64_e32 v[64:65], v[4:5], v[8:9]
	v_mul_f64_e32 v[66:67], v[2:3], v[8:9]
	s_delay_alu instid0(VALU_DEP_2) | instskip(NEXT) | instid1(VALU_DEP_2)
	v_fma_f64 v[64:65], v[2:3], v[6:7], -v[64:65]
	v_fmac_f64_e32 v[66:67], v[4:5], v[6:7]
	s_delay_alu instid0(VALU_DEP_2) | instskip(NEXT) | instid1(VALU_DEP_2)
	v_add_f64_e32 v[64:65], v[56:57], v[64:65]
	v_add_f64_e32 v[66:67], v[66:67], v[58:59]
	ds_load_b128 v[56:59], v20 offset:4352
	s_wait_dscnt 0x0
	v_mul_f64_e32 v[68:69], v[4:5], v[58:59]
	s_delay_alu instid0(VALU_DEP_1) | instskip(SKIP_1) | instid1(VALU_DEP_2)
	v_fma_f64 v[68:69], v[2:3], v[56:57], -v[68:69]
	v_mul_f64_e32 v[2:3], v[2:3], v[58:59]
	v_add_f64_e32 v[68:69], v[52:53], v[68:69]
	s_delay_alu instid0(VALU_DEP_2) | instskip(NEXT) | instid1(VALU_DEP_1)
	v_fmac_f64_e32 v[2:3], v[4:5], v[56:57]
	v_add_f64_e32 v[78:79], v[2:3], v[54:55]
	ds_load_b128 v[2:5], v70 offset:8320
	s_wait_dscnt 0x0
	v_mul_f64_e32 v[52:53], v[4:5], v[8:9]
	v_mul_f64_e32 v[8:9], v[2:3], v[8:9]
	s_delay_alu instid0(VALU_DEP_2) | instskip(NEXT) | instid1(VALU_DEP_2)
	v_fma_f64 v[52:53], v[2:3], v[6:7], -v[52:53]
	v_fmac_f64_e32 v[8:9], v[4:5], v[6:7]
	v_mul_f64_e32 v[6:7], v[4:5], v[58:59]
	s_delay_alu instid0(VALU_DEP_3) | instskip(NEXT) | instid1(VALU_DEP_3)
	v_add_f64_e32 v[10:11], v[10:11], v[52:53]
	v_add_f64_e32 v[12:13], v[8:9], v[12:13]
	s_delay_alu instid0(VALU_DEP_3) | instskip(SKIP_1) | instid1(VALU_DEP_2)
	v_fma_f64 v[6:7], v[2:3], v[56:57], -v[6:7]
	v_mul_f64_e32 v[2:3], v[2:3], v[58:59]
	v_add_f64_e32 v[6:7], v[60:61], v[6:7]
	s_delay_alu instid0(VALU_DEP_2) | instskip(NEXT) | instid1(VALU_DEP_1)
	v_fmac_f64_e32 v[2:3], v[4:5], v[56:57]
	v_add_f64_e32 v[8:9], v[2:3], v[62:63]
	ds_load_b128 v[52:55], v70 offset:144
	ds_load_b128 v[60:63], v20 offset:4608
	s_wait_dscnt 0x0
	v_mul_f64_e32 v[2:3], v[54:55], v[62:63]
	v_mul_f64_e32 v[4:5], v[52:53], v[62:63]
	s_delay_alu instid0(VALU_DEP_2) | instskip(NEXT) | instid1(VALU_DEP_2)
	v_fma_f64 v[2:3], v[52:53], v[60:61], -v[2:3]
	v_fmac_f64_e32 v[4:5], v[54:55], v[60:61]
	s_delay_alu instid0(VALU_DEP_2) | instskip(NEXT) | instid1(VALU_DEP_2)
	v_add_f64_e32 v[56:57], v[64:65], v[2:3]
	v_add_f64_e32 v[58:59], v[4:5], v[66:67]
	ds_load_b128 v[2:5], v20 offset:4864
	s_wait_dscnt 0x0
	v_mul_f64_e32 v[64:65], v[54:55], v[4:5]
	v_mul_f64_e32 v[66:67], v[52:53], v[4:5]
	s_delay_alu instid0(VALU_DEP_2) | instskip(NEXT) | instid1(VALU_DEP_2)
	v_fma_f64 v[64:65], v[52:53], v[2:3], -v[64:65]
	v_fmac_f64_e32 v[66:67], v[54:55], v[2:3]
	s_delay_alu instid0(VALU_DEP_2) | instskip(NEXT) | instid1(VALU_DEP_2)
	v_add_f64_e32 v[52:53], v[68:69], v[64:65]
	v_add_f64_e32 v[54:55], v[66:67], v[78:79]
	ds_load_b128 v[64:67], v70 offset:8336
	s_wait_dscnt 0x0
	v_mul_f64_e32 v[68:69], v[66:67], v[62:63]
	v_mul_f64_e32 v[62:63], v[64:65], v[62:63]
	s_delay_alu instid0(VALU_DEP_2) | instskip(NEXT) | instid1(VALU_DEP_2)
	v_fma_f64 v[68:69], v[64:65], v[60:61], -v[68:69]
	v_fmac_f64_e32 v[62:63], v[66:67], v[60:61]
	v_mul_f64_e32 v[60:61], v[66:67], v[4:5]
	v_mul_f64_e32 v[4:5], v[64:65], v[4:5]
	s_delay_alu instid0(VALU_DEP_4) | instskip(NEXT) | instid1(VALU_DEP_4)
	v_add_f64_e32 v[10:11], v[10:11], v[68:69]
	v_add_f64_e32 v[12:13], v[62:63], v[12:13]
	s_delay_alu instid0(VALU_DEP_4) | instskip(NEXT) | instid1(VALU_DEP_4)
	v_fma_f64 v[60:61], v[64:65], v[2:3], -v[60:61]
	v_fmac_f64_e32 v[4:5], v[66:67], v[2:3]
	s_delay_alu instid0(VALU_DEP_2) | instskip(NEXT) | instid1(VALU_DEP_2)
	v_add_f64_e32 v[60:61], v[6:7], v[60:61]
	v_add_f64_e32 v[62:63], v[4:5], v[8:9]
	ds_load_b128 v[2:5], v70 offset:160
	ds_load_b128 v[6:9], v20 offset:5120
	s_wait_dscnt 0x0
	v_mul_f64_e32 v[64:65], v[4:5], v[8:9]
	v_mul_f64_e32 v[66:67], v[2:3], v[8:9]
	s_delay_alu instid0(VALU_DEP_2) | instskip(NEXT) | instid1(VALU_DEP_2)
	v_fma_f64 v[64:65], v[2:3], v[6:7], -v[64:65]
	v_fmac_f64_e32 v[66:67], v[4:5], v[6:7]
	s_delay_alu instid0(VALU_DEP_2) | instskip(NEXT) | instid1(VALU_DEP_2)
	v_add_f64_e32 v[64:65], v[56:57], v[64:65]
	v_add_f64_e32 v[66:67], v[66:67], v[58:59]
	ds_load_b128 v[56:59], v20 offset:5376
	s_wait_dscnt 0x0
	v_mul_f64_e32 v[68:69], v[4:5], v[58:59]
	s_delay_alu instid0(VALU_DEP_1) | instskip(SKIP_1) | instid1(VALU_DEP_2)
	v_fma_f64 v[68:69], v[2:3], v[56:57], -v[68:69]
	v_mul_f64_e32 v[2:3], v[2:3], v[58:59]
	v_add_f64_e32 v[68:69], v[52:53], v[68:69]
	s_delay_alu instid0(VALU_DEP_2) | instskip(NEXT) | instid1(VALU_DEP_1)
	v_fmac_f64_e32 v[2:3], v[4:5], v[56:57]
	v_add_f64_e32 v[78:79], v[2:3], v[54:55]
	ds_load_b128 v[2:5], v70 offset:8352
	s_wait_dscnt 0x0
	v_mul_f64_e32 v[52:53], v[4:5], v[8:9]
	v_mul_f64_e32 v[8:9], v[2:3], v[8:9]
	s_delay_alu instid0(VALU_DEP_2) | instskip(NEXT) | instid1(VALU_DEP_2)
	v_fma_f64 v[52:53], v[2:3], v[6:7], -v[52:53]
	v_fmac_f64_e32 v[8:9], v[4:5], v[6:7]
	v_mul_f64_e32 v[6:7], v[4:5], v[58:59]
	s_delay_alu instid0(VALU_DEP_3) | instskip(NEXT) | instid1(VALU_DEP_3)
	v_add_f64_e32 v[10:11], v[10:11], v[52:53]
	v_add_f64_e32 v[12:13], v[8:9], v[12:13]
	s_delay_alu instid0(VALU_DEP_3) | instskip(SKIP_1) | instid1(VALU_DEP_2)
	v_fma_f64 v[6:7], v[2:3], v[56:57], -v[6:7]
	v_mul_f64_e32 v[2:3], v[2:3], v[58:59]
	v_add_f64_e32 v[6:7], v[60:61], v[6:7]
	s_delay_alu instid0(VALU_DEP_2) | instskip(NEXT) | instid1(VALU_DEP_1)
	v_fmac_f64_e32 v[2:3], v[4:5], v[56:57]
	v_add_f64_e32 v[8:9], v[2:3], v[62:63]
	ds_load_b128 v[52:55], v70 offset:176
	ds_load_b128 v[60:63], v20 offset:5632
	s_wait_dscnt 0x0
	v_mul_f64_e32 v[2:3], v[54:55], v[62:63]
	v_mul_f64_e32 v[4:5], v[52:53], v[62:63]
	s_delay_alu instid0(VALU_DEP_2) | instskip(NEXT) | instid1(VALU_DEP_2)
	v_fma_f64 v[2:3], v[52:53], v[60:61], -v[2:3]
	v_fmac_f64_e32 v[4:5], v[54:55], v[60:61]
	s_delay_alu instid0(VALU_DEP_2) | instskip(NEXT) | instid1(VALU_DEP_2)
	v_add_f64_e32 v[56:57], v[64:65], v[2:3]
	v_add_f64_e32 v[58:59], v[4:5], v[66:67]
	ds_load_b128 v[2:5], v20 offset:5888
	s_wait_dscnt 0x0
	v_mul_f64_e32 v[64:65], v[54:55], v[4:5]
	v_mul_f64_e32 v[66:67], v[52:53], v[4:5]
	s_delay_alu instid0(VALU_DEP_2) | instskip(NEXT) | instid1(VALU_DEP_2)
	v_fma_f64 v[64:65], v[52:53], v[2:3], -v[64:65]
	v_fmac_f64_e32 v[66:67], v[54:55], v[2:3]
	s_delay_alu instid0(VALU_DEP_2) | instskip(NEXT) | instid1(VALU_DEP_2)
	v_add_f64_e32 v[52:53], v[68:69], v[64:65]
	v_add_f64_e32 v[54:55], v[66:67], v[78:79]
	ds_load_b128 v[64:67], v70 offset:8368
	s_wait_dscnt 0x0
	v_mul_f64_e32 v[68:69], v[66:67], v[62:63]
	v_mul_f64_e32 v[62:63], v[64:65], v[62:63]
	s_delay_alu instid0(VALU_DEP_2) | instskip(NEXT) | instid1(VALU_DEP_2)
	v_fma_f64 v[68:69], v[64:65], v[60:61], -v[68:69]
	v_fmac_f64_e32 v[62:63], v[66:67], v[60:61]
	v_mul_f64_e32 v[60:61], v[66:67], v[4:5]
	v_mul_f64_e32 v[4:5], v[64:65], v[4:5]
	s_delay_alu instid0(VALU_DEP_4) | instskip(NEXT) | instid1(VALU_DEP_4)
	v_add_f64_e32 v[10:11], v[10:11], v[68:69]
	v_add_f64_e32 v[12:13], v[62:63], v[12:13]
	s_delay_alu instid0(VALU_DEP_4) | instskip(NEXT) | instid1(VALU_DEP_4)
	v_fma_f64 v[60:61], v[64:65], v[2:3], -v[60:61]
	v_fmac_f64_e32 v[4:5], v[66:67], v[2:3]
	s_delay_alu instid0(VALU_DEP_2) | instskip(NEXT) | instid1(VALU_DEP_2)
	v_add_f64_e32 v[60:61], v[6:7], v[60:61]
	v_add_f64_e32 v[62:63], v[4:5], v[8:9]
	ds_load_b128 v[2:5], v70 offset:192
	ds_load_b128 v[6:9], v20 offset:6144
	s_wait_dscnt 0x0
	v_mul_f64_e32 v[64:65], v[4:5], v[8:9]
	v_mul_f64_e32 v[66:67], v[2:3], v[8:9]
	s_delay_alu instid0(VALU_DEP_2) | instskip(NEXT) | instid1(VALU_DEP_2)
	v_fma_f64 v[64:65], v[2:3], v[6:7], -v[64:65]
	v_fmac_f64_e32 v[66:67], v[4:5], v[6:7]
	s_delay_alu instid0(VALU_DEP_2) | instskip(NEXT) | instid1(VALU_DEP_2)
	v_add_f64_e32 v[64:65], v[56:57], v[64:65]
	v_add_f64_e32 v[66:67], v[66:67], v[58:59]
	ds_load_b128 v[56:59], v20 offset:6400
	s_wait_dscnt 0x0
	v_mul_f64_e32 v[68:69], v[4:5], v[58:59]
	s_delay_alu instid0(VALU_DEP_1) | instskip(SKIP_1) | instid1(VALU_DEP_2)
	v_fma_f64 v[68:69], v[2:3], v[56:57], -v[68:69]
	v_mul_f64_e32 v[2:3], v[2:3], v[58:59]
	v_add_f64_e32 v[68:69], v[52:53], v[68:69]
	s_delay_alu instid0(VALU_DEP_2) | instskip(NEXT) | instid1(VALU_DEP_1)
	v_fmac_f64_e32 v[2:3], v[4:5], v[56:57]
	v_add_f64_e32 v[78:79], v[2:3], v[54:55]
	ds_load_b128 v[2:5], v70 offset:8384
	s_wait_dscnt 0x0
	v_mul_f64_e32 v[52:53], v[4:5], v[8:9]
	v_mul_f64_e32 v[8:9], v[2:3], v[8:9]
	s_delay_alu instid0(VALU_DEP_2) | instskip(NEXT) | instid1(VALU_DEP_2)
	v_fma_f64 v[52:53], v[2:3], v[6:7], -v[52:53]
	v_fmac_f64_e32 v[8:9], v[4:5], v[6:7]
	v_mul_f64_e32 v[6:7], v[4:5], v[58:59]
	s_delay_alu instid0(VALU_DEP_3) | instskip(NEXT) | instid1(VALU_DEP_3)
	v_add_f64_e32 v[10:11], v[10:11], v[52:53]
	v_add_f64_e32 v[12:13], v[8:9], v[12:13]
	s_delay_alu instid0(VALU_DEP_3) | instskip(SKIP_1) | instid1(VALU_DEP_2)
	v_fma_f64 v[6:7], v[2:3], v[56:57], -v[6:7]
	v_mul_f64_e32 v[2:3], v[2:3], v[58:59]
	v_add_f64_e32 v[6:7], v[60:61], v[6:7]
	s_delay_alu instid0(VALU_DEP_2) | instskip(NEXT) | instid1(VALU_DEP_1)
	v_fmac_f64_e32 v[2:3], v[4:5], v[56:57]
	v_add_f64_e32 v[8:9], v[2:3], v[62:63]
	ds_load_b128 v[52:55], v70 offset:208
	ds_load_b128 v[60:63], v20 offset:6656
	s_wait_dscnt 0x0
	v_mul_f64_e32 v[2:3], v[54:55], v[62:63]
	v_mul_f64_e32 v[4:5], v[52:53], v[62:63]
	s_delay_alu instid0(VALU_DEP_2) | instskip(NEXT) | instid1(VALU_DEP_2)
	v_fma_f64 v[2:3], v[52:53], v[60:61], -v[2:3]
	v_fmac_f64_e32 v[4:5], v[54:55], v[60:61]
	s_delay_alu instid0(VALU_DEP_2) | instskip(NEXT) | instid1(VALU_DEP_2)
	v_add_f64_e32 v[56:57], v[64:65], v[2:3]
	v_add_f64_e32 v[58:59], v[4:5], v[66:67]
	ds_load_b128 v[2:5], v20 offset:6912
	s_wait_dscnt 0x0
	v_mul_f64_e32 v[64:65], v[54:55], v[4:5]
	v_mul_f64_e32 v[66:67], v[52:53], v[4:5]
	s_delay_alu instid0(VALU_DEP_2) | instskip(NEXT) | instid1(VALU_DEP_2)
	v_fma_f64 v[64:65], v[52:53], v[2:3], -v[64:65]
	v_fmac_f64_e32 v[66:67], v[54:55], v[2:3]
	s_delay_alu instid0(VALU_DEP_2) | instskip(NEXT) | instid1(VALU_DEP_2)
	v_add_f64_e32 v[52:53], v[68:69], v[64:65]
	v_add_f64_e32 v[54:55], v[66:67], v[78:79]
	ds_load_b128 v[64:67], v70 offset:8400
	s_wait_dscnt 0x0
	v_mul_f64_e32 v[68:69], v[66:67], v[62:63]
	v_mul_f64_e32 v[62:63], v[64:65], v[62:63]
	s_delay_alu instid0(VALU_DEP_2) | instskip(NEXT) | instid1(VALU_DEP_2)
	v_fma_f64 v[68:69], v[64:65], v[60:61], -v[68:69]
	v_fmac_f64_e32 v[62:63], v[66:67], v[60:61]
	v_mul_f64_e32 v[60:61], v[66:67], v[4:5]
	v_mul_f64_e32 v[4:5], v[64:65], v[4:5]
	s_delay_alu instid0(VALU_DEP_4) | instskip(NEXT) | instid1(VALU_DEP_4)
	v_add_f64_e32 v[10:11], v[10:11], v[68:69]
	v_add_f64_e32 v[12:13], v[62:63], v[12:13]
	s_delay_alu instid0(VALU_DEP_4) | instskip(NEXT) | instid1(VALU_DEP_4)
	v_fma_f64 v[60:61], v[64:65], v[2:3], -v[60:61]
	v_fmac_f64_e32 v[4:5], v[66:67], v[2:3]
	s_delay_alu instid0(VALU_DEP_2) | instskip(NEXT) | instid1(VALU_DEP_2)
	v_add_f64_e32 v[60:61], v[6:7], v[60:61]
	v_add_f64_e32 v[62:63], v[4:5], v[8:9]
	ds_load_b128 v[2:5], v70 offset:224
	ds_load_b128 v[6:9], v20 offset:7168
	s_wait_dscnt 0x0
	v_mul_f64_e32 v[64:65], v[4:5], v[8:9]
	v_mul_f64_e32 v[66:67], v[2:3], v[8:9]
	s_delay_alu instid0(VALU_DEP_2) | instskip(NEXT) | instid1(VALU_DEP_2)
	v_fma_f64 v[64:65], v[2:3], v[6:7], -v[64:65]
	v_fmac_f64_e32 v[66:67], v[4:5], v[6:7]
	s_delay_alu instid0(VALU_DEP_2) | instskip(NEXT) | instid1(VALU_DEP_2)
	v_add_f64_e32 v[64:65], v[56:57], v[64:65]
	v_add_f64_e32 v[66:67], v[66:67], v[58:59]
	ds_load_b128 v[56:59], v20 offset:7424
	s_wait_dscnt 0x0
	v_mul_f64_e32 v[68:69], v[4:5], v[58:59]
	s_delay_alu instid0(VALU_DEP_1) | instskip(SKIP_1) | instid1(VALU_DEP_2)
	v_fma_f64 v[68:69], v[2:3], v[56:57], -v[68:69]
	v_mul_f64_e32 v[2:3], v[2:3], v[58:59]
	v_add_f64_e32 v[68:69], v[52:53], v[68:69]
	s_delay_alu instid0(VALU_DEP_2) | instskip(NEXT) | instid1(VALU_DEP_1)
	v_fmac_f64_e32 v[2:3], v[4:5], v[56:57]
	v_add_f64_e32 v[78:79], v[2:3], v[54:55]
	ds_load_b128 v[2:5], v70 offset:8416
	s_wait_dscnt 0x0
	v_mul_f64_e32 v[52:53], v[4:5], v[8:9]
	v_mul_f64_e32 v[8:9], v[2:3], v[8:9]
	s_delay_alu instid0(VALU_DEP_2) | instskip(NEXT) | instid1(VALU_DEP_2)
	v_fma_f64 v[52:53], v[2:3], v[6:7], -v[52:53]
	v_fmac_f64_e32 v[8:9], v[4:5], v[6:7]
	v_mul_f64_e32 v[6:7], v[4:5], v[58:59]
	s_delay_alu instid0(VALU_DEP_3) | instskip(NEXT) | instid1(VALU_DEP_3)
	v_add_f64_e32 v[10:11], v[10:11], v[52:53]
	v_add_f64_e32 v[12:13], v[8:9], v[12:13]
	s_delay_alu instid0(VALU_DEP_3) | instskip(SKIP_1) | instid1(VALU_DEP_2)
	v_fma_f64 v[6:7], v[2:3], v[56:57], -v[6:7]
	v_mul_f64_e32 v[2:3], v[2:3], v[58:59]
	v_add_f64_e32 v[6:7], v[60:61], v[6:7]
	s_delay_alu instid0(VALU_DEP_2) | instskip(NEXT) | instid1(VALU_DEP_1)
	v_fmac_f64_e32 v[2:3], v[4:5], v[56:57]
	v_add_f64_e32 v[8:9], v[2:3], v[62:63]
	ds_load_b128 v[52:55], v70 offset:240
	ds_load_b128 v[60:63], v20 offset:7680
	s_wait_dscnt 0x0
	v_mul_f64_e32 v[2:3], v[54:55], v[62:63]
	v_mul_f64_e32 v[4:5], v[52:53], v[62:63]
	s_delay_alu instid0(VALU_DEP_2) | instskip(NEXT) | instid1(VALU_DEP_2)
	v_fma_f64 v[2:3], v[52:53], v[60:61], -v[2:3]
	v_fmac_f64_e32 v[4:5], v[54:55], v[60:61]
	s_delay_alu instid0(VALU_DEP_2) | instskip(NEXT) | instid1(VALU_DEP_2)
	v_add_f64_e32 v[56:57], v[64:65], v[2:3]
	v_add_f64_e32 v[58:59], v[4:5], v[66:67]
	ds_load_b128 v[2:5], v20 offset:7936
	s_wait_dscnt 0x0
	v_mul_f64_e32 v[64:65], v[54:55], v[4:5]
	v_mul_f64_e32 v[66:67], v[52:53], v[4:5]
	s_delay_alu instid0(VALU_DEP_2) | instskip(NEXT) | instid1(VALU_DEP_2)
	v_fma_f64 v[64:65], v[52:53], v[2:3], -v[64:65]
	v_fmac_f64_e32 v[66:67], v[54:55], v[2:3]
	s_delay_alu instid0(VALU_DEP_2) | instskip(NEXT) | instid1(VALU_DEP_2)
	v_add_f64_e32 v[52:53], v[68:69], v[64:65]
	v_add_f64_e32 v[54:55], v[66:67], v[78:79]
	ds_load_b128 v[64:67], v70 offset:8432
	s_wait_dscnt 0x0
	v_mul_f64_e32 v[68:69], v[66:67], v[62:63]
	v_mul_f64_e32 v[62:63], v[64:65], v[62:63]
	s_delay_alu instid0(VALU_DEP_2) | instskip(NEXT) | instid1(VALU_DEP_2)
	v_fma_f64 v[68:69], v[64:65], v[60:61], -v[68:69]
	v_fmac_f64_e32 v[62:63], v[66:67], v[60:61]
	v_mul_f64_e32 v[60:61], v[66:67], v[4:5]
	v_mul_f64_e32 v[4:5], v[64:65], v[4:5]
	s_delay_alu instid0(VALU_DEP_4) | instskip(NEXT) | instid1(VALU_DEP_4)
	v_add_f64_e32 v[10:11], v[10:11], v[68:69]
	v_add_f64_e32 v[12:13], v[62:63], v[12:13]
	s_delay_alu instid0(VALU_DEP_4) | instskip(NEXT) | instid1(VALU_DEP_4)
	v_fma_f64 v[60:61], v[64:65], v[2:3], -v[60:61]
	v_fmac_f64_e32 v[4:5], v[66:67], v[2:3]
	s_delay_alu instid0(VALU_DEP_2) | instskip(NEXT) | instid1(VALU_DEP_2)
	v_add_f64_e32 v[60:61], v[6:7], v[60:61]
	v_add_f64_e32 v[62:63], v[4:5], v[8:9]
	ds_load_b128 v[2:5], v70 offset:256
	ds_load_b128 v[6:9], v20 offset:8192
	s_wait_dscnt 0x0
	v_mul_f64_e32 v[64:65], v[4:5], v[8:9]
	v_mul_f64_e32 v[66:67], v[2:3], v[8:9]
	s_delay_alu instid0(VALU_DEP_2) | instskip(NEXT) | instid1(VALU_DEP_2)
	v_fma_f64 v[64:65], v[2:3], v[6:7], -v[64:65]
	v_fmac_f64_e32 v[66:67], v[4:5], v[6:7]
	s_delay_alu instid0(VALU_DEP_2) | instskip(NEXT) | instid1(VALU_DEP_2)
	v_add_f64_e32 v[64:65], v[56:57], v[64:65]
	v_add_f64_e32 v[66:67], v[66:67], v[58:59]
	ds_load_b128 v[56:59], v20 offset:8448
	s_wait_dscnt 0x0
	v_mul_f64_e32 v[68:69], v[4:5], v[58:59]
	s_delay_alu instid0(VALU_DEP_1) | instskip(SKIP_1) | instid1(VALU_DEP_2)
	v_fma_f64 v[68:69], v[2:3], v[56:57], -v[68:69]
	v_mul_f64_e32 v[2:3], v[2:3], v[58:59]
	v_add_f64_e32 v[68:69], v[52:53], v[68:69]
	s_delay_alu instid0(VALU_DEP_2) | instskip(NEXT) | instid1(VALU_DEP_1)
	v_fmac_f64_e32 v[2:3], v[4:5], v[56:57]
	v_add_f64_e32 v[78:79], v[2:3], v[54:55]
	ds_load_b128 v[2:5], v70 offset:8448
	s_wait_dscnt 0x0
	v_mul_f64_e32 v[52:53], v[4:5], v[8:9]
	v_mul_f64_e32 v[8:9], v[2:3], v[8:9]
	s_delay_alu instid0(VALU_DEP_2) | instskip(NEXT) | instid1(VALU_DEP_2)
	v_fma_f64 v[52:53], v[2:3], v[6:7], -v[52:53]
	v_fmac_f64_e32 v[8:9], v[4:5], v[6:7]
	v_mul_f64_e32 v[6:7], v[4:5], v[58:59]
	s_delay_alu instid0(VALU_DEP_3) | instskip(NEXT) | instid1(VALU_DEP_3)
	v_add_f64_e32 v[10:11], v[10:11], v[52:53]
	v_add_f64_e32 v[12:13], v[8:9], v[12:13]
	s_delay_alu instid0(VALU_DEP_3) | instskip(SKIP_1) | instid1(VALU_DEP_2)
	v_fma_f64 v[6:7], v[2:3], v[56:57], -v[6:7]
	v_mul_f64_e32 v[2:3], v[2:3], v[58:59]
	v_add_f64_e32 v[6:7], v[60:61], v[6:7]
	s_delay_alu instid0(VALU_DEP_2) | instskip(NEXT) | instid1(VALU_DEP_1)
	v_fmac_f64_e32 v[2:3], v[4:5], v[56:57]
	v_add_f64_e32 v[8:9], v[2:3], v[62:63]
	ds_load_b128 v[52:55], v70 offset:272
	ds_load_b128 v[60:63], v20 offset:8704
	s_wait_dscnt 0x0
	v_mul_f64_e32 v[2:3], v[54:55], v[62:63]
	v_mul_f64_e32 v[4:5], v[52:53], v[62:63]
	s_delay_alu instid0(VALU_DEP_2) | instskip(NEXT) | instid1(VALU_DEP_2)
	v_fma_f64 v[2:3], v[52:53], v[60:61], -v[2:3]
	v_fmac_f64_e32 v[4:5], v[54:55], v[60:61]
	s_delay_alu instid0(VALU_DEP_2) | instskip(NEXT) | instid1(VALU_DEP_2)
	v_add_f64_e32 v[56:57], v[64:65], v[2:3]
	v_add_f64_e32 v[58:59], v[4:5], v[66:67]
	ds_load_b128 v[2:5], v20 offset:8960
	s_wait_dscnt 0x0
	v_mul_f64_e32 v[64:65], v[54:55], v[4:5]
	v_mul_f64_e32 v[66:67], v[52:53], v[4:5]
	s_delay_alu instid0(VALU_DEP_2) | instskip(NEXT) | instid1(VALU_DEP_2)
	v_fma_f64 v[64:65], v[52:53], v[2:3], -v[64:65]
	v_fmac_f64_e32 v[66:67], v[54:55], v[2:3]
	s_delay_alu instid0(VALU_DEP_2) | instskip(NEXT) | instid1(VALU_DEP_2)
	v_add_f64_e32 v[52:53], v[68:69], v[64:65]
	v_add_f64_e32 v[54:55], v[66:67], v[78:79]
	ds_load_b128 v[64:67], v70 offset:8464
	s_wait_dscnt 0x0
	v_mul_f64_e32 v[68:69], v[66:67], v[62:63]
	v_mul_f64_e32 v[62:63], v[64:65], v[62:63]
	s_delay_alu instid0(VALU_DEP_2) | instskip(NEXT) | instid1(VALU_DEP_2)
	v_fma_f64 v[68:69], v[64:65], v[60:61], -v[68:69]
	v_fmac_f64_e32 v[62:63], v[66:67], v[60:61]
	v_mul_f64_e32 v[60:61], v[66:67], v[4:5]
	v_mul_f64_e32 v[4:5], v[64:65], v[4:5]
	s_delay_alu instid0(VALU_DEP_4) | instskip(NEXT) | instid1(VALU_DEP_4)
	v_add_f64_e32 v[10:11], v[10:11], v[68:69]
	v_add_f64_e32 v[12:13], v[62:63], v[12:13]
	s_delay_alu instid0(VALU_DEP_4) | instskip(NEXT) | instid1(VALU_DEP_4)
	v_fma_f64 v[60:61], v[64:65], v[2:3], -v[60:61]
	v_fmac_f64_e32 v[4:5], v[66:67], v[2:3]
	s_delay_alu instid0(VALU_DEP_2) | instskip(NEXT) | instid1(VALU_DEP_2)
	v_add_f64_e32 v[60:61], v[6:7], v[60:61]
	v_add_f64_e32 v[62:63], v[4:5], v[8:9]
	ds_load_b128 v[2:5], v70 offset:288
	ds_load_b128 v[6:9], v20 offset:9216
	s_wait_dscnt 0x0
	v_mul_f64_e32 v[64:65], v[4:5], v[8:9]
	v_mul_f64_e32 v[66:67], v[2:3], v[8:9]
	s_delay_alu instid0(VALU_DEP_2) | instskip(NEXT) | instid1(VALU_DEP_2)
	v_fma_f64 v[64:65], v[2:3], v[6:7], -v[64:65]
	v_fmac_f64_e32 v[66:67], v[4:5], v[6:7]
	s_delay_alu instid0(VALU_DEP_2) | instskip(NEXT) | instid1(VALU_DEP_2)
	v_add_f64_e32 v[64:65], v[56:57], v[64:65]
	v_add_f64_e32 v[66:67], v[66:67], v[58:59]
	ds_load_b128 v[56:59], v20 offset:9472
	s_wait_dscnt 0x0
	v_mul_f64_e32 v[68:69], v[4:5], v[58:59]
	s_delay_alu instid0(VALU_DEP_1) | instskip(SKIP_1) | instid1(VALU_DEP_2)
	v_fma_f64 v[68:69], v[2:3], v[56:57], -v[68:69]
	v_mul_f64_e32 v[2:3], v[2:3], v[58:59]
	v_add_f64_e32 v[68:69], v[52:53], v[68:69]
	s_delay_alu instid0(VALU_DEP_2) | instskip(NEXT) | instid1(VALU_DEP_1)
	v_fmac_f64_e32 v[2:3], v[4:5], v[56:57]
	v_add_f64_e32 v[78:79], v[2:3], v[54:55]
	ds_load_b128 v[2:5], v70 offset:8480
	s_wait_dscnt 0x0
	v_mul_f64_e32 v[52:53], v[4:5], v[8:9]
	v_mul_f64_e32 v[8:9], v[2:3], v[8:9]
	s_delay_alu instid0(VALU_DEP_2) | instskip(NEXT) | instid1(VALU_DEP_2)
	v_fma_f64 v[52:53], v[2:3], v[6:7], -v[52:53]
	v_fmac_f64_e32 v[8:9], v[4:5], v[6:7]
	v_mul_f64_e32 v[6:7], v[4:5], v[58:59]
	s_delay_alu instid0(VALU_DEP_3) | instskip(NEXT) | instid1(VALU_DEP_3)
	v_add_f64_e32 v[10:11], v[10:11], v[52:53]
	v_add_f64_e32 v[12:13], v[8:9], v[12:13]
	s_delay_alu instid0(VALU_DEP_3) | instskip(SKIP_1) | instid1(VALU_DEP_2)
	v_fma_f64 v[6:7], v[2:3], v[56:57], -v[6:7]
	v_mul_f64_e32 v[2:3], v[2:3], v[58:59]
	v_add_f64_e32 v[6:7], v[60:61], v[6:7]
	s_delay_alu instid0(VALU_DEP_2) | instskip(NEXT) | instid1(VALU_DEP_1)
	v_fmac_f64_e32 v[2:3], v[4:5], v[56:57]
	v_add_f64_e32 v[8:9], v[2:3], v[62:63]
	ds_load_b128 v[52:55], v70 offset:304
	ds_load_b128 v[60:63], v20 offset:9728
	s_wait_dscnt 0x0
	v_mul_f64_e32 v[2:3], v[54:55], v[62:63]
	v_mul_f64_e32 v[4:5], v[52:53], v[62:63]
	s_delay_alu instid0(VALU_DEP_2) | instskip(NEXT) | instid1(VALU_DEP_2)
	v_fma_f64 v[2:3], v[52:53], v[60:61], -v[2:3]
	v_fmac_f64_e32 v[4:5], v[54:55], v[60:61]
	s_delay_alu instid0(VALU_DEP_2) | instskip(NEXT) | instid1(VALU_DEP_2)
	v_add_f64_e32 v[56:57], v[64:65], v[2:3]
	v_add_f64_e32 v[58:59], v[4:5], v[66:67]
	ds_load_b128 v[2:5], v20 offset:9984
	s_wait_dscnt 0x0
	v_mul_f64_e32 v[64:65], v[54:55], v[4:5]
	v_mul_f64_e32 v[66:67], v[52:53], v[4:5]
	s_delay_alu instid0(VALU_DEP_2) | instskip(NEXT) | instid1(VALU_DEP_2)
	v_fma_f64 v[64:65], v[52:53], v[2:3], -v[64:65]
	v_fmac_f64_e32 v[66:67], v[54:55], v[2:3]
	s_delay_alu instid0(VALU_DEP_2) | instskip(NEXT) | instid1(VALU_DEP_2)
	v_add_f64_e32 v[52:53], v[68:69], v[64:65]
	v_add_f64_e32 v[54:55], v[66:67], v[78:79]
	ds_load_b128 v[64:67], v70 offset:8496
	s_wait_dscnt 0x0
	v_mul_f64_e32 v[68:69], v[66:67], v[62:63]
	v_mul_f64_e32 v[62:63], v[64:65], v[62:63]
	s_delay_alu instid0(VALU_DEP_2) | instskip(NEXT) | instid1(VALU_DEP_2)
	v_fma_f64 v[68:69], v[64:65], v[60:61], -v[68:69]
	v_fmac_f64_e32 v[62:63], v[66:67], v[60:61]
	s_delay_alu instid0(VALU_DEP_2) | instskip(SKIP_2) | instid1(VALU_DEP_4)
	v_add_f64_e32 v[60:61], v[10:11], v[68:69]
	v_mul_f64_e32 v[10:11], v[66:67], v[4:5]
	v_mul_f64_e32 v[4:5], v[64:65], v[4:5]
	v_add_f64_e32 v[62:63], v[62:63], v[12:13]
	s_delay_alu instid0(VALU_DEP_3) | instskip(NEXT) | instid1(VALU_DEP_3)
	v_fma_f64 v[10:11], v[64:65], v[2:3], -v[10:11]
	v_fmac_f64_e32 v[4:5], v[66:67], v[2:3]
	s_delay_alu instid0(VALU_DEP_2) | instskip(NEXT) | instid1(VALU_DEP_2)
	v_add_f64_e32 v[64:65], v[6:7], v[10:11]
	v_add_f64_e32 v[66:67], v[4:5], v[8:9]
	ds_load_b128 v[2:5], v70 offset:320
	ds_load_b128 v[6:9], v20 offset:10240
	s_wait_dscnt 0x0
	v_mul_f64_e32 v[10:11], v[4:5], v[8:9]
	v_mul_f64_e32 v[12:13], v[2:3], v[8:9]
	s_delay_alu instid0(VALU_DEP_2) | instskip(NEXT) | instid1(VALU_DEP_2)
	v_fma_f64 v[10:11], v[2:3], v[6:7], -v[10:11]
	v_fmac_f64_e32 v[12:13], v[4:5], v[6:7]
	s_delay_alu instid0(VALU_DEP_2) | instskip(NEXT) | instid1(VALU_DEP_2)
	v_add_f64_e32 v[56:57], v[56:57], v[10:11]
	v_add_f64_e32 v[58:59], v[12:13], v[58:59]
	ds_load_b128 v[10:13], v20 offset:10496
	s_wait_dscnt 0x0
	v_mul_f64_e32 v[68:69], v[4:5], v[12:13]
	s_delay_alu instid0(VALU_DEP_1) | instskip(SKIP_1) | instid1(VALU_DEP_2)
	v_fma_f64 v[68:69], v[2:3], v[10:11], -v[68:69]
	v_mul_f64_e32 v[2:3], v[2:3], v[12:13]
	v_add_f64_e32 v[52:53], v[52:53], v[68:69]
	s_delay_alu instid0(VALU_DEP_2) | instskip(NEXT) | instid1(VALU_DEP_1)
	v_fmac_f64_e32 v[2:3], v[4:5], v[10:11]
	v_add_f64_e32 v[54:55], v[2:3], v[54:55]
	ds_load_b128 v[2:5], v70 offset:8512
	s_wait_dscnt 0x0
	v_mul_f64_e32 v[68:69], v[4:5], v[8:9]
	v_mul_f64_e32 v[8:9], v[2:3], v[8:9]
	s_delay_alu instid0(VALU_DEP_2) | instskip(NEXT) | instid1(VALU_DEP_2)
	v_fma_f64 v[68:69], v[2:3], v[6:7], -v[68:69]
	v_fmac_f64_e32 v[8:9], v[4:5], v[6:7]
	v_mul_f64_e32 v[6:7], v[4:5], v[12:13]
	s_delay_alu instid0(VALU_DEP_3) | instskip(NEXT) | instid1(VALU_DEP_3)
	v_add_f64_e32 v[60:61], v[60:61], v[68:69]
	v_add_f64_e32 v[62:63], v[8:9], v[62:63]
	s_delay_alu instid0(VALU_DEP_3) | instskip(SKIP_1) | instid1(VALU_DEP_1)
	v_fma_f64 v[6:7], v[2:3], v[10:11], -v[6:7]
	v_mul_f64_e32 v[2:3], v[2:3], v[12:13]
	v_fmac_f64_e32 v[2:3], v[4:5], v[10:11]
	s_delay_alu instid0(VALU_DEP_3) | instskip(NEXT) | instid1(VALU_DEP_2)
	v_add_f64_e32 v[10:11], v[64:65], v[6:7]
	v_add_f64_e32 v[12:13], v[2:3], v[66:67]
	ds_load_b128 v[6:9], v70 offset:336
	ds_load_b128 v[64:67], v20 offset:10752
	s_wait_dscnt 0x0
	v_mul_f64_e32 v[2:3], v[8:9], v[66:67]
	v_mul_f64_e32 v[4:5], v[6:7], v[66:67]
	s_delay_alu instid0(VALU_DEP_2) | instskip(NEXT) | instid1(VALU_DEP_2)
	v_fma_f64 v[2:3], v[6:7], v[64:65], -v[2:3]
	v_fmac_f64_e32 v[4:5], v[8:9], v[64:65]
	s_delay_alu instid0(VALU_DEP_2) | instskip(NEXT) | instid1(VALU_DEP_2)
	v_add_f64_e32 v[56:57], v[56:57], v[2:3]
	v_add_f64_e32 v[58:59], v[4:5], v[58:59]
	ds_load_b128 v[2:5], v20 offset:11008
	s_wait_dscnt 0x0
	v_mul_f64_e32 v[68:69], v[8:9], v[4:5]
	s_delay_alu instid0(VALU_DEP_1) | instskip(SKIP_1) | instid1(VALU_DEP_2)
	v_fma_f64 v[68:69], v[6:7], v[2:3], -v[68:69]
	v_mul_f64_e32 v[6:7], v[6:7], v[4:5]
	v_add_f64_e32 v[52:53], v[52:53], v[68:69]
	s_delay_alu instid0(VALU_DEP_2) | instskip(NEXT) | instid1(VALU_DEP_1)
	v_fmac_f64_e32 v[6:7], v[8:9], v[2:3]
	v_add_f64_e32 v[54:55], v[6:7], v[54:55]
	ds_load_b128 v[6:9], v70 offset:8528
	s_wait_dscnt 0x0
	v_mul_f64_e32 v[68:69], v[8:9], v[66:67]
	v_mul_f64_e32 v[66:67], v[6:7], v[66:67]
	s_delay_alu instid0(VALU_DEP_2) | instskip(NEXT) | instid1(VALU_DEP_2)
	v_fma_f64 v[68:69], v[6:7], v[64:65], -v[68:69]
	v_fmac_f64_e32 v[66:67], v[8:9], v[64:65]
	v_mul_f64_e32 v[64:65], v[8:9], v[4:5]
	v_mul_f64_e32 v[4:5], v[6:7], v[4:5]
	s_delay_alu instid0(VALU_DEP_4) | instskip(NEXT) | instid1(VALU_DEP_4)
	v_add_f64_e32 v[60:61], v[60:61], v[68:69]
	v_add_f64_e32 v[62:63], v[66:67], v[62:63]
	s_delay_alu instid0(VALU_DEP_4) | instskip(NEXT) | instid1(VALU_DEP_4)
	v_fma_f64 v[64:65], v[6:7], v[2:3], -v[64:65]
	v_fmac_f64_e32 v[4:5], v[8:9], v[2:3]
	s_delay_alu instid0(VALU_DEP_2) | instskip(NEXT) | instid1(VALU_DEP_2)
	v_add_f64_e32 v[64:65], v[10:11], v[64:65]
	v_add_f64_e32 v[66:67], v[4:5], v[12:13]
	ds_load_b128 v[2:5], v70 offset:352
	ds_load_b128 v[6:9], v20 offset:11264
	s_wait_dscnt 0x0
	v_mul_f64_e32 v[10:11], v[4:5], v[8:9]
	v_mul_f64_e32 v[12:13], v[2:3], v[8:9]
	s_delay_alu instid0(VALU_DEP_2) | instskip(NEXT) | instid1(VALU_DEP_2)
	v_fma_f64 v[10:11], v[2:3], v[6:7], -v[10:11]
	v_fmac_f64_e32 v[12:13], v[4:5], v[6:7]
	s_delay_alu instid0(VALU_DEP_2) | instskip(NEXT) | instid1(VALU_DEP_2)
	v_add_f64_e32 v[68:69], v[56:57], v[10:11]
	v_add_f64_e32 v[78:79], v[12:13], v[58:59]
	ds_load_b128 v[56:59], v20 offset:11520
	s_wait_dscnt 0x0
	v_mul_f64_e32 v[10:11], v[4:5], v[58:59]
	s_delay_alu instid0(VALU_DEP_1) | instskip(SKIP_1) | instid1(VALU_DEP_2)
	v_fma_f64 v[10:11], v[2:3], v[56:57], -v[10:11]
	v_mul_f64_e32 v[2:3], v[2:3], v[58:59]
	v_add_f64_e32 v[80:81], v[52:53], v[10:11]
	s_delay_alu instid0(VALU_DEP_2) | instskip(NEXT) | instid1(VALU_DEP_1)
	v_fmac_f64_e32 v[2:3], v[4:5], v[56:57]
	v_add_f64_e32 v[82:83], v[2:3], v[54:55]
	ds_load_b128 v[2:5], v70 offset:8544
	s_wait_dscnt 0x0
	v_mul_f64_e32 v[10:11], v[4:5], v[8:9]
	v_mul_f64_e32 v[8:9], v[2:3], v[8:9]
	s_delay_alu instid0(VALU_DEP_2) | instskip(NEXT) | instid1(VALU_DEP_2)
	v_fma_f64 v[10:11], v[2:3], v[6:7], -v[10:11]
	v_fmac_f64_e32 v[8:9], v[4:5], v[6:7]
	v_mul_f64_e32 v[6:7], v[4:5], v[58:59]
	s_delay_alu instid0(VALU_DEP_3) | instskip(NEXT) | instid1(VALU_DEP_3)
	v_add_f64_e32 v[10:11], v[60:61], v[10:11]
	v_add_f64_e32 v[12:13], v[8:9], v[62:63]
	s_delay_alu instid0(VALU_DEP_3) | instskip(SKIP_1) | instid1(VALU_DEP_2)
	v_fma_f64 v[6:7], v[2:3], v[56:57], -v[6:7]
	v_mul_f64_e32 v[2:3], v[2:3], v[58:59]
	v_add_f64_e32 v[52:53], v[64:65], v[6:7]
	s_delay_alu instid0(VALU_DEP_2) | instskip(NEXT) | instid1(VALU_DEP_1)
	v_fmac_f64_e32 v[2:3], v[4:5], v[56:57]
	v_add_f64_e32 v[54:55], v[2:3], v[66:67]
	ds_load_b128 v[56:59], v70 offset:368
	ds_load_b128 v[2:5], v20 offset:11776
	s_wait_dscnt 0x0
	v_mul_f64_e32 v[6:7], v[58:59], v[4:5]
	v_mul_f64_e32 v[8:9], v[56:57], v[4:5]
	s_delay_alu instid0(VALU_DEP_2) | instskip(NEXT) | instid1(VALU_DEP_2)
	v_fma_f64 v[6:7], v[56:57], v[2:3], -v[6:7]
	v_fmac_f64_e32 v[8:9], v[58:59], v[2:3]
	s_delay_alu instid0(VALU_DEP_2) | instskip(NEXT) | instid1(VALU_DEP_2)
	v_add_f64_e32 v[60:61], v[68:69], v[6:7]
	v_add_f64_e32 v[62:63], v[8:9], v[78:79]
	ds_load_b128 v[6:9], v20 offset:12032
	s_wait_dscnt 0x0
	v_mul_f64_e32 v[64:65], v[58:59], v[8:9]
	v_mul_f64_e32 v[66:67], v[56:57], v[8:9]
	s_delay_alu instid0(VALU_DEP_2) | instskip(NEXT) | instid1(VALU_DEP_2)
	v_fma_f64 v[64:65], v[56:57], v[6:7], -v[64:65]
	v_fmac_f64_e32 v[66:67], v[58:59], v[6:7]
	s_delay_alu instid0(VALU_DEP_2) | instskip(NEXT) | instid1(VALU_DEP_2)
	v_add_f64_e32 v[56:57], v[80:81], v[64:65]
	v_add_f64_e32 v[58:59], v[66:67], v[82:83]
	ds_load_b128 v[64:67], v70 offset:8560
	s_wait_dscnt 0x0
	v_mul_f64_e32 v[68:69], v[66:67], v[4:5]
	v_mul_f64_e32 v[4:5], v[64:65], v[4:5]
	s_delay_alu instid0(VALU_DEP_2) | instskip(NEXT) | instid1(VALU_DEP_2)
	v_fma_f64 v[68:69], v[64:65], v[2:3], -v[68:69]
	v_fmac_f64_e32 v[4:5], v[66:67], v[2:3]
	v_mul_f64_e32 v[2:3], v[66:67], v[8:9]
	s_delay_alu instid0(VALU_DEP_3) | instskip(NEXT) | instid1(VALU_DEP_3)
	v_add_f64_e32 v[68:69], v[10:11], v[68:69]
	v_add_f64_e32 v[78:79], v[4:5], v[12:13]
	v_mul_f64_e32 v[4:5], v[64:65], v[8:9]
	s_delay_alu instid0(VALU_DEP_4) | instskip(NEXT) | instid1(VALU_DEP_2)
	v_fma_f64 v[2:3], v[64:65], v[6:7], -v[2:3]
	v_fmac_f64_e32 v[4:5], v[66:67], v[6:7]
	s_delay_alu instid0(VALU_DEP_2) | instskip(NEXT) | instid1(VALU_DEP_2)
	v_add_f64_e32 v[52:53], v[52:53], v[2:3]
	v_add_f64_e32 v[54:55], v[4:5], v[54:55]
	ds_load_b128 v[2:5], v70 offset:384
	ds_load_b128 v[6:9], v20 offset:12288
	s_wait_dscnt 0x0
	v_mul_f64_e32 v[10:11], v[4:5], v[8:9]
	v_mul_f64_e32 v[12:13], v[2:3], v[8:9]
	s_delay_alu instid0(VALU_DEP_2) | instskip(NEXT) | instid1(VALU_DEP_2)
	v_fma_f64 v[10:11], v[2:3], v[6:7], -v[10:11]
	v_fmac_f64_e32 v[12:13], v[4:5], v[6:7]
	s_delay_alu instid0(VALU_DEP_2) | instskip(NEXT) | instid1(VALU_DEP_2)
	v_add_f64_e32 v[60:61], v[60:61], v[10:11]
	v_add_f64_e32 v[62:63], v[12:13], v[62:63]
	ds_load_b128 v[10:13], v20 offset:12544
	s_wait_dscnt 0x0
	v_mul_f64_e32 v[64:65], v[4:5], v[12:13]
	s_delay_alu instid0(VALU_DEP_1) | instskip(SKIP_1) | instid1(VALU_DEP_2)
	v_fma_f64 v[64:65], v[2:3], v[10:11], -v[64:65]
	v_mul_f64_e32 v[2:3], v[2:3], v[12:13]
	v_add_f64_e32 v[64:65], v[56:57], v[64:65]
	s_delay_alu instid0(VALU_DEP_2) | instskip(NEXT) | instid1(VALU_DEP_1)
	v_fmac_f64_e32 v[2:3], v[4:5], v[10:11]
	v_add_f64_e32 v[66:67], v[2:3], v[58:59]
	ds_load_b128 v[2:5], v70 offset:8576
	s_wait_dscnt 0x0
	v_mul_f64_e32 v[56:57], v[4:5], v[8:9]
	v_mul_f64_e32 v[8:9], v[2:3], v[8:9]
	s_delay_alu instid0(VALU_DEP_2) | instskip(NEXT) | instid1(VALU_DEP_2)
	v_fma_f64 v[56:57], v[2:3], v[6:7], -v[56:57]
	v_fmac_f64_e32 v[8:9], v[4:5], v[6:7]
	s_delay_alu instid0(VALU_DEP_2) | instskip(SKIP_2) | instid1(VALU_DEP_4)
	v_add_f64_e32 v[6:7], v[68:69], v[56:57]
	v_mul_f64_e32 v[56:57], v[4:5], v[12:13]
	v_mul_f64_e32 v[12:13], v[2:3], v[12:13]
	v_add_f64_e32 v[8:9], v[8:9], v[78:79]
	s_delay_alu instid0(VALU_DEP_3) | instskip(NEXT) | instid1(VALU_DEP_3)
	v_fma_f64 v[56:57], v[2:3], v[10:11], -v[56:57]
	v_fmac_f64_e32 v[12:13], v[4:5], v[10:11]
	s_delay_alu instid0(VALU_DEP_2) | instskip(NEXT) | instid1(VALU_DEP_2)
	v_add_f64_e32 v[2:3], v[52:53], v[56:57]
	v_add_f64_e32 v[4:5], v[12:13], v[54:55]
	ds_load_b128 v[10:13], v70 offset:400
	ds_load_b128 v[56:59], v20 offset:12800
	s_wait_dscnt 0x0
	v_mul_f64_e32 v[52:53], v[12:13], v[58:59]
	v_mul_f64_e32 v[54:55], v[10:11], v[58:59]
	s_delay_alu instid0(VALU_DEP_2) | instskip(NEXT) | instid1(VALU_DEP_2)
	v_fma_f64 v[52:53], v[10:11], v[56:57], -v[52:53]
	v_fmac_f64_e32 v[54:55], v[12:13], v[56:57]
	s_delay_alu instid0(VALU_DEP_2) | instskip(NEXT) | instid1(VALU_DEP_2)
	v_add_f64_e32 v[52:53], v[60:61], v[52:53]
	v_add_f64_e32 v[54:55], v[54:55], v[62:63]
	ds_load_b128 v[60:63], v20 offset:13056
	s_wait_dscnt 0x0
	v_mul_f64_e32 v[68:69], v[12:13], v[62:63]
	v_mul_f64_e32 v[78:79], v[10:11], v[62:63]
	s_delay_alu instid0(VALU_DEP_2) | instskip(NEXT) | instid1(VALU_DEP_2)
	v_fma_f64 v[68:69], v[10:11], v[60:61], -v[68:69]
	v_fmac_f64_e32 v[78:79], v[12:13], v[60:61]
	s_delay_alu instid0(VALU_DEP_2) | instskip(NEXT) | instid1(VALU_DEP_2)
	v_add_f64_e32 v[10:11], v[64:65], v[68:69]
	v_add_f64_e32 v[12:13], v[78:79], v[66:67]
	;; [unrolled: 10-line block ×3, first 2 shown]
	v_mul_f64_e32 v[6:7], v[66:67], v[62:63]
	v_mul_f64_e32 v[8:9], v[64:65], v[62:63]
	s_delay_alu instid0(VALU_DEP_2) | instskip(NEXT) | instid1(VALU_DEP_2)
	v_fma_f64 v[6:7], v[64:65], v[60:61], -v[6:7]
	v_fmac_f64_e32 v[8:9], v[66:67], v[60:61]
	s_delay_alu instid0(VALU_DEP_2) | instskip(NEXT) | instid1(VALU_DEP_2)
	v_add_f64_e32 v[60:61], v[2:3], v[6:7]
	v_add_f64_e32 v[62:63], v[8:9], v[4:5]
	ds_load_b128 v[2:5], v70 offset:416
	ds_load_b128 v[6:9], v20 offset:13312
	s_wait_dscnt 0x0
	v_mul_f64_e32 v[64:65], v[4:5], v[8:9]
	v_mul_f64_e32 v[66:67], v[2:3], v[8:9]
	s_delay_alu instid0(VALU_DEP_2) | instskip(NEXT) | instid1(VALU_DEP_2)
	v_fma_f64 v[64:65], v[2:3], v[6:7], -v[64:65]
	v_fmac_f64_e32 v[66:67], v[4:5], v[6:7]
	s_delay_alu instid0(VALU_DEP_2) | instskip(NEXT) | instid1(VALU_DEP_2)
	v_add_f64_e32 v[64:65], v[52:53], v[64:65]
	v_add_f64_e32 v[66:67], v[66:67], v[54:55]
	ds_load_b128 v[52:55], v20 offset:13568
	s_wait_dscnt 0x0
	v_mul_f64_e32 v[68:69], v[4:5], v[54:55]
	s_delay_alu instid0(VALU_DEP_1) | instskip(SKIP_1) | instid1(VALU_DEP_2)
	v_fma_f64 v[68:69], v[2:3], v[52:53], -v[68:69]
	v_mul_f64_e32 v[2:3], v[2:3], v[54:55]
	v_add_f64_e32 v[68:69], v[10:11], v[68:69]
	s_delay_alu instid0(VALU_DEP_2) | instskip(NEXT) | instid1(VALU_DEP_1)
	v_fmac_f64_e32 v[2:3], v[4:5], v[52:53]
	v_add_f64_e32 v[78:79], v[2:3], v[12:13]
	ds_load_b128 v[2:5], v70 offset:8608
	s_wait_dscnt 0x0
	v_mul_f64_e32 v[10:11], v[4:5], v[8:9]
	v_mul_f64_e32 v[8:9], v[2:3], v[8:9]
	s_delay_alu instid0(VALU_DEP_2) | instskip(NEXT) | instid1(VALU_DEP_2)
	v_fma_f64 v[10:11], v[2:3], v[6:7], -v[10:11]
	v_fmac_f64_e32 v[8:9], v[4:5], v[6:7]
	v_mul_f64_e32 v[6:7], v[4:5], v[54:55]
	s_delay_alu instid0(VALU_DEP_3) | instskip(NEXT) | instid1(VALU_DEP_3)
	v_add_f64_e32 v[10:11], v[56:57], v[10:11]
	v_add_f64_e32 v[12:13], v[8:9], v[58:59]
	s_delay_alu instid0(VALU_DEP_3) | instskip(SKIP_1) | instid1(VALU_DEP_1)
	v_fma_f64 v[6:7], v[2:3], v[52:53], -v[6:7]
	v_mul_f64_e32 v[2:3], v[2:3], v[54:55]
	v_fmac_f64_e32 v[2:3], v[4:5], v[52:53]
	s_delay_alu instid0(VALU_DEP_3) | instskip(NEXT) | instid1(VALU_DEP_2)
	v_add_f64_e32 v[52:53], v[60:61], v[6:7]
	v_add_f64_e32 v[54:55], v[2:3], v[62:63]
	ds_load_b128 v[2:5], v70 offset:432
	ds_load_b128 v[56:59], v20 offset:13824
	;; [unrolled: 1-line block ×3, first 2 shown]
	s_wait_dscnt 0x1
	v_mul_f64_e32 v[6:7], v[4:5], v[58:59]
	v_mul_f64_e32 v[8:9], v[2:3], v[58:59]
	s_delay_alu instid0(VALU_DEP_2) | instskip(NEXT) | instid1(VALU_DEP_2)
	v_fma_f64 v[6:7], v[2:3], v[56:57], -v[6:7]
	v_fmac_f64_e32 v[8:9], v[4:5], v[56:57]
	s_delay_alu instid0(VALU_DEP_2) | instskip(NEXT) | instid1(VALU_DEP_2)
	v_add_f64_e32 v[6:7], v[64:65], v[6:7]
	v_add_f64_e32 v[8:9], v[8:9], v[66:67]
	s_wait_dscnt 0x0
	v_mul_f64_e32 v[64:65], v[4:5], v[62:63]
	v_mul_f64_e32 v[66:67], v[2:3], v[62:63]
	s_delay_alu instid0(VALU_DEP_2) | instskip(NEXT) | instid1(VALU_DEP_2)
	v_fma_f64 v[64:65], v[2:3], v[60:61], -v[64:65]
	v_fmac_f64_e32 v[66:67], v[4:5], v[60:61]
	s_delay_alu instid0(VALU_DEP_2) | instskip(NEXT) | instid1(VALU_DEP_2)
	v_add_f64_e32 v[2:3], v[68:69], v[64:65]
	v_add_f64_e32 v[4:5], v[66:67], v[78:79]
	ds_load_b128 v[64:67], v70 offset:8624
	s_wait_dscnt 0x0
	v_mul_f64_e32 v[68:69], v[66:67], v[58:59]
	v_mul_f64_e32 v[58:59], v[64:65], v[58:59]
	s_delay_alu instid0(VALU_DEP_2) | instskip(NEXT) | instid1(VALU_DEP_2)
	v_fma_f64 v[68:69], v[64:65], v[56:57], -v[68:69]
	v_fmac_f64_e32 v[58:59], v[66:67], v[56:57]
	v_mul_f64_e32 v[56:57], v[66:67], v[62:63]
	s_delay_alu instid0(VALU_DEP_3) | instskip(NEXT) | instid1(VALU_DEP_3)
	v_add_f64_e32 v[10:11], v[10:11], v[68:69]
	v_add_f64_e32 v[12:13], v[58:59], v[12:13]
	v_mul_f64_e32 v[58:59], v[64:65], v[62:63]
	s_delay_alu instid0(VALU_DEP_4) | instskip(NEXT) | instid1(VALU_DEP_2)
	v_fma_f64 v[56:57], v[64:65], v[60:61], -v[56:57]
	v_fmac_f64_e32 v[58:59], v[66:67], v[60:61]
	s_delay_alu instid0(VALU_DEP_2) | instskip(NEXT) | instid1(VALU_DEP_2)
	v_add_f64_e32 v[52:53], v[52:53], v[56:57]
	v_add_f64_e32 v[54:55], v[58:59], v[54:55]
	ds_load_b128 v[56:59], v70 offset:448
	ds_load_b128 v[60:63], v20 offset:14336
	s_wait_dscnt 0x0
	v_mul_f64_e32 v[64:65], v[58:59], v[62:63]
	v_mul_f64_e32 v[66:67], v[56:57], v[62:63]
	s_delay_alu instid0(VALU_DEP_2) | instskip(NEXT) | instid1(VALU_DEP_2)
	v_fma_f64 v[64:65], v[56:57], v[60:61], -v[64:65]
	v_fmac_f64_e32 v[66:67], v[58:59], v[60:61]
	s_delay_alu instid0(VALU_DEP_2) | instskip(NEXT) | instid1(VALU_DEP_2)
	v_add_f64_e32 v[68:69], v[6:7], v[64:65]
	v_add_f64_e32 v[78:79], v[66:67], v[8:9]
	ds_load_b128 v[64:67], v20 offset:14592
	s_wait_dscnt 0x0
	v_mul_f64_e32 v[6:7], v[58:59], v[66:67]
	v_mul_f64_e32 v[8:9], v[56:57], v[66:67]
	s_delay_alu instid0(VALU_DEP_2) | instskip(NEXT) | instid1(VALU_DEP_2)
	v_fma_f64 v[6:7], v[56:57], v[64:65], -v[6:7]
	v_fmac_f64_e32 v[8:9], v[58:59], v[64:65]
	s_delay_alu instid0(VALU_DEP_2) | instskip(NEXT) | instid1(VALU_DEP_2)
	v_add_f64_e32 v[80:81], v[2:3], v[6:7]
	v_add_f64_e32 v[82:83], v[8:9], v[4:5]
	ds_load_b128 v[2:5], v70 offset:8640
	s_wait_dscnt 0x0
	v_mul_f64_e32 v[6:7], v[4:5], v[62:63]
	v_mul_f64_e32 v[8:9], v[2:3], v[62:63]
	s_delay_alu instid0(VALU_DEP_2) | instskip(NEXT) | instid1(VALU_DEP_2)
	v_fma_f64 v[6:7], v[2:3], v[60:61], -v[6:7]
	v_fmac_f64_e32 v[8:9], v[4:5], v[60:61]
	s_delay_alu instid0(VALU_DEP_2) | instskip(NEXT) | instid1(VALU_DEP_2)
	v_add_f64_e32 v[6:7], v[10:11], v[6:7]
	v_add_f64_e32 v[8:9], v[8:9], v[12:13]
	v_mul_f64_e32 v[10:11], v[4:5], v[66:67]
	v_mul_f64_e32 v[12:13], v[2:3], v[66:67]
	s_delay_alu instid0(VALU_DEP_2) | instskip(NEXT) | instid1(VALU_DEP_2)
	v_fma_f64 v[10:11], v[2:3], v[64:65], -v[10:11]
	v_fmac_f64_e32 v[12:13], v[4:5], v[64:65]
	s_delay_alu instid0(VALU_DEP_2) | instskip(NEXT) | instid1(VALU_DEP_2)
	v_add_f64_e32 v[2:3], v[52:53], v[10:11]
	v_add_f64_e32 v[4:5], v[12:13], v[54:55]
	ds_load_b128 v[10:13], v70 offset:464
	ds_load_b128 v[56:59], v20 offset:14848
	;; [unrolled: 1-line block ×3, first 2 shown]
	s_wait_dscnt 0x1
	v_mul_f64_e32 v[52:53], v[12:13], v[58:59]
	s_wait_dscnt 0x0
	v_mul_f64_e32 v[64:65], v[12:13], v[62:63]
	v_mul_f64_e32 v[66:67], v[10:11], v[62:63]
	v_mul_f64_e32 v[54:55], v[10:11], v[58:59]
	s_delay_alu instid0(VALU_DEP_4) | instskip(NEXT) | instid1(VALU_DEP_4)
	v_fma_f64 v[52:53], v[10:11], v[56:57], -v[52:53]
	v_fma_f64 v[64:65], v[10:11], v[60:61], -v[64:65]
	s_delay_alu instid0(VALU_DEP_4) | instskip(NEXT) | instid1(VALU_DEP_4)
	v_fmac_f64_e32 v[66:67], v[12:13], v[60:61]
	v_fmac_f64_e32 v[54:55], v[12:13], v[56:57]
	s_delay_alu instid0(VALU_DEP_4) | instskip(NEXT) | instid1(VALU_DEP_4)
	v_add_f64_e32 v[52:53], v[68:69], v[52:53]
	v_add_f64_e32 v[10:11], v[80:81], v[64:65]
	s_delay_alu instid0(VALU_DEP_4)
	v_add_f64_e32 v[12:13], v[66:67], v[82:83]
	ds_load_b128 v[64:67], v70 offset:8656
	v_add_f64_e32 v[54:55], v[54:55], v[78:79]
	s_wait_dscnt 0x0
	v_mul_f64_e32 v[68:69], v[66:67], v[58:59]
	v_mul_f64_e32 v[58:59], v[64:65], v[58:59]
	s_delay_alu instid0(VALU_DEP_2) | instskip(NEXT) | instid1(VALU_DEP_2)
	v_fma_f64 v[68:69], v[64:65], v[56:57], -v[68:69]
	v_fmac_f64_e32 v[58:59], v[66:67], v[56:57]
	s_delay_alu instid0(VALU_DEP_2) | instskip(NEXT) | instid1(VALU_DEP_2)
	v_add_f64_e32 v[68:69], v[6:7], v[68:69]
	v_add_f64_e32 v[78:79], v[58:59], v[8:9]
	v_mul_f64_e32 v[6:7], v[66:67], v[62:63]
	v_mul_f64_e32 v[8:9], v[64:65], v[62:63]
	s_delay_alu instid0(VALU_DEP_2) | instskip(NEXT) | instid1(VALU_DEP_2)
	v_fma_f64 v[6:7], v[64:65], v[60:61], -v[6:7]
	v_fmac_f64_e32 v[8:9], v[66:67], v[60:61]
	s_delay_alu instid0(VALU_DEP_2) | instskip(NEXT) | instid1(VALU_DEP_2)
	v_add_f64_e32 v[60:61], v[2:3], v[6:7]
	v_add_f64_e32 v[62:63], v[8:9], v[4:5]
	ds_load_b128 v[6:9], v70 offset:480
	ds_load_b128 v[56:59], v20 offset:15360
	s_wait_dscnt 0x0
	v_mul_f64_e32 v[2:3], v[8:9], v[58:59]
	v_mul_f64_e32 v[4:5], v[6:7], v[58:59]
	s_delay_alu instid0(VALU_DEP_2) | instskip(NEXT) | instid1(VALU_DEP_2)
	v_fma_f64 v[2:3], v[6:7], v[56:57], -v[2:3]
	v_fmac_f64_e32 v[4:5], v[8:9], v[56:57]
	s_delay_alu instid0(VALU_DEP_2) | instskip(NEXT) | instid1(VALU_DEP_2)
	v_add_f64_e32 v[2:3], v[52:53], v[2:3]
	v_add_f64_e32 v[4:5], v[4:5], v[54:55]
	ds_load_b128 v[52:55], v20 offset:15616
	s_wait_dscnt 0x0
	v_mul_f64_e32 v[64:65], v[8:9], v[54:55]
	s_delay_alu instid0(VALU_DEP_1) | instskip(SKIP_1) | instid1(VALU_DEP_2)
	v_fma_f64 v[64:65], v[6:7], v[52:53], -v[64:65]
	v_mul_f64_e32 v[6:7], v[6:7], v[54:55]
	v_add_f64_e32 v[10:11], v[10:11], v[64:65]
	s_delay_alu instid0(VALU_DEP_2) | instskip(NEXT) | instid1(VALU_DEP_1)
	v_fmac_f64_e32 v[6:7], v[8:9], v[52:53]
	v_add_f64_e32 v[12:13], v[6:7], v[12:13]
	ds_load_b128 v[6:9], v70 offset:8672
	s_wait_dscnt 0x0
	v_mul_f64_e32 v[64:65], v[8:9], v[58:59]
	v_mul_f64_e32 v[58:59], v[6:7], v[58:59]
	s_delay_alu instid0(VALU_DEP_2) | instskip(NEXT) | instid1(VALU_DEP_2)
	v_fma_f64 v[64:65], v[6:7], v[56:57], -v[64:65]
	v_fmac_f64_e32 v[58:59], v[8:9], v[56:57]
	v_mul_f64_e32 v[56:57], v[8:9], v[54:55]
	s_delay_alu instid0(VALU_DEP_3) | instskip(NEXT) | instid1(VALU_DEP_3)
	v_add_f64_e32 v[64:65], v[68:69], v[64:65]
	v_add_f64_e32 v[68:69], v[58:59], v[78:79]
	s_delay_alu instid0(VALU_DEP_3) | instskip(SKIP_1) | instid1(VALU_DEP_2)
	v_fma_f64 v[56:57], v[6:7], v[52:53], -v[56:57]
	v_mul_f64_e32 v[6:7], v[6:7], v[54:55]
	v_add_f64_e32 v[60:61], v[60:61], v[56:57]
	s_delay_alu instid0(VALU_DEP_2) | instskip(NEXT) | instid1(VALU_DEP_1)
	v_fmac_f64_e32 v[6:7], v[8:9], v[52:53]
	v_add_f64_e32 v[62:63], v[6:7], v[62:63]
	ds_load_b128 v[52:55], v70 offset:496
	ds_load_b128 v[6:9], v20 offset:15872
	s_wait_dscnt 0x0
	v_mul_f64_e32 v[56:57], v[54:55], v[8:9]
	v_mul_f64_e32 v[58:59], v[52:53], v[8:9]
	s_delay_alu instid0(VALU_DEP_2) | instskip(NEXT) | instid1(VALU_DEP_2)
	v_fma_f64 v[56:57], v[52:53], v[6:7], -v[56:57]
	v_fmac_f64_e32 v[58:59], v[54:55], v[6:7]
	s_delay_alu instid0(VALU_DEP_2) | instskip(NEXT) | instid1(VALU_DEP_2)
	v_add_f64_e32 v[56:57], v[2:3], v[56:57]
	v_add_f64_e32 v[58:59], v[58:59], v[4:5]
	ds_load_b128 v[2:5], v20 offset:16128
	s_wait_dscnt 0x0
	v_mul_f64_e32 v[66:67], v[54:55], v[4:5]
	v_mul_f64_e32 v[78:79], v[52:53], v[4:5]
	s_delay_alu instid0(VALU_DEP_2) | instskip(NEXT) | instid1(VALU_DEP_2)
	v_fma_f64 v[66:67], v[52:53], v[2:3], -v[66:67]
	v_fmac_f64_e32 v[78:79], v[54:55], v[2:3]
	s_delay_alu instid0(VALU_DEP_2) | instskip(NEXT) | instid1(VALU_DEP_2)
	v_add_f64_e32 v[52:53], v[10:11], v[66:67]
	v_add_f64_e32 v[54:55], v[78:79], v[12:13]
	ds_load_b128 v[10:13], v70 offset:8688
	s_wait_dscnt 0x0
	s_barrier_signal -1
	s_barrier_wait -1
	v_mul_f64_e32 v[66:67], v[12:13], v[8:9]
	v_mul_f64_e32 v[8:9], v[10:11], v[8:9]
	s_delay_alu instid0(VALU_DEP_2) | instskip(NEXT) | instid1(VALU_DEP_2)
	v_fma_f64 v[66:67], v[10:11], v[6:7], -v[66:67]
	v_fmac_f64_e32 v[8:9], v[12:13], v[6:7]
	v_mul_f64_e32 v[6:7], v[12:13], v[4:5]
	v_mul_f64_e32 v[4:5], v[10:11], v[4:5]
	s_delay_alu instid0(VALU_DEP_4) | instskip(NEXT) | instid1(VALU_DEP_4)
	v_add_f64_e32 v[66:67], v[64:65], v[66:67]
	v_add_f64_e32 v[64:65], v[8:9], v[68:69]
	s_delay_alu instid0(VALU_DEP_4) | instskip(NEXT) | instid1(VALU_DEP_4)
	v_fma_f64 v[6:7], v[10:11], v[2:3], -v[6:7]
	v_fmac_f64_e32 v[4:5], v[12:13], v[2:3]
	s_delay_alu instid0(VALU_DEP_2) | instskip(NEXT) | instid1(VALU_DEP_2)
	v_add_f64_e32 v[68:69], v[60:61], v[6:7]
	v_add_f64_e32 v[60:61], v[4:5], v[62:63]
	s_cbranch_scc1 .LBB119_58
.LBB119_10:                             ;   Parent Loop BB119_4 Depth=1
                                        ;     Parent Loop BB119_7 Depth=2
                                        ; =>    This Inner Loop Header: Depth=3
	v_add_nc_u64_e32 v[6:7], s[46:47], v[18:19]
	v_cmp_eq_u64_e64 s7, s[46:47], v[26:27]
	v_add_nc_u64_e32 v[4:5], s[36:37], v[40:41]
	s_delay_alu instid0(VALU_DEP_3) | instskip(SKIP_3) | instid1(SALU_CYCLE_1)
	v_cmp_le_i64_e64 s6, s[42:43], v[6:7]
	v_cmp_gt_i64_e64 s5, v[6:7], v[16:17]
	s_and_b32 s56, s52, s7
	s_or_b32 s7, s6, s5
	s_or_b32 s7, s7, s56
	s_delay_alu instid0(SALU_CYCLE_1) | instskip(NEXT) | instid1(SALU_CYCLE_1)
	s_nor_b32 s7, s0, s7
	s_and_saveexec_b32 s8, s7
	s_delay_alu instid0(SALU_CYCLE_1)
	s_xor_b32 s7, exec_lo, s8
	s_cbranch_execz .LBB119_12
; %bb.11:                               ;   in Loop: Header=BB119_10 Depth=3
	global_load_b128 v[8:11], v[4:5], off
	s_wait_loadcnt 0x0
	v_xor_b32_e32 v11, 0x80000000, v11
	ds_store_b128 v72, v[8:11]
.LBB119_12:                             ;   in Loop: Header=BB119_10 Depth=3
	s_wait_xcnt 0x0
	s_or_saveexec_b32 s7, s7
	s_xor_b32 s55, s56, -1
	s_xor_b32 exec_lo, exec_lo, s7
	s_cbranch_execz .LBB119_18
; %bb.13:                               ;   in Loop: Header=BB119_10 Depth=3
	s_and_saveexec_b32 s8, s55
	s_delay_alu instid0(SALU_CYCLE_1)
	s_xor_b32 s8, exec_lo, s8
; %bb.14:                               ;   in Loop: Header=BB119_10 Depth=3
	v_dual_mov_b32 v8, v0 :: v_dual_mov_b32 v9, v0
	v_dual_mov_b32 v10, v0 :: v_dual_mov_b32 v11, v0
	ds_store_b128 v72, v[8:11]
; %bb.15:                               ;   in Loop: Header=BB119_10 Depth=3
	s_and_not1_saveexec_b32 s8, s8
; %bb.16:                               ;   in Loop: Header=BB119_10 Depth=3
	v_dual_mov_b32 v2, v0 :: v_dual_mov_b32 v3, v0
	ds_store_b128 v72, v[0:3]
; %bb.17:                               ;   in Loop: Header=BB119_10 Depth=3
	s_or_b32 exec_lo, exec_lo, s8
.LBB119_18:                             ;   in Loop: Header=BB119_10 Depth=3
	s_delay_alu instid0(SALU_CYCLE_1)
	s_or_b32 exec_lo, exec_lo, s7
	v_cmp_eq_u64_e64 s7, s[46:47], v[30:31]
	v_cmp_lt_i64_e64 s8, v[24:25], v[6:7]
	v_add_nc_u64_e32 v[8:9], s[36:37], v[42:43]
	s_and_b32 s7, s52, s7
	s_or_b32 s6, s6, s8
	s_delay_alu instid0(SALU_CYCLE_1) | instskip(NEXT) | instid1(SALU_CYCLE_1)
	s_or_b32 s6, s6, s7
	s_nor_b32 s6, s3, s6
	s_delay_alu instid0(SALU_CYCLE_1) | instskip(NEXT) | instid1(SALU_CYCLE_1)
	s_and_saveexec_b32 s8, s6
	s_xor_b32 s6, exec_lo, s8
	s_cbranch_execz .LBB119_20
; %bb.19:                               ;   in Loop: Header=BB119_10 Depth=3
	global_load_b128 v[10:13], v[8:9], off
	s_wait_loadcnt 0x0
	v_xor_b32_e32 v13, 0x80000000, v13
	ds_store_b128 v72, v[10:13] offset:256
.LBB119_20:                             ;   in Loop: Header=BB119_10 Depth=3
	s_wait_xcnt 0x0
	s_and_not1_saveexec_b32 s6, s6
	s_cbranch_execz .LBB119_26
; %bb.21:                               ;   in Loop: Header=BB119_10 Depth=3
	s_xor_b32 s7, s7, -1
	s_delay_alu instid0(SALU_CYCLE_1) | instskip(NEXT) | instid1(SALU_CYCLE_1)
	s_and_saveexec_b32 s8, s7
	s_xor_b32 s7, exec_lo, s8
; %bb.22:                               ;   in Loop: Header=BB119_10 Depth=3
	v_dual_mov_b32 v10, v0 :: v_dual_mov_b32 v11, v0
	v_dual_mov_b32 v12, v0 :: v_dual_mov_b32 v13, v0
	ds_store_b128 v72, v[10:13] offset:256
; %bb.23:                               ;   in Loop: Header=BB119_10 Depth=3
	s_and_not1_saveexec_b32 s7, s7
; %bb.24:                               ;   in Loop: Header=BB119_10 Depth=3
	v_dual_mov_b32 v2, v0 :: v_dual_mov_b32 v3, v0
	ds_store_b128 v72, v[0:3] offset:256
; %bb.25:                               ;   in Loop: Header=BB119_10 Depth=3
	s_or_b32 exec_lo, exec_lo, s7
.LBB119_26:                             ;   in Loop: Header=BB119_10 Depth=3
	s_delay_alu instid0(SALU_CYCLE_1) | instskip(SKIP_2) | instid1(VALU_DEP_2)
	s_or_b32 exec_lo, exec_lo, s6
	v_add_nc_u64_e32 v[2:3], 16, v[6:7]
	v_cmp_eq_u64_e64 s7, s[46:47], v[32:33]
	v_cmp_le_i64_e64 s6, s[42:43], v[2:3]
	v_cmp_gt_i64_e64 s8, v[2:3], v[16:17]
	s_and_b32 s57, s52, s7
	s_or_b32 s7, s6, s8
	s_delay_alu instid0(SALU_CYCLE_1) | instskip(NEXT) | instid1(SALU_CYCLE_1)
	s_or_b32 s7, s7, s57
	s_nor_b32 s7, s0, s7
	s_delay_alu instid0(SALU_CYCLE_1) | instskip(NEXT) | instid1(SALU_CYCLE_1)
	s_and_saveexec_b32 s8, s7
	s_xor_b32 s7, exec_lo, s8
	s_cbranch_execz .LBB119_28
; %bb.27:                               ;   in Loop: Header=BB119_10 Depth=3
	global_load_b128 v[2:5], v[4:5], off offset:256
	s_wait_loadcnt 0x0
	s_wait_xcnt 0x0
	v_xor_b32_e32 v5, 0x80000000, v5
	ds_store_b128 v72, v[2:5] offset:8192
.LBB119_28:                             ;   in Loop: Header=BB119_10 Depth=3
	s_and_not1_saveexec_b32 s7, s7
	s_cbranch_execz .LBB119_34
; %bb.29:                               ;   in Loop: Header=BB119_10 Depth=3
	s_xor_b32 s8, s57, -1
	s_delay_alu instid0(SALU_CYCLE_1) | instskip(NEXT) | instid1(SALU_CYCLE_1)
	s_and_saveexec_b32 s57, s8
	s_xor_b32 s8, exec_lo, s57
; %bb.30:                               ;   in Loop: Header=BB119_10 Depth=3
	v_dual_mov_b32 v2, v0 :: v_dual_mov_b32 v3, v0
	v_dual_mov_b32 v4, v0 :: v_dual_mov_b32 v5, v0
	ds_store_b128 v72, v[2:5] offset:8192
; %bb.31:                               ;   in Loop: Header=BB119_10 Depth=3
	s_and_not1_saveexec_b32 s8, s8
; %bb.32:                               ;   in Loop: Header=BB119_10 Depth=3
	v_dual_mov_b32 v2, v0 :: v_dual_mov_b32 v3, v0
	ds_store_b128 v72, v[0:3] offset:8192
; %bb.33:                               ;   in Loop: Header=BB119_10 Depth=3
	s_or_b32 exec_lo, exec_lo, s8
.LBB119_34:                             ;   in Loop: Header=BB119_10 Depth=3
	s_delay_alu instid0(SALU_CYCLE_1) | instskip(SKIP_1) | instid1(SALU_CYCLE_1)
	s_or_b32 exec_lo, exec_lo, s7
	s_or_b32 s5, s6, s5
	s_or_b32 s5, s5, s56
	s_delay_alu instid0(SALU_CYCLE_1) | instskip(NEXT) | instid1(SALU_CYCLE_1)
	s_nor_b32 s5, s3, s5
	s_and_saveexec_b32 s6, s5
	s_delay_alu instid0(SALU_CYCLE_1)
	s_xor_b32 s5, exec_lo, s6
	s_cbranch_execz .LBB119_36
; %bb.35:                               ;   in Loop: Header=BB119_10 Depth=3
	global_load_b128 v[2:5], v[8:9], off offset:256
	s_wait_loadcnt 0x0
	v_xor_b32_e32 v5, 0x80000000, v5
	ds_store_b128 v72, v[2:5] offset:8448
.LBB119_36:                             ;   in Loop: Header=BB119_10 Depth=3
	s_wait_xcnt 0x0
	s_and_not1_saveexec_b32 s5, s5
	s_cbranch_execz .LBB119_42
; %bb.37:                               ;   in Loop: Header=BB119_10 Depth=3
	s_and_saveexec_b32 s6, s55
	s_delay_alu instid0(SALU_CYCLE_1)
	s_xor_b32 s6, exec_lo, s6
; %bb.38:                               ;   in Loop: Header=BB119_10 Depth=3
	v_dual_mov_b32 v2, v0 :: v_dual_mov_b32 v3, v0
	v_dual_mov_b32 v4, v0 :: v_dual_mov_b32 v5, v0
	ds_store_b128 v72, v[2:5] offset:8448
; %bb.39:                               ;   in Loop: Header=BB119_10 Depth=3
	s_and_not1_saveexec_b32 s6, s6
; %bb.40:                               ;   in Loop: Header=BB119_10 Depth=3
	v_dual_mov_b32 v2, v0 :: v_dual_mov_b32 v3, v0
	ds_store_b128 v72, v[0:3] offset:8448
; %bb.41:                               ;   in Loop: Header=BB119_10 Depth=3
	s_or_b32 exec_lo, exec_lo, s6
.LBB119_42:                             ;   in Loop: Header=BB119_10 Depth=3
	s_delay_alu instid0(SALU_CYCLE_1) | instskip(SKIP_1) | instid1(VALU_DEP_1)
	s_or_b32 exec_lo, exec_lo, s5
	v_add_nc_u64_e32 v[2:3], s[46:47], v[14:15]
	v_cmp_gt_i64_e64 s5, s[42:43], v[2:3]
	s_and_b32 s6, vcc_lo, s5
	s_delay_alu instid0(SALU_CYCLE_1) | instskip(NEXT) | instid1(SALU_CYCLE_1)
	s_xor_b32 s6, s6, -1
	s_and_saveexec_b32 s7, s6
	s_delay_alu instid0(SALU_CYCLE_1)
	s_xor_b32 s6, exec_lo, s7
; %bb.43:                               ;   in Loop: Header=BB119_10 Depth=3
	v_dual_mov_b32 v4, v0 :: v_dual_mov_b32 v5, v0
	v_dual_mov_b32 v6, v0 :: v_dual_mov_b32 v7, v0
	ds_store_b128 v71, v[4:7]
; %bb.44:                               ;   in Loop: Header=BB119_10 Depth=3
	s_or_saveexec_b32 s6, s6
	v_add_nc_u64_e32 v[4:5], s[36:37], v[48:49]
	s_xor_b32 exec_lo, exec_lo, s6
	s_cbranch_execz .LBB119_46
; %bb.45:                               ;   in Loop: Header=BB119_10 Depth=3
	global_load_b128 v[6:9], v[4:5], off offset:-256
	s_wait_loadcnt 0x0
	ds_store_2addr_b64 v71, v[6:7], v[8:9] offset1:1
.LBB119_46:                             ;   in Loop: Header=BB119_10 Depth=3
	s_wait_xcnt 0x0
	s_or_b32 exec_lo, exec_lo, s6
	v_cmp_gt_i64_e64 s6, s[20:21], v[2:3]
	s_and_b32 s7, vcc_lo, s6
	s_delay_alu instid0(SALU_CYCLE_1) | instskip(NEXT) | instid1(SALU_CYCLE_1)
	s_xor_b32 s7, s7, -1
	s_and_saveexec_b32 s8, s7
	s_delay_alu instid0(SALU_CYCLE_1)
	s_xor_b32 s7, exec_lo, s8
; %bb.47:                               ;   in Loop: Header=BB119_10 Depth=3
	v_dual_mov_b32 v2, v0 :: v_dual_mov_b32 v3, v0
	v_dual_mov_b32 v4, v0 :: v_dual_mov_b32 v5, v0
	ds_store_b128 v71, v[2:5] offset:256
                                        ; implicit-def: $vgpr4_vgpr5
; %bb.48:                               ;   in Loop: Header=BB119_10 Depth=3
	s_and_not1_saveexec_b32 s7, s7
	s_cbranch_execz .LBB119_50
; %bb.49:                               ;   in Loop: Header=BB119_10 Depth=3
	global_load_b128 v[2:5], v[4:5], off
	s_wait_loadcnt 0x0
	ds_store_2addr_b64 v73, v[2:3], v[4:5] offset1:1
.LBB119_50:                             ;   in Loop: Header=BB119_10 Depth=3
	s_wait_xcnt 0x0
	s_or_b32 exec_lo, exec_lo, s7
	s_and_b32 s5, s4, s5
	s_delay_alu instid0(SALU_CYCLE_1) | instskip(NEXT) | instid1(SALU_CYCLE_1)
	s_xor_b32 s5, s5, -1
	s_and_saveexec_b32 s7, s5
	s_delay_alu instid0(SALU_CYCLE_1)
	s_xor_b32 s5, exec_lo, s7
; %bb.51:                               ;   in Loop: Header=BB119_10 Depth=3
	v_dual_mov_b32 v2, v0 :: v_dual_mov_b32 v3, v0
	v_dual_mov_b32 v4, v0 :: v_dual_mov_b32 v5, v0
	ds_store_b128 v71, v[2:5] offset:8192
; %bb.52:                               ;   in Loop: Header=BB119_10 Depth=3
	s_or_saveexec_b32 s5, s5
	v_add_nc_u64_e32 v[2:3], s[36:37], v[50:51]
	s_xor_b32 exec_lo, exec_lo, s5
	s_cbranch_execz .LBB119_54
; %bb.53:                               ;   in Loop: Header=BB119_10 Depth=3
	global_load_b128 v[4:7], v[2:3], off offset:-256
	s_wait_loadcnt 0x0
	ds_store_2addr_b64 v74, v[4:5], v[6:7] offset1:1
.LBB119_54:                             ;   in Loop: Header=BB119_10 Depth=3
	s_wait_xcnt 0x0
	s_or_b32 exec_lo, exec_lo, s5
	s_and_b32 s5, s4, s6
	s_delay_alu instid0(SALU_CYCLE_1) | instskip(NEXT) | instid1(SALU_CYCLE_1)
	s_xor_b32 s5, s5, -1
	s_and_saveexec_b32 s6, s5
	s_delay_alu instid0(SALU_CYCLE_1)
	s_xor_b32 s5, exec_lo, s6
; %bb.55:                               ;   in Loop: Header=BB119_10 Depth=3
	v_dual_mov_b32 v2, v0 :: v_dual_mov_b32 v3, v0
	v_dual_mov_b32 v4, v0 :: v_dual_mov_b32 v5, v0
	ds_store_b128 v71, v[2:5] offset:8448
                                        ; implicit-def: $vgpr2_vgpr3
; %bb.56:                               ;   in Loop: Header=BB119_10 Depth=3
	s_and_not1_saveexec_b32 s5, s5
	s_cbranch_execz .LBB119_9
; %bb.57:                               ;   in Loop: Header=BB119_10 Depth=3
	global_load_b128 v[2:5], v[2:3], off
	s_wait_loadcnt 0x0
	ds_store_2addr_b64 v75, v[2:3], v[4:5] offset1:1
	s_branch .LBB119_9
.LBB119_58:                             ;   in Loop: Header=BB119_7 Depth=2
	s_delay_alu instid0(VALU_DEP_1) | instskip(SKIP_2) | instid1(VALU_DEP_2)
	v_mul_u64_e32 v[2:3], s[24:25], v[46:47]
	v_cmp_gt_i32_e32 vcc_lo, s38, v46
	s_and_b32 s5, s1, vcc_lo
	v_lshl_add_u64 v[2:3], v[2:3], 4, s[22:23]
	s_and_saveexec_b32 s4, s5
	s_cbranch_execz .LBB119_60
; %bb.59:                               ;   in Loop: Header=BB119_7 Depth=2
	s_delay_alu instid0(VALU_DEP_1)
	v_lshl_add_u64 v[8:9], v[16:17], 4, v[2:3]
	v_mul_f64_e32 v[10:11], s[30:31], v[58:59]
	v_mul_f64_e32 v[12:13], s[28:29], v[58:59]
	global_load_b128 v[4:7], v[8:9], off
	v_fma_f64 v[10:11], s[28:29], v[56:57], -v[10:11]
	v_fmac_f64_e32 v[12:13], s[30:31], v[56:57]
	s_wait_loadcnt 0x0
	s_delay_alu instid0(VALU_DEP_2) | instskip(NEXT) | instid1(VALU_DEP_2)
	v_add_f64_e32 v[4:5], v[4:5], v[10:11]
	v_add_f64_e32 v[6:7], v[12:13], v[6:7]
	global_store_b128 v[8:9], v[4:7], off
.LBB119_60:                             ;   in Loop: Header=BB119_7 Depth=2
	s_wait_xcnt 0x0
	s_or_b32 exec_lo, exec_lo, s4
	s_and_b32 s5, s2, vcc_lo
	s_delay_alu instid0(SALU_CYCLE_1)
	s_and_saveexec_b32 s4, s5
	s_cbranch_execz .LBB119_62
; %bb.61:                               ;   in Loop: Header=BB119_7 Depth=2
	v_lshl_add_u64 v[6:7], v[22:23], 4, v[2:3]
	v_mul_f64_e32 v[8:9], s[30:31], v[54:55]
	v_mul_f64_e32 v[10:11], s[28:29], v[54:55]
	global_load_b128 v[2:5], v[6:7], off
	v_fma_f64 v[8:9], s[28:29], v[52:53], -v[8:9]
	v_fmac_f64_e32 v[10:11], s[30:31], v[52:53]
	s_wait_loadcnt 0x0
	s_delay_alu instid0(VALU_DEP_2) | instskip(NEXT) | instid1(VALU_DEP_2)
	v_add_f64_e32 v[2:3], v[2:3], v[8:9]
	v_add_f64_e32 v[4:5], v[10:11], v[4:5]
	global_store_b128 v[6:7], v[2:5], off
.LBB119_62:                             ;   in Loop: Header=BB119_7 Depth=2
	s_wait_xcnt 0x0
	s_or_b32 exec_lo, exec_lo, s4
	v_add_nc_u32_e32 v2, 16, v46
	s_delay_alu instid0(VALU_DEP_1) | instskip(SKIP_1) | instid1(VALU_DEP_2)
	v_ashrrev_i32_e32 v3, 31, v2
	v_cmp_gt_i32_e32 vcc_lo, s38, v2
	v_mul_u64_e32 v[4:5], s[24:25], v[2:3]
	s_and_b32 s5, s1, vcc_lo
	s_delay_alu instid0(VALU_DEP_1)
	v_lshl_add_u64 v[2:3], v[4:5], 4, s[22:23]
	s_and_saveexec_b32 s4, s5
	s_cbranch_execz .LBB119_64
; %bb.63:                               ;   in Loop: Header=BB119_7 Depth=2
	s_delay_alu instid0(VALU_DEP_1)
	v_lshl_add_u64 v[8:9], v[16:17], 4, v[2:3]
	v_mul_f64_e32 v[10:11], s[30:31], v[64:65]
	v_mul_f64_e32 v[12:13], s[28:29], v[64:65]
	global_load_b128 v[4:7], v[8:9], off
	v_fma_f64 v[10:11], s[28:29], v[66:67], -v[10:11]
	v_fmac_f64_e32 v[12:13], s[30:31], v[66:67]
	s_wait_loadcnt 0x0
	s_delay_alu instid0(VALU_DEP_2) | instskip(NEXT) | instid1(VALU_DEP_2)
	v_add_f64_e32 v[4:5], v[4:5], v[10:11]
	v_add_f64_e32 v[6:7], v[12:13], v[6:7]
	global_store_b128 v[8:9], v[4:7], off
.LBB119_64:                             ;   in Loop: Header=BB119_7 Depth=2
	s_wait_xcnt 0x0
	s_or_b32 exec_lo, exec_lo, s4
	s_and_b32 s5, s2, vcc_lo
	s_delay_alu instid0(SALU_CYCLE_1)
	s_and_saveexec_b32 s4, s5
	s_cbranch_execz .LBB119_6
; %bb.65:                               ;   in Loop: Header=BB119_7 Depth=2
	v_lshl_add_u64 v[6:7], v[22:23], 4, v[2:3]
	v_mul_f64_e32 v[8:9], s[30:31], v[60:61]
	v_mul_f64_e32 v[10:11], s[28:29], v[60:61]
	global_load_b128 v[2:5], v[6:7], off
	v_fma_f64 v[8:9], s[28:29], v[68:69], -v[8:9]
	v_fmac_f64_e32 v[10:11], s[30:31], v[68:69]
	s_wait_loadcnt 0x0
	s_delay_alu instid0(VALU_DEP_2) | instskip(NEXT) | instid1(VALU_DEP_2)
	v_add_f64_e32 v[2:3], v[2:3], v[8:9]
	v_add_f64_e32 v[4:5], v[10:11], v[4:5]
	global_store_b128 v[6:7], v[2:5], off
	s_branch .LBB119_6
.LBB119_66:
	s_sendmsg sendmsg(MSG_DEALLOC_VGPRS)
	s_endpgm
	.section	.rodata,"a",@progbits
	.p2align	6, 0x0
	.amdhsa_kernel _ZL30rocblas_trmm_outofplace_kernelI19rocblas_complex_numIdELi32ELi2ELb1ELb1ELb1ELb1ES1_KS1_S1_Ev17rocblas_diagonal_iiT6_lPT7_lllS6_lllPT8_llli
		.amdhsa_group_segment_fixed_size 32768
		.amdhsa_private_segment_fixed_size 0
		.amdhsa_kernarg_size 400
		.amdhsa_user_sgpr_count 2
		.amdhsa_user_sgpr_dispatch_ptr 0
		.amdhsa_user_sgpr_queue_ptr 0
		.amdhsa_user_sgpr_kernarg_segment_ptr 1
		.amdhsa_user_sgpr_dispatch_id 0
		.amdhsa_user_sgpr_kernarg_preload_length 0
		.amdhsa_user_sgpr_kernarg_preload_offset 0
		.amdhsa_user_sgpr_private_segment_size 0
		.amdhsa_wavefront_size32 1
		.amdhsa_uses_dynamic_stack 0
		.amdhsa_enable_private_segment 0
		.amdhsa_system_sgpr_workgroup_id_x 1
		.amdhsa_system_sgpr_workgroup_id_y 1
		.amdhsa_system_sgpr_workgroup_id_z 1
		.amdhsa_system_sgpr_workgroup_info 0
		.amdhsa_system_vgpr_workitem_id 1
		.amdhsa_next_free_vgpr 96
		.amdhsa_next_free_sgpr 58
		.amdhsa_named_barrier_count 0
		.amdhsa_reserve_vcc 1
		.amdhsa_float_round_mode_32 0
		.amdhsa_float_round_mode_16_64 0
		.amdhsa_float_denorm_mode_32 3
		.amdhsa_float_denorm_mode_16_64 3
		.amdhsa_fp16_overflow 0
		.amdhsa_memory_ordered 1
		.amdhsa_forward_progress 1
		.amdhsa_inst_pref_size 67
		.amdhsa_round_robin_scheduling 0
		.amdhsa_exception_fp_ieee_invalid_op 0
		.amdhsa_exception_fp_denorm_src 0
		.amdhsa_exception_fp_ieee_div_zero 0
		.amdhsa_exception_fp_ieee_overflow 0
		.amdhsa_exception_fp_ieee_underflow 0
		.amdhsa_exception_fp_ieee_inexact 0
		.amdhsa_exception_int_div_zero 0
	.end_amdhsa_kernel
	.section	.text._ZL30rocblas_trmm_outofplace_kernelI19rocblas_complex_numIdELi32ELi2ELb1ELb1ELb1ELb1ES1_KS1_S1_Ev17rocblas_diagonal_iiT6_lPT7_lllS6_lllPT8_llli,"axG",@progbits,_ZL30rocblas_trmm_outofplace_kernelI19rocblas_complex_numIdELi32ELi2ELb1ELb1ELb1ELb1ES1_KS1_S1_Ev17rocblas_diagonal_iiT6_lPT7_lllS6_lllPT8_llli,comdat
.Lfunc_end119:
	.size	_ZL30rocblas_trmm_outofplace_kernelI19rocblas_complex_numIdELi32ELi2ELb1ELb1ELb1ELb1ES1_KS1_S1_Ev17rocblas_diagonal_iiT6_lPT7_lllS6_lllPT8_llli, .Lfunc_end119-_ZL30rocblas_trmm_outofplace_kernelI19rocblas_complex_numIdELi32ELi2ELb1ELb1ELb1ELb1ES1_KS1_S1_Ev17rocblas_diagonal_iiT6_lPT7_lllS6_lllPT8_llli
                                        ; -- End function
	.set _ZL30rocblas_trmm_outofplace_kernelI19rocblas_complex_numIdELi32ELi2ELb1ELb1ELb1ELb1ES1_KS1_S1_Ev17rocblas_diagonal_iiT6_lPT7_lllS6_lllPT8_llli.num_vgpr, 96
	.set _ZL30rocblas_trmm_outofplace_kernelI19rocblas_complex_numIdELi32ELi2ELb1ELb1ELb1ELb1ES1_KS1_S1_Ev17rocblas_diagonal_iiT6_lPT7_lllS6_lllPT8_llli.num_agpr, 0
	.set _ZL30rocblas_trmm_outofplace_kernelI19rocblas_complex_numIdELi32ELi2ELb1ELb1ELb1ELb1ES1_KS1_S1_Ev17rocblas_diagonal_iiT6_lPT7_lllS6_lllPT8_llli.numbered_sgpr, 58
	.set _ZL30rocblas_trmm_outofplace_kernelI19rocblas_complex_numIdELi32ELi2ELb1ELb1ELb1ELb1ES1_KS1_S1_Ev17rocblas_diagonal_iiT6_lPT7_lllS6_lllPT8_llli.num_named_barrier, 0
	.set _ZL30rocblas_trmm_outofplace_kernelI19rocblas_complex_numIdELi32ELi2ELb1ELb1ELb1ELb1ES1_KS1_S1_Ev17rocblas_diagonal_iiT6_lPT7_lllS6_lllPT8_llli.private_seg_size, 0
	.set _ZL30rocblas_trmm_outofplace_kernelI19rocblas_complex_numIdELi32ELi2ELb1ELb1ELb1ELb1ES1_KS1_S1_Ev17rocblas_diagonal_iiT6_lPT7_lllS6_lllPT8_llli.uses_vcc, 1
	.set _ZL30rocblas_trmm_outofplace_kernelI19rocblas_complex_numIdELi32ELi2ELb1ELb1ELb1ELb1ES1_KS1_S1_Ev17rocblas_diagonal_iiT6_lPT7_lllS6_lllPT8_llli.uses_flat_scratch, 0
	.set _ZL30rocblas_trmm_outofplace_kernelI19rocblas_complex_numIdELi32ELi2ELb1ELb1ELb1ELb1ES1_KS1_S1_Ev17rocblas_diagonal_iiT6_lPT7_lllS6_lllPT8_llli.has_dyn_sized_stack, 0
	.set _ZL30rocblas_trmm_outofplace_kernelI19rocblas_complex_numIdELi32ELi2ELb1ELb1ELb1ELb1ES1_KS1_S1_Ev17rocblas_diagonal_iiT6_lPT7_lllS6_lllPT8_llli.has_recursion, 0
	.set _ZL30rocblas_trmm_outofplace_kernelI19rocblas_complex_numIdELi32ELi2ELb1ELb1ELb1ELb1ES1_KS1_S1_Ev17rocblas_diagonal_iiT6_lPT7_lllS6_lllPT8_llli.has_indirect_call, 0
	.section	.AMDGPU.csdata,"",@progbits
; Kernel info:
; codeLenInByte = 8484
; TotalNumSgprs: 60
; NumVgprs: 96
; ScratchSize: 0
; MemoryBound: 0
; FloatMode: 240
; IeeeMode: 1
; LDSByteSize: 32768 bytes/workgroup (compile time only)
; SGPRBlocks: 0
; VGPRBlocks: 5
; NumSGPRsForWavesPerEU: 60
; NumVGPRsForWavesPerEU: 96
; NamedBarCnt: 0
; Occupancy: 10
; WaveLimiterHint : 0
; COMPUTE_PGM_RSRC2:SCRATCH_EN: 0
; COMPUTE_PGM_RSRC2:USER_SGPR: 2
; COMPUTE_PGM_RSRC2:TRAP_HANDLER: 0
; COMPUTE_PGM_RSRC2:TGID_X_EN: 1
; COMPUTE_PGM_RSRC2:TGID_Y_EN: 1
; COMPUTE_PGM_RSRC2:TGID_Z_EN: 1
; COMPUTE_PGM_RSRC2:TIDIG_COMP_CNT: 1
	.section	.text._ZL30rocblas_trmm_outofplace_kernelI19rocblas_complex_numIdELi32ELi2ELb0ELb0ELb0ELb0EPKS1_S2_S1_Ev17rocblas_diagonal_iiT6_lPT7_lllS7_lllPT8_llli,"axG",@progbits,_ZL30rocblas_trmm_outofplace_kernelI19rocblas_complex_numIdELi32ELi2ELb0ELb0ELb0ELb0EPKS1_S2_S1_Ev17rocblas_diagonal_iiT6_lPT7_lllS7_lllPT8_llli,comdat
	.globl	_ZL30rocblas_trmm_outofplace_kernelI19rocblas_complex_numIdELi32ELi2ELb0ELb0ELb0ELb0EPKS1_S2_S1_Ev17rocblas_diagonal_iiT6_lPT7_lllS7_lllPT8_llli ; -- Begin function _ZL30rocblas_trmm_outofplace_kernelI19rocblas_complex_numIdELi32ELi2ELb0ELb0ELb0ELb0EPKS1_S2_S1_Ev17rocblas_diagonal_iiT6_lPT7_lllS7_lllPT8_llli
	.p2align	8
	.type	_ZL30rocblas_trmm_outofplace_kernelI19rocblas_complex_numIdELi32ELi2ELb0ELb0ELb0ELb0EPKS1_S2_S1_Ev17rocblas_diagonal_iiT6_lPT7_lllS7_lllPT8_llli,@function
_ZL30rocblas_trmm_outofplace_kernelI19rocblas_complex_numIdELi32ELi2ELb0ELb0ELb0ELb0EPKS1_S2_S1_Ev17rocblas_diagonal_iiT6_lPT7_lllS7_lllPT8_llli: ; @_ZL30rocblas_trmm_outofplace_kernelI19rocblas_complex_numIdELi32ELi2ELb0ELb0ELb0ELb0EPKS1_S2_S1_Ev17rocblas_diagonal_iiT6_lPT7_lllS7_lllPT8_llli
; %bb.0:
	s_load_b32 s11, s[0:1], 0x80
	s_bfe_u32 s2, ttmp6, 0x40014
	s_lshr_b32 s3, ttmp7, 16
	s_add_co_i32 s2, s2, 1
	s_bfe_u32 s5, ttmp6, 0x40008
	s_mul_i32 s4, s3, s2
	s_getreg_b32 s2, hwreg(HW_REG_IB_STS2, 6, 4)
	s_add_co_i32 s5, s5, s4
	s_cmp_eq_u32 s2, 0
	s_mov_b32 s35, 0
	s_cselect_b32 s34, s3, s5
	s_wait_kmcnt 0x0
	s_cmp_ge_u32 s34, s11
	s_cbranch_scc1 .LBB120_68
; %bb.1:
	s_clause 0x3
	s_load_b96 s[8:10], s[0:1], 0x0
	s_load_b512 s[12:27], s[0:1], 0x10
	s_load_b128 s[28:31], s[0:1], 0x70
	s_load_b256 s[36:43], s[0:1], 0x50
	s_bfe_u32 s4, ttmp6, 0x4000c
	s_bfe_u32 s6, ttmp6, 0x40010
	s_add_co_i32 s4, s4, 1
	s_and_b32 s3, ttmp6, 15
	s_and_b32 s5, ttmp7, 0xffff
	s_add_nc_u64 s[44:45], s[0:1], 0x88
	s_add_co_i32 s6, s6, 1
	s_wait_xcnt 0x0
	s_mul_i32 s0, ttmp9, s4
	s_bfe_u32 s7, ttmp6, 0x40004
	s_mul_i32 s1, s5, s6
	s_add_co_i32 s3, s3, s0
	s_add_co_i32 s7, s7, s1
	v_and_b32_e32 v2, 0x3ff, v0
	v_bfe_u32 v78, v0, 10, 10
	s_wait_kmcnt 0x0
	s_add_co_i32 s0, s10, -1
	s_delay_alu instid0(SALU_CYCLE_1) | instskip(NEXT) | instid1(SALU_CYCLE_1)
	s_ashr_i32 s1, s0, 31
	s_lshr_b32 s1, s1, 27
	s_delay_alu instid0(SALU_CYCLE_1)
	s_add_co_i32 s4, s0, s1
	s_lshl_b64 s[0:1], s[42:43], 4
	s_ashr_i32 s33, s4, 5
	s_cmp_eq_u32 s2, 0
	s_add_nc_u64 s[40:41], s[40:41], s[0:1]
	s_cselect_b32 s2, ttmp9, s3
	s_cselect_b32 s54, s5, s7
	v_lshl_add_u32 v24, s2, 5, v2
	v_lshlrev_b32_e32 v79, 9, v78
	s_cmp_le_i32 s54, s33
	s_mov_b32 s2, s9
	s_cselect_b32 s55, -1, 0
	v_dual_ashrrev_i32 v25, 31, v24 :: v_dual_lshlrev_b32 v0, 4, v2
	s_cmp_eq_u32 s8, 0x84
	s_mov_b32 s42, s10
	s_cselect_b32 s56, -1, 0
	s_ashr_i32 s3, s9, 31
	v_or_b32_e32 v81, 0x4000, v0
	s_lshl_b32 s6, s54, 5
	s_delay_alu instid0(SALU_CYCLE_1) | instskip(SKIP_1) | instid1(VALU_DEP_2)
	v_dual_add_nc_u32 v26, 16, v24 :: v_dual_add_nc_u32 v87, s6, v2
	s_lshl_b64 s[4:5], s[26:27], 4
	v_dual_add_nc_u32 v82, v81, v79 :: v_dual_add_nc_u32 v80, v79, v0
	s_delay_alu instid0(VALU_DEP_2) | instskip(SKIP_2) | instid1(VALU_DEP_3)
	v_ashrrev_i32_e32 v27, 31, v26
	v_sub_nc_u64_e32 v[0:1], s[2:3], v[24:25]
	s_add_nc_u64 s[4:5], s[24:25], s[4:5]
	v_add_nc_u32_e32 v84, 0x100, v82
	v_lshl_add_u64 v[28:29], v[24:25], 4, s[4:5]
	s_lshl_b64 s[4:5], s[18:19], 4
	v_add_nc_u32_e32 v83, 0x2100, v80
	v_add_nc_u32_e32 v85, 0x2000, v82
	v_cmp_gt_i64_e64 s0, 1, v[0:1]
	v_cmp_gt_i64_e64 s1, 17, v[0:1]
	v_add_nc_u32_e32 v86, 0x2100, v82
	v_cmp_gt_i32_e64 s2, s9, v24
	v_cmp_gt_i32_e64 s3, s9, v26
	v_dual_mov_b32 v1, 0x3ff00000 :: v_dual_add_nc_u32 v88, s6, v78
	v_mov_b32_e32 v0, 0
	s_ashr_i32 s43, s10, 31
	s_add_nc_u64 s[4:5], s[16:17], s[4:5]
	s_lshl_b64 s[46:47], s[36:37], 9
	s_add_nc_u64 s[48:49], s[42:43], -16
	s_lshl_b64 s[24:25], s[36:37], 4
	s_lshl_b64 s[18:19], s[38:39], 4
	s_add_nc_u64 s[16:17], s[4:5], 0x100
	s_lshl_b64 s[22:23], s[22:23], 4
	s_lshl_b64 s[26:27], s[20:21], 4
	s_branch .LBB120_4
.LBB120_2:                              ;   in Loop: Header=BB120_4 Depth=1
	s_add_co_i32 s34, s34, 0x10000
	s_delay_alu instid0(SALU_CYCLE_1)
	s_cmp_ge_u32 s34, s11
	s_cselect_b32 s4, -1, 0
.LBB120_3:                              ;   in Loop: Header=BB120_4 Depth=1
	s_delay_alu instid0(SALU_CYCLE_1)
	s_and_b32 vcc_lo, exec_lo, s4
	s_cbranch_vccnz .LBB120_68
.LBB120_4:                              ; =>This Loop Header: Depth=1
                                        ;     Child Loop BB120_8 Depth 2
                                        ;       Child Loop BB120_11 Depth 3
	s_mul_u64 s[4:5], s[14:15], s[34:35]
	s_delay_alu instid0(SALU_CYCLE_1) | instskip(NEXT) | instid1(SALU_CYCLE_1)
	s_lshl_b64 s[4:5], s[4:5], 4
	s_add_nc_u64 s[4:5], s[12:13], s[4:5]
	global_load_b128 v[4:7], v0, s[4:5]
	s_wait_loadcnt 0x0
	v_cmp_eq_f64_e32 vcc_lo, 0, v[4:5]
	s_wait_xcnt 0x0
	v_cmp_eq_f64_e64 s4, 0, v[6:7]
	s_and_b32 s4, vcc_lo, s4
	s_delay_alu instid0(SALU_CYCLE_1)
	s_and_b32 vcc_lo, exec_lo, s4
	s_mov_b32 s4, -1
	s_cbranch_vccnz .LBB120_3
; %bb.5:                                ;   in Loop: Header=BB120_4 Depth=1
	s_and_not1_b32 vcc_lo, exec_lo, s55
	s_cbranch_vccnz .LBB120_2
; %bb.6:                                ;   in Loop: Header=BB120_4 Depth=1
	s_load_b32 s57, s[44:45], 0x4
	v_mad_nc_u64_u32 v[30:31], s18, s34, v[28:29]
	s_mul_u64 s[6:7], s[30:31], s[34:35]
	v_dual_mov_b32 v32, v88 :: v_dual_mov_b32 v34, v87
	s_mul_u64 s[4:5], s[22:23], s[34:35]
	s_lshl_b64 s[6:7], s[6:7], 4
	s_add_nc_u64 s[38:39], s[16:17], s[4:5]
	s_add_nc_u64 s[50:51], s[40:41], s[6:7]
	s_mov_b32 s59, s54
	s_delay_alu instid0(VALU_DEP_2)
	v_mad_u32 v31, s19, s34, v31
	s_wait_kmcnt 0x0
	s_lshl_b32 s58, s57, 5
	s_branch .LBB120_8
.LBB120_7:                              ;   in Loop: Header=BB120_8 Depth=2
	s_wait_xcnt 0x0
	s_or_b32 exec_lo, exec_lo, s4
	v_dual_add_nc_u32 v34, s58, v34 :: v_dual_add_nc_u32 v32, s58, v32
	s_add_co_i32 s59, s57, s59
	s_delay_alu instid0(SALU_CYCLE_1)
	s_cmp_gt_i32 s59, s33
	s_cbranch_scc1 .LBB120_2
.LBB120_8:                              ;   Parent Loop BB120_4 Depth=1
                                        ; =>  This Loop Header: Depth=2
                                        ;       Child Loop BB120_11 Depth 3
	s_lshl_b32 s4, s59, 5
	s_delay_alu instid0(SALU_CYCLE_1) | instskip(SKIP_2) | instid1(SALU_CYCLE_1)
	v_dual_ashrrev_i32 v33, 31, v32 :: v_dual_add_nc_u32 v36, s4, v78
	v_ashrrev_i32_e32 v35, 31, v34
	s_sub_co_i32 s60, s10, s4
	s_cmp_lt_i32 s60, 1
	s_delay_alu instid0(VALU_DEP_2)
	v_ashrrev_i32_e32 v37, 31, v36
	s_cbranch_scc1 .LBB120_59
; %bb.9:                                ;   in Loop: Header=BB120_8 Depth=2
	v_lshl_add_u64 v[2:3], v[32:33], 4, 0x100
	v_mad_nc_u64_u32 v[38:39], s24, v32, 0x100
	v_mad_nc_u64_u32 v[40:41], s26, v32, s[38:39]
	v_sub_nc_u64_e32 v[46:47], v[32:33], v[34:35]
	v_add_nc_u64_e32 v[48:49], 16, v[36:37]
	v_mad_nc_u64_u32 v[42:43], s36, v2, 0x100
	v_mad_nc_u64_u32 v[44:45], s20, v2, s[38:39]
	v_lshlrev_b64_e32 v[50:51], 4, v[34:35]
	v_mov_b64_e32 v[62:63], 0
	v_mov_b64_e32 v[66:67], 0
	;; [unrolled: 1-line block ×3, first 2 shown]
	v_add_nc_u64_e32 v[52:53], 16, v[46:47]
	v_mad_u32 v8, s25, v32, v39
	v_mad_u32 v9, s27, v32, v41
	v_add_nc_u64_e32 v[54:55], -16, v[46:47]
	v_mov_b64_e32 v[68:69], 0
	v_mad_u32 v10, s37, v2, v43
	v_mad_u32 v2, s21, v2, v45
	v_mov_b64_e32 v[22:23], 0
	v_mov_b64_e32 v[20:21], 0
	;; [unrolled: 1-line block ×5, first 2 shown]
	v_mad_u32 v39, s24, v33, v8
	v_mad_u32 v41, s26, v33, v9
	v_cmp_le_i32_e64 s4, s10, v36
	s_mov_b64 s[52:53], 0
	v_mad_u32 v43, s36, v3, v10
	v_mad_u32 v45, s20, v3, v2
	v_cmp_le_i64_e32 vcc_lo, s[42:43], v[48:49]
	s_branch .LBB120_11
.LBB120_10:                             ;   in Loop: Header=BB120_11 Depth=3
	s_or_b32 exec_lo, exec_lo, s5
	s_wait_dscnt 0x0
	s_barrier_signal -1
	s_barrier_wait -1
	ds_load_b128 v[70:73], v79
	ds_load_b128 v[16:19], v79 offset:16
	ds_load_b128 v[12:15], v79 offset:32
	;; [unrolled: 1-line block ×3, first 2 shown]
	ds_load_b128 v[90:93], v81
	ds_load_b128 v[94:97], v81 offset:256
	v_add_nc_u64_e32 v[56:57], s[46:47], v[56:57]
	v_add_nc_u64_e32 v[44:45], 0x200, v[44:45]
	;; [unrolled: 1-line block ×3, first 2 shown]
	s_add_nc_u64 s[52:53], s[52:53], 32
	s_delay_alu instid0(SALU_CYCLE_1) | instskip(SKIP_3) | instid1(VALU_DEP_2)
	s_cmp_ge_i32 s52, s60
	s_wait_dscnt 0x1
	v_mul_f64_e32 v[2:3], v[72:73], v[92:93]
	v_mul_f64_e32 v[76:77], v[70:71], v[92:93]
	v_fma_f64 v[2:3], v[70:71], v[90:91], -v[2:3]
	s_delay_alu instid0(VALU_DEP_2) | instskip(NEXT) | instid1(VALU_DEP_2)
	v_fmac_f64_e32 v[76:77], v[72:73], v[90:91]
	v_add_f64_e32 v[74:75], v[58:59], v[2:3]
	s_wait_dscnt 0x0
	v_mul_f64_e32 v[2:3], v[72:73], v[96:97]
	v_mul_f64_e32 v[58:59], v[70:71], v[96:97]
	s_delay_alu instid0(VALU_DEP_4) | instskip(NEXT) | instid1(VALU_DEP_3)
	v_add_f64_e32 v[76:77], v[76:77], v[60:61]
	v_fma_f64 v[2:3], v[70:71], v[94:95], -v[2:3]
	s_delay_alu instid0(VALU_DEP_3) | instskip(NEXT) | instid1(VALU_DEP_2)
	v_fmac_f64_e32 v[58:59], v[72:73], v[94:95]
	v_add_f64_e32 v[70:71], v[20:21], v[2:3]
	s_delay_alu instid0(VALU_DEP_2) | instskip(SKIP_4) | instid1(VALU_DEP_2)
	v_add_f64_e32 v[72:73], v[58:59], v[22:23]
	ds_load_b128 v[20:23], v79 offset:8192
	s_wait_dscnt 0x0
	v_mul_f64_e32 v[2:3], v[22:23], v[92:93]
	v_mul_f64_e32 v[58:59], v[20:21], v[92:93]
	v_fma_f64 v[2:3], v[20:21], v[90:91], -v[2:3]
	s_delay_alu instid0(VALU_DEP_2) | instskip(NEXT) | instid1(VALU_DEP_2)
	v_fmac_f64_e32 v[58:59], v[22:23], v[90:91]
	v_add_f64_e32 v[60:61], v[68:69], v[2:3]
	v_mul_f64_e32 v[2:3], v[22:23], v[96:97]
	s_delay_alu instid0(VALU_DEP_3) | instskip(NEXT) | instid1(VALU_DEP_2)
	v_add_f64_e32 v[64:65], v[58:59], v[64:65]
	v_fma_f64 v[2:3], v[20:21], v[94:95], -v[2:3]
	v_mul_f64_e32 v[20:21], v[20:21], v[96:97]
	s_delay_alu instid0(VALU_DEP_2) | instskip(NEXT) | instid1(VALU_DEP_2)
	v_add_f64_e32 v[2:3], v[66:67], v[2:3]
	v_fmac_f64_e32 v[20:21], v[22:23], v[94:95]
	s_delay_alu instid0(VALU_DEP_1) | instskip(SKIP_4) | instid1(VALU_DEP_2)
	v_add_f64_e32 v[58:59], v[20:21], v[62:63]
	ds_load_b128 v[20:23], v81 offset:512
	s_wait_dscnt 0x0
	v_mul_f64_e32 v[62:63], v[18:19], v[22:23]
	v_mul_f64_e32 v[66:67], v[16:17], v[22:23]
	v_fma_f64 v[62:63], v[16:17], v[20:21], -v[62:63]
	s_delay_alu instid0(VALU_DEP_2) | instskip(NEXT) | instid1(VALU_DEP_2)
	v_fmac_f64_e32 v[66:67], v[18:19], v[20:21]
	v_add_f64_e32 v[62:63], v[74:75], v[62:63]
	s_delay_alu instid0(VALU_DEP_2) | instskip(SKIP_4) | instid1(VALU_DEP_2)
	v_add_f64_e32 v[66:67], v[66:67], v[76:77]
	ds_load_b128 v[74:77], v81 offset:768
	s_wait_dscnt 0x0
	v_mul_f64_e32 v[68:69], v[18:19], v[76:77]
	v_mul_f64_e32 v[90:91], v[16:17], v[76:77]
	v_fma_f64 v[68:69], v[16:17], v[74:75], -v[68:69]
	s_delay_alu instid0(VALU_DEP_2) | instskip(NEXT) | instid1(VALU_DEP_2)
	v_fmac_f64_e32 v[90:91], v[18:19], v[74:75]
	v_add_f64_e32 v[16:17], v[70:71], v[68:69]
	ds_load_b128 v[68:71], v79 offset:8208
	v_add_f64_e32 v[18:19], v[90:91], v[72:73]
	s_wait_dscnt 0x0
	v_mul_f64_e32 v[72:73], v[70:71], v[22:23]
	v_mul_f64_e32 v[22:23], v[68:69], v[22:23]
	s_delay_alu instid0(VALU_DEP_2) | instskip(NEXT) | instid1(VALU_DEP_2)
	v_fma_f64 v[72:73], v[68:69], v[20:21], -v[72:73]
	v_fmac_f64_e32 v[22:23], v[70:71], v[20:21]
	s_delay_alu instid0(VALU_DEP_2) | instskip(NEXT) | instid1(VALU_DEP_2)
	v_add_f64_e32 v[20:21], v[60:61], v[72:73]
	v_add_f64_e32 v[22:23], v[22:23], v[64:65]
	v_mul_f64_e32 v[60:61], v[70:71], v[76:77]
	v_mul_f64_e32 v[64:65], v[68:69], v[76:77]
	s_delay_alu instid0(VALU_DEP_2) | instskip(NEXT) | instid1(VALU_DEP_2)
	v_fma_f64 v[60:61], v[68:69], v[74:75], -v[60:61]
	v_fmac_f64_e32 v[64:65], v[70:71], v[74:75]
	ds_load_b128 v[68:71], v81 offset:1024
	ds_load_b128 v[72:75], v81 offset:1280
	v_add_f64_e32 v[2:3], v[2:3], v[60:61]
	v_add_f64_e32 v[60:61], v[64:65], v[58:59]
	s_wait_dscnt 0x1
	v_mul_f64_e32 v[58:59], v[14:15], v[70:71]
	v_mul_f64_e32 v[64:65], v[12:13], v[70:71]
	s_delay_alu instid0(VALU_DEP_2) | instskip(NEXT) | instid1(VALU_DEP_2)
	v_fma_f64 v[58:59], v[12:13], v[68:69], -v[58:59]
	v_fmac_f64_e32 v[64:65], v[14:15], v[68:69]
	s_delay_alu instid0(VALU_DEP_2) | instskip(SKIP_2) | instid1(VALU_DEP_3)
	v_add_f64_e32 v[76:77], v[62:63], v[58:59]
	s_wait_dscnt 0x0
	v_mul_f64_e32 v[58:59], v[14:15], v[74:75]
	v_add_f64_e32 v[66:67], v[64:65], v[66:67]
	s_delay_alu instid0(VALU_DEP_2) | instskip(SKIP_1) | instid1(VALU_DEP_2)
	v_fma_f64 v[58:59], v[12:13], v[72:73], -v[58:59]
	v_mul_f64_e32 v[12:13], v[12:13], v[74:75]
	v_add_f64_e32 v[90:91], v[16:17], v[58:59]
	s_delay_alu instid0(VALU_DEP_2) | instskip(NEXT) | instid1(VALU_DEP_1)
	v_fmac_f64_e32 v[12:13], v[14:15], v[72:73]
	v_add_f64_e32 v[92:93], v[12:13], v[18:19]
	ds_load_b128 v[12:15], v79 offset:8224
	s_wait_dscnt 0x0
	v_mul_f64_e32 v[16:17], v[14:15], v[70:71]
	v_mul_f64_e32 v[18:19], v[12:13], v[70:71]
	s_delay_alu instid0(VALU_DEP_2) | instskip(NEXT) | instid1(VALU_DEP_2)
	v_fma_f64 v[16:17], v[12:13], v[68:69], -v[16:17]
	v_fmac_f64_e32 v[18:19], v[14:15], v[68:69]
	s_delay_alu instid0(VALU_DEP_2) | instskip(SKIP_1) | instid1(VALU_DEP_3)
	v_add_f64_e32 v[62:63], v[20:21], v[16:17]
	v_mul_f64_e32 v[16:17], v[14:15], v[74:75]
	v_add_f64_e32 v[64:65], v[18:19], v[22:23]
	s_delay_alu instid0(VALU_DEP_2) | instskip(SKIP_1) | instid1(VALU_DEP_2)
	v_fma_f64 v[16:17], v[12:13], v[72:73], -v[16:17]
	v_mul_f64_e32 v[12:13], v[12:13], v[74:75]
	v_add_f64_e32 v[58:59], v[2:3], v[16:17]
	s_delay_alu instid0(VALU_DEP_2)
	v_fmac_f64_e32 v[12:13], v[14:15], v[72:73]
	ds_load_b128 v[16:19], v81 offset:1536
	s_wait_dscnt 0x0
	v_mul_f64_e32 v[2:3], v[10:11], v[18:19]
	v_add_f64_e32 v[60:61], v[12:13], v[60:61]
	v_mul_f64_e32 v[12:13], v[8:9], v[18:19]
	s_delay_alu instid0(VALU_DEP_3) | instskip(NEXT) | instid1(VALU_DEP_2)
	v_fma_f64 v[2:3], v[8:9], v[16:17], -v[2:3]
	v_fmac_f64_e32 v[12:13], v[10:11], v[16:17]
	s_delay_alu instid0(VALU_DEP_2) | instskip(NEXT) | instid1(VALU_DEP_2)
	v_add_f64_e32 v[20:21], v[76:77], v[2:3]
	v_add_f64_e32 v[22:23], v[12:13], v[66:67]
	ds_load_b128 v[12:15], v81 offset:1792
	ds_load_b128 v[66:69], v79 offset:8240
	s_wait_dscnt 0x1
	v_mul_f64_e32 v[2:3], v[10:11], v[14:15]
	s_delay_alu instid0(VALU_DEP_1) | instskip(SKIP_1) | instid1(VALU_DEP_2)
	v_fma_f64 v[2:3], v[8:9], v[12:13], -v[2:3]
	v_mul_f64_e32 v[8:9], v[8:9], v[14:15]
	v_add_f64_e32 v[2:3], v[90:91], v[2:3]
	s_delay_alu instid0(VALU_DEP_2) | instskip(SKIP_3) | instid1(VALU_DEP_3)
	v_fmac_f64_e32 v[8:9], v[10:11], v[12:13]
	s_wait_dscnt 0x0
	v_mul_f64_e32 v[10:11], v[68:69], v[18:19]
	v_mul_f64_e32 v[18:19], v[66:67], v[18:19]
	v_add_f64_e32 v[8:9], v[8:9], v[92:93]
	s_delay_alu instid0(VALU_DEP_3) | instskip(NEXT) | instid1(VALU_DEP_3)
	v_fma_f64 v[10:11], v[66:67], v[16:17], -v[10:11]
	v_fmac_f64_e32 v[18:19], v[68:69], v[16:17]
	s_delay_alu instid0(VALU_DEP_2) | instskip(NEXT) | instid1(VALU_DEP_2)
	v_add_f64_e32 v[10:11], v[62:63], v[10:11]
	v_add_f64_e32 v[16:17], v[18:19], v[64:65]
	v_mul_f64_e32 v[18:19], v[68:69], v[14:15]
	v_mul_f64_e32 v[14:15], v[66:67], v[14:15]
	s_delay_alu instid0(VALU_DEP_2) | instskip(NEXT) | instid1(VALU_DEP_2)
	v_fma_f64 v[18:19], v[66:67], v[12:13], -v[18:19]
	v_fmac_f64_e32 v[14:15], v[68:69], v[12:13]
	s_delay_alu instid0(VALU_DEP_2) | instskip(NEXT) | instid1(VALU_DEP_2)
	v_add_f64_e32 v[70:71], v[58:59], v[18:19]
	v_add_f64_e32 v[72:73], v[14:15], v[60:61]
	ds_load_b128 v[12:15], v79 offset:64
	ds_load_b128 v[58:61], v81 offset:2048
	;; [unrolled: 1-line block ×3, first 2 shown]
	s_wait_dscnt 0x1
	v_mul_f64_e32 v[18:19], v[14:15], v[60:61]
	v_mul_f64_e32 v[62:63], v[12:13], v[60:61]
	s_delay_alu instid0(VALU_DEP_2) | instskip(NEXT) | instid1(VALU_DEP_2)
	v_fma_f64 v[18:19], v[12:13], v[58:59], -v[18:19]
	v_fmac_f64_e32 v[62:63], v[14:15], v[58:59]
	s_delay_alu instid0(VALU_DEP_2) | instskip(NEXT) | instid1(VALU_DEP_2)
	v_add_f64_e32 v[18:19], v[20:21], v[18:19]
	v_add_f64_e32 v[20:21], v[62:63], v[22:23]
	ds_load_b128 v[62:65], v81 offset:2304
	s_wait_dscnt 0x0
	v_mul_f64_e32 v[22:23], v[14:15], v[64:65]
	s_delay_alu instid0(VALU_DEP_1) | instskip(SKIP_1) | instid1(VALU_DEP_2)
	v_fma_f64 v[22:23], v[12:13], v[62:63], -v[22:23]
	v_mul_f64_e32 v[12:13], v[12:13], v[64:65]
	v_add_f64_e32 v[2:3], v[2:3], v[22:23]
	s_delay_alu instid0(VALU_DEP_2) | instskip(SKIP_1) | instid1(VALU_DEP_2)
	v_fmac_f64_e32 v[12:13], v[14:15], v[62:63]
	v_mul_f64_e32 v[22:23], v[66:67], v[60:61]
	v_add_f64_e32 v[8:9], v[12:13], v[8:9]
	v_mul_f64_e32 v[12:13], v[68:69], v[60:61]
	s_delay_alu instid0(VALU_DEP_3) | instskip(NEXT) | instid1(VALU_DEP_2)
	v_fmac_f64_e32 v[22:23], v[68:69], v[58:59]
	v_fma_f64 v[12:13], v[66:67], v[58:59], -v[12:13]
	s_delay_alu instid0(VALU_DEP_2) | instskip(NEXT) | instid1(VALU_DEP_2)
	v_add_f64_e32 v[16:17], v[22:23], v[16:17]
	v_add_f64_e32 v[14:15], v[10:11], v[12:13]
	v_mul_f64_e32 v[10:11], v[68:69], v[64:65]
	v_mul_f64_e32 v[12:13], v[66:67], v[64:65]
	s_delay_alu instid0(VALU_DEP_2) | instskip(NEXT) | instid1(VALU_DEP_2)
	v_fma_f64 v[10:11], v[66:67], v[62:63], -v[10:11]
	v_fmac_f64_e32 v[12:13], v[68:69], v[62:63]
	ds_load_b128 v[58:61], v79 offset:80
	ds_load_b128 v[62:65], v81 offset:2560
	s_wait_dscnt 0x0
	v_mul_f64_e32 v[66:67], v[58:59], v[64:65]
	v_mul_f64_e32 v[22:23], v[60:61], v[64:65]
	v_add_f64_e32 v[10:11], v[70:71], v[10:11]
	v_add_f64_e32 v[12:13], v[12:13], v[72:73]
	s_delay_alu instid0(VALU_DEP_4) | instskip(NEXT) | instid1(VALU_DEP_4)
	v_fmac_f64_e32 v[66:67], v[60:61], v[62:63]
	v_fma_f64 v[22:23], v[58:59], v[62:63], -v[22:23]
	s_delay_alu instid0(VALU_DEP_2) | instskip(SKIP_4) | instid1(VALU_DEP_1)
	v_add_f64_e32 v[20:21], v[66:67], v[20:21]
	ds_load_b128 v[66:69], v81 offset:2816
	v_add_f64_e32 v[18:19], v[18:19], v[22:23]
	s_wait_dscnt 0x0
	v_mul_f64_e32 v[22:23], v[60:61], v[68:69]
	v_fma_f64 v[22:23], v[58:59], v[66:67], -v[22:23]
	v_mul_f64_e32 v[58:59], v[58:59], v[68:69]
	s_delay_alu instid0(VALU_DEP_2) | instskip(NEXT) | instid1(VALU_DEP_2)
	v_add_f64_e32 v[2:3], v[2:3], v[22:23]
	v_fmac_f64_e32 v[58:59], v[60:61], v[66:67]
	s_delay_alu instid0(VALU_DEP_1) | instskip(SKIP_4) | instid1(VALU_DEP_2)
	v_add_f64_e32 v[8:9], v[58:59], v[8:9]
	ds_load_b128 v[58:61], v79 offset:8272
	s_wait_dscnt 0x0
	v_mul_f64_e32 v[22:23], v[60:61], v[64:65]
	v_mul_f64_e32 v[64:65], v[58:59], v[64:65]
	v_fma_f64 v[22:23], v[58:59], v[62:63], -v[22:23]
	s_delay_alu instid0(VALU_DEP_2) | instskip(NEXT) | instid1(VALU_DEP_2)
	v_fmac_f64_e32 v[64:65], v[60:61], v[62:63]
	v_add_f64_e32 v[14:15], v[14:15], v[22:23]
	v_mul_f64_e32 v[22:23], v[60:61], v[68:69]
	s_delay_alu instid0(VALU_DEP_3) | instskip(NEXT) | instid1(VALU_DEP_2)
	v_add_f64_e32 v[16:17], v[64:65], v[16:17]
	v_fma_f64 v[22:23], v[58:59], v[66:67], -v[22:23]
	v_mul_f64_e32 v[58:59], v[58:59], v[68:69]
	s_delay_alu instid0(VALU_DEP_2) | instskip(NEXT) | instid1(VALU_DEP_2)
	v_add_f64_e32 v[22:23], v[10:11], v[22:23]
	v_fmac_f64_e32 v[58:59], v[60:61], v[66:67]
	s_delay_alu instid0(VALU_DEP_1)
	v_add_f64_e32 v[66:67], v[58:59], v[12:13]
	ds_load_b128 v[10:13], v79 offset:96
	ds_load_b128 v[58:61], v81 offset:3072
	s_wait_dscnt 0x0
	v_mul_f64_e32 v[62:63], v[12:13], v[60:61]
	v_mul_f64_e32 v[64:65], v[10:11], v[60:61]
	s_delay_alu instid0(VALU_DEP_2) | instskip(NEXT) | instid1(VALU_DEP_2)
	v_fma_f64 v[62:63], v[10:11], v[58:59], -v[62:63]
	v_fmac_f64_e32 v[64:65], v[12:13], v[58:59]
	s_delay_alu instid0(VALU_DEP_2) | instskip(NEXT) | instid1(VALU_DEP_2)
	v_add_f64_e32 v[18:19], v[18:19], v[62:63]
	v_add_f64_e32 v[20:21], v[64:65], v[20:21]
	ds_load_b128 v[62:65], v81 offset:3328
	s_wait_dscnt 0x0
	v_mul_f64_e32 v[68:69], v[12:13], v[64:65]
	s_delay_alu instid0(VALU_DEP_1) | instskip(SKIP_1) | instid1(VALU_DEP_2)
	v_fma_f64 v[68:69], v[10:11], v[62:63], -v[68:69]
	v_mul_f64_e32 v[10:11], v[10:11], v[64:65]
	v_add_f64_e32 v[2:3], v[2:3], v[68:69]
	s_delay_alu instid0(VALU_DEP_2) | instskip(NEXT) | instid1(VALU_DEP_1)
	v_fmac_f64_e32 v[10:11], v[12:13], v[62:63]
	v_add_f64_e32 v[70:71], v[10:11], v[8:9]
	ds_load_b128 v[8:11], v79 offset:8288
	s_wait_dscnt 0x0
	v_mul_f64_e32 v[12:13], v[10:11], v[60:61]
	v_mul_f64_e32 v[60:61], v[8:9], v[60:61]
	s_delay_alu instid0(VALU_DEP_2) | instskip(NEXT) | instid1(VALU_DEP_2)
	v_fma_f64 v[12:13], v[8:9], v[58:59], -v[12:13]
	v_fmac_f64_e32 v[60:61], v[10:11], v[58:59]
	s_delay_alu instid0(VALU_DEP_2) | instskip(SKIP_1) | instid1(VALU_DEP_3)
	v_add_f64_e32 v[14:15], v[14:15], v[12:13]
	v_mul_f64_e32 v[12:13], v[10:11], v[64:65]
	v_add_f64_e32 v[16:17], v[60:61], v[16:17]
	s_delay_alu instid0(VALU_DEP_2) | instskip(SKIP_1) | instid1(VALU_DEP_1)
	v_fma_f64 v[12:13], v[8:9], v[62:63], -v[12:13]
	v_mul_f64_e32 v[8:9], v[8:9], v[64:65]
	v_fmac_f64_e32 v[8:9], v[10:11], v[62:63]
	ds_load_b128 v[58:61], v79 offset:112
	ds_load_b128 v[62:65], v81 offset:3584
	v_add_f64_e32 v[10:11], v[22:23], v[12:13]
	s_wait_dscnt 0x0
	v_mul_f64_e32 v[22:23], v[58:59], v[64:65]
	v_add_f64_e32 v[12:13], v[8:9], v[66:67]
	v_mul_f64_e32 v[8:9], v[60:61], v[64:65]
	ds_load_b128 v[66:69], v81 offset:3840
	v_fmac_f64_e32 v[22:23], v[60:61], v[62:63]
	v_fma_f64 v[8:9], v[58:59], v[62:63], -v[8:9]
	s_delay_alu instid0(VALU_DEP_2) | instskip(SKIP_2) | instid1(VALU_DEP_3)
	v_add_f64_e32 v[20:21], v[22:23], v[20:21]
	s_wait_dscnt 0x0
	v_mul_f64_e32 v[22:23], v[58:59], v[68:69]
	v_add_f64_e32 v[18:19], v[18:19], v[8:9]
	v_mul_f64_e32 v[8:9], v[60:61], v[68:69]
	s_delay_alu instid0(VALU_DEP_3) | instskip(NEXT) | instid1(VALU_DEP_2)
	v_fmac_f64_e32 v[22:23], v[60:61], v[66:67]
	v_fma_f64 v[8:9], v[58:59], v[66:67], -v[8:9]
	ds_load_b128 v[58:61], v79 offset:8304
	v_add_f64_e32 v[2:3], v[2:3], v[8:9]
	v_add_f64_e32 v[8:9], v[22:23], v[70:71]
	s_wait_dscnt 0x0
	v_mul_f64_e32 v[22:23], v[60:61], v[64:65]
	v_mul_f64_e32 v[64:65], v[58:59], v[64:65]
	s_delay_alu instid0(VALU_DEP_2) | instskip(NEXT) | instid1(VALU_DEP_2)
	v_fma_f64 v[22:23], v[58:59], v[62:63], -v[22:23]
	v_fmac_f64_e32 v[64:65], v[60:61], v[62:63]
	s_delay_alu instid0(VALU_DEP_2) | instskip(SKIP_1) | instid1(VALU_DEP_3)
	v_add_f64_e32 v[14:15], v[14:15], v[22:23]
	v_mul_f64_e32 v[22:23], v[60:61], v[68:69]
	v_add_f64_e32 v[16:17], v[64:65], v[16:17]
	s_delay_alu instid0(VALU_DEP_2) | instskip(SKIP_1) | instid1(VALU_DEP_2)
	v_fma_f64 v[22:23], v[58:59], v[66:67], -v[22:23]
	v_mul_f64_e32 v[58:59], v[58:59], v[68:69]
	v_add_f64_e32 v[22:23], v[10:11], v[22:23]
	s_delay_alu instid0(VALU_DEP_2) | instskip(NEXT) | instid1(VALU_DEP_1)
	v_fmac_f64_e32 v[58:59], v[60:61], v[66:67]
	v_add_f64_e32 v[66:67], v[58:59], v[12:13]
	ds_load_b128 v[10:13], v79 offset:128
	ds_load_b128 v[58:61], v81 offset:4096
	s_wait_dscnt 0x0
	v_mul_f64_e32 v[62:63], v[12:13], v[60:61]
	v_mul_f64_e32 v[64:65], v[10:11], v[60:61]
	s_delay_alu instid0(VALU_DEP_2) | instskip(NEXT) | instid1(VALU_DEP_2)
	v_fma_f64 v[62:63], v[10:11], v[58:59], -v[62:63]
	v_fmac_f64_e32 v[64:65], v[12:13], v[58:59]
	s_delay_alu instid0(VALU_DEP_2) | instskip(NEXT) | instid1(VALU_DEP_2)
	v_add_f64_e32 v[18:19], v[18:19], v[62:63]
	v_add_f64_e32 v[20:21], v[64:65], v[20:21]
	ds_load_b128 v[62:65], v81 offset:4352
	s_wait_dscnt 0x0
	v_mul_f64_e32 v[68:69], v[12:13], v[64:65]
	s_delay_alu instid0(VALU_DEP_1) | instskip(SKIP_1) | instid1(VALU_DEP_2)
	v_fma_f64 v[68:69], v[10:11], v[62:63], -v[68:69]
	v_mul_f64_e32 v[10:11], v[10:11], v[64:65]
	v_add_f64_e32 v[2:3], v[2:3], v[68:69]
	s_delay_alu instid0(VALU_DEP_2) | instskip(NEXT) | instid1(VALU_DEP_1)
	v_fmac_f64_e32 v[10:11], v[12:13], v[62:63]
	v_add_f64_e32 v[70:71], v[10:11], v[8:9]
	ds_load_b128 v[8:11], v79 offset:8320
	s_wait_dscnt 0x0
	v_mul_f64_e32 v[12:13], v[10:11], v[60:61]
	v_mul_f64_e32 v[60:61], v[8:9], v[60:61]
	s_delay_alu instid0(VALU_DEP_2) | instskip(NEXT) | instid1(VALU_DEP_2)
	v_fma_f64 v[12:13], v[8:9], v[58:59], -v[12:13]
	v_fmac_f64_e32 v[60:61], v[10:11], v[58:59]
	s_delay_alu instid0(VALU_DEP_2) | instskip(SKIP_1) | instid1(VALU_DEP_3)
	v_add_f64_e32 v[14:15], v[14:15], v[12:13]
	v_mul_f64_e32 v[12:13], v[10:11], v[64:65]
	v_add_f64_e32 v[16:17], v[60:61], v[16:17]
	s_delay_alu instid0(VALU_DEP_2) | instskip(SKIP_1) | instid1(VALU_DEP_1)
	v_fma_f64 v[12:13], v[8:9], v[62:63], -v[12:13]
	v_mul_f64_e32 v[8:9], v[8:9], v[64:65]
	v_fmac_f64_e32 v[8:9], v[10:11], v[62:63]
	ds_load_b128 v[58:61], v79 offset:144
	ds_load_b128 v[62:65], v81 offset:4608
	v_add_f64_e32 v[10:11], v[22:23], v[12:13]
	s_wait_dscnt 0x0
	v_mul_f64_e32 v[22:23], v[58:59], v[64:65]
	v_add_f64_e32 v[12:13], v[8:9], v[66:67]
	v_mul_f64_e32 v[8:9], v[60:61], v[64:65]
	ds_load_b128 v[66:69], v81 offset:4864
	v_fmac_f64_e32 v[22:23], v[60:61], v[62:63]
	v_fma_f64 v[8:9], v[58:59], v[62:63], -v[8:9]
	s_delay_alu instid0(VALU_DEP_2) | instskip(SKIP_2) | instid1(VALU_DEP_3)
	v_add_f64_e32 v[20:21], v[22:23], v[20:21]
	s_wait_dscnt 0x0
	v_mul_f64_e32 v[22:23], v[58:59], v[68:69]
	v_add_f64_e32 v[18:19], v[18:19], v[8:9]
	v_mul_f64_e32 v[8:9], v[60:61], v[68:69]
	s_delay_alu instid0(VALU_DEP_3) | instskip(NEXT) | instid1(VALU_DEP_2)
	v_fmac_f64_e32 v[22:23], v[60:61], v[66:67]
	v_fma_f64 v[8:9], v[58:59], v[66:67], -v[8:9]
	ds_load_b128 v[58:61], v79 offset:8336
	v_add_f64_e32 v[2:3], v[2:3], v[8:9]
	v_add_f64_e32 v[8:9], v[22:23], v[70:71]
	s_wait_dscnt 0x0
	v_mul_f64_e32 v[22:23], v[60:61], v[64:65]
	v_mul_f64_e32 v[64:65], v[58:59], v[64:65]
	s_delay_alu instid0(VALU_DEP_2) | instskip(NEXT) | instid1(VALU_DEP_2)
	v_fma_f64 v[22:23], v[58:59], v[62:63], -v[22:23]
	v_fmac_f64_e32 v[64:65], v[60:61], v[62:63]
	s_delay_alu instid0(VALU_DEP_2) | instskip(SKIP_1) | instid1(VALU_DEP_3)
	v_add_f64_e32 v[14:15], v[14:15], v[22:23]
	v_mul_f64_e32 v[22:23], v[60:61], v[68:69]
	v_add_f64_e32 v[16:17], v[64:65], v[16:17]
	s_delay_alu instid0(VALU_DEP_2) | instskip(SKIP_1) | instid1(VALU_DEP_2)
	v_fma_f64 v[22:23], v[58:59], v[66:67], -v[22:23]
	v_mul_f64_e32 v[58:59], v[58:59], v[68:69]
	v_add_f64_e32 v[22:23], v[10:11], v[22:23]
	s_delay_alu instid0(VALU_DEP_2) | instskip(NEXT) | instid1(VALU_DEP_1)
	v_fmac_f64_e32 v[58:59], v[60:61], v[66:67]
	v_add_f64_e32 v[66:67], v[58:59], v[12:13]
	ds_load_b128 v[10:13], v79 offset:160
	ds_load_b128 v[58:61], v81 offset:5120
	s_wait_dscnt 0x0
	v_mul_f64_e32 v[62:63], v[12:13], v[60:61]
	v_mul_f64_e32 v[64:65], v[10:11], v[60:61]
	s_delay_alu instid0(VALU_DEP_2) | instskip(NEXT) | instid1(VALU_DEP_2)
	v_fma_f64 v[62:63], v[10:11], v[58:59], -v[62:63]
	v_fmac_f64_e32 v[64:65], v[12:13], v[58:59]
	s_delay_alu instid0(VALU_DEP_2) | instskip(NEXT) | instid1(VALU_DEP_2)
	v_add_f64_e32 v[18:19], v[18:19], v[62:63]
	v_add_f64_e32 v[20:21], v[64:65], v[20:21]
	ds_load_b128 v[62:65], v81 offset:5376
	s_wait_dscnt 0x0
	v_mul_f64_e32 v[68:69], v[12:13], v[64:65]
	s_delay_alu instid0(VALU_DEP_1) | instskip(SKIP_1) | instid1(VALU_DEP_2)
	v_fma_f64 v[68:69], v[10:11], v[62:63], -v[68:69]
	v_mul_f64_e32 v[10:11], v[10:11], v[64:65]
	v_add_f64_e32 v[2:3], v[2:3], v[68:69]
	s_delay_alu instid0(VALU_DEP_2) | instskip(NEXT) | instid1(VALU_DEP_1)
	v_fmac_f64_e32 v[10:11], v[12:13], v[62:63]
	v_add_f64_e32 v[70:71], v[10:11], v[8:9]
	ds_load_b128 v[8:11], v79 offset:8352
	s_wait_dscnt 0x0
	v_mul_f64_e32 v[12:13], v[10:11], v[60:61]
	v_mul_f64_e32 v[60:61], v[8:9], v[60:61]
	s_delay_alu instid0(VALU_DEP_2) | instskip(NEXT) | instid1(VALU_DEP_2)
	v_fma_f64 v[12:13], v[8:9], v[58:59], -v[12:13]
	v_fmac_f64_e32 v[60:61], v[10:11], v[58:59]
	s_delay_alu instid0(VALU_DEP_2) | instskip(SKIP_1) | instid1(VALU_DEP_3)
	v_add_f64_e32 v[14:15], v[14:15], v[12:13]
	v_mul_f64_e32 v[12:13], v[10:11], v[64:65]
	v_add_f64_e32 v[16:17], v[60:61], v[16:17]
	s_delay_alu instid0(VALU_DEP_2) | instskip(SKIP_1) | instid1(VALU_DEP_1)
	v_fma_f64 v[12:13], v[8:9], v[62:63], -v[12:13]
	v_mul_f64_e32 v[8:9], v[8:9], v[64:65]
	v_fmac_f64_e32 v[8:9], v[10:11], v[62:63]
	ds_load_b128 v[58:61], v79 offset:176
	ds_load_b128 v[62:65], v81 offset:5632
	v_add_f64_e32 v[10:11], v[22:23], v[12:13]
	s_wait_dscnt 0x0
	v_mul_f64_e32 v[22:23], v[58:59], v[64:65]
	v_add_f64_e32 v[12:13], v[8:9], v[66:67]
	v_mul_f64_e32 v[8:9], v[60:61], v[64:65]
	ds_load_b128 v[66:69], v81 offset:5888
	v_fmac_f64_e32 v[22:23], v[60:61], v[62:63]
	v_fma_f64 v[8:9], v[58:59], v[62:63], -v[8:9]
	s_delay_alu instid0(VALU_DEP_2) | instskip(SKIP_2) | instid1(VALU_DEP_3)
	v_add_f64_e32 v[20:21], v[22:23], v[20:21]
	s_wait_dscnt 0x0
	v_mul_f64_e32 v[22:23], v[58:59], v[68:69]
	v_add_f64_e32 v[18:19], v[18:19], v[8:9]
	v_mul_f64_e32 v[8:9], v[60:61], v[68:69]
	s_delay_alu instid0(VALU_DEP_3) | instskip(NEXT) | instid1(VALU_DEP_2)
	v_fmac_f64_e32 v[22:23], v[60:61], v[66:67]
	v_fma_f64 v[8:9], v[58:59], v[66:67], -v[8:9]
	ds_load_b128 v[58:61], v79 offset:8368
	v_add_f64_e32 v[2:3], v[2:3], v[8:9]
	v_add_f64_e32 v[8:9], v[22:23], v[70:71]
	s_wait_dscnt 0x0
	v_mul_f64_e32 v[22:23], v[60:61], v[64:65]
	v_mul_f64_e32 v[64:65], v[58:59], v[64:65]
	s_delay_alu instid0(VALU_DEP_2) | instskip(NEXT) | instid1(VALU_DEP_2)
	v_fma_f64 v[22:23], v[58:59], v[62:63], -v[22:23]
	v_fmac_f64_e32 v[64:65], v[60:61], v[62:63]
	s_delay_alu instid0(VALU_DEP_2) | instskip(SKIP_1) | instid1(VALU_DEP_3)
	v_add_f64_e32 v[14:15], v[14:15], v[22:23]
	v_mul_f64_e32 v[22:23], v[60:61], v[68:69]
	v_add_f64_e32 v[16:17], v[64:65], v[16:17]
	s_delay_alu instid0(VALU_DEP_2) | instskip(SKIP_1) | instid1(VALU_DEP_2)
	v_fma_f64 v[22:23], v[58:59], v[66:67], -v[22:23]
	v_mul_f64_e32 v[58:59], v[58:59], v[68:69]
	v_add_f64_e32 v[22:23], v[10:11], v[22:23]
	s_delay_alu instid0(VALU_DEP_2) | instskip(NEXT) | instid1(VALU_DEP_1)
	v_fmac_f64_e32 v[58:59], v[60:61], v[66:67]
	v_add_f64_e32 v[66:67], v[58:59], v[12:13]
	ds_load_b128 v[10:13], v79 offset:192
	ds_load_b128 v[58:61], v81 offset:6144
	s_wait_dscnt 0x0
	v_mul_f64_e32 v[62:63], v[12:13], v[60:61]
	v_mul_f64_e32 v[64:65], v[10:11], v[60:61]
	s_delay_alu instid0(VALU_DEP_2) | instskip(NEXT) | instid1(VALU_DEP_2)
	v_fma_f64 v[62:63], v[10:11], v[58:59], -v[62:63]
	v_fmac_f64_e32 v[64:65], v[12:13], v[58:59]
	s_delay_alu instid0(VALU_DEP_2) | instskip(NEXT) | instid1(VALU_DEP_2)
	v_add_f64_e32 v[18:19], v[18:19], v[62:63]
	v_add_f64_e32 v[20:21], v[64:65], v[20:21]
	ds_load_b128 v[62:65], v81 offset:6400
	s_wait_dscnt 0x0
	v_mul_f64_e32 v[68:69], v[12:13], v[64:65]
	s_delay_alu instid0(VALU_DEP_1) | instskip(SKIP_1) | instid1(VALU_DEP_2)
	v_fma_f64 v[68:69], v[10:11], v[62:63], -v[68:69]
	v_mul_f64_e32 v[10:11], v[10:11], v[64:65]
	v_add_f64_e32 v[2:3], v[2:3], v[68:69]
	s_delay_alu instid0(VALU_DEP_2) | instskip(NEXT) | instid1(VALU_DEP_1)
	v_fmac_f64_e32 v[10:11], v[12:13], v[62:63]
	v_add_f64_e32 v[70:71], v[10:11], v[8:9]
	ds_load_b128 v[8:11], v79 offset:8384
	s_wait_dscnt 0x0
	v_mul_f64_e32 v[12:13], v[10:11], v[60:61]
	v_mul_f64_e32 v[60:61], v[8:9], v[60:61]
	s_delay_alu instid0(VALU_DEP_2) | instskip(NEXT) | instid1(VALU_DEP_2)
	v_fma_f64 v[12:13], v[8:9], v[58:59], -v[12:13]
	v_fmac_f64_e32 v[60:61], v[10:11], v[58:59]
	s_delay_alu instid0(VALU_DEP_2) | instskip(SKIP_1) | instid1(VALU_DEP_3)
	v_add_f64_e32 v[14:15], v[14:15], v[12:13]
	v_mul_f64_e32 v[12:13], v[10:11], v[64:65]
	v_add_f64_e32 v[16:17], v[60:61], v[16:17]
	s_delay_alu instid0(VALU_DEP_2) | instskip(SKIP_1) | instid1(VALU_DEP_1)
	v_fma_f64 v[12:13], v[8:9], v[62:63], -v[12:13]
	v_mul_f64_e32 v[8:9], v[8:9], v[64:65]
	v_fmac_f64_e32 v[8:9], v[10:11], v[62:63]
	ds_load_b128 v[58:61], v79 offset:208
	ds_load_b128 v[62:65], v81 offset:6656
	v_add_f64_e32 v[10:11], v[22:23], v[12:13]
	s_wait_dscnt 0x0
	v_mul_f64_e32 v[22:23], v[58:59], v[64:65]
	v_add_f64_e32 v[12:13], v[8:9], v[66:67]
	v_mul_f64_e32 v[8:9], v[60:61], v[64:65]
	ds_load_b128 v[66:69], v81 offset:6912
	v_fmac_f64_e32 v[22:23], v[60:61], v[62:63]
	v_fma_f64 v[8:9], v[58:59], v[62:63], -v[8:9]
	s_delay_alu instid0(VALU_DEP_2) | instskip(SKIP_2) | instid1(VALU_DEP_3)
	v_add_f64_e32 v[20:21], v[22:23], v[20:21]
	s_wait_dscnt 0x0
	v_mul_f64_e32 v[22:23], v[58:59], v[68:69]
	v_add_f64_e32 v[18:19], v[18:19], v[8:9]
	v_mul_f64_e32 v[8:9], v[60:61], v[68:69]
	s_delay_alu instid0(VALU_DEP_3) | instskip(NEXT) | instid1(VALU_DEP_2)
	v_fmac_f64_e32 v[22:23], v[60:61], v[66:67]
	v_fma_f64 v[8:9], v[58:59], v[66:67], -v[8:9]
	ds_load_b128 v[58:61], v79 offset:8400
	v_add_f64_e32 v[2:3], v[2:3], v[8:9]
	v_add_f64_e32 v[8:9], v[22:23], v[70:71]
	s_wait_dscnt 0x0
	v_mul_f64_e32 v[22:23], v[60:61], v[64:65]
	v_mul_f64_e32 v[64:65], v[58:59], v[64:65]
	s_delay_alu instid0(VALU_DEP_2) | instskip(NEXT) | instid1(VALU_DEP_2)
	v_fma_f64 v[22:23], v[58:59], v[62:63], -v[22:23]
	v_fmac_f64_e32 v[64:65], v[60:61], v[62:63]
	s_delay_alu instid0(VALU_DEP_2) | instskip(SKIP_1) | instid1(VALU_DEP_3)
	v_add_f64_e32 v[14:15], v[14:15], v[22:23]
	v_mul_f64_e32 v[22:23], v[60:61], v[68:69]
	v_add_f64_e32 v[16:17], v[64:65], v[16:17]
	s_delay_alu instid0(VALU_DEP_2) | instskip(SKIP_1) | instid1(VALU_DEP_2)
	v_fma_f64 v[22:23], v[58:59], v[66:67], -v[22:23]
	v_mul_f64_e32 v[58:59], v[58:59], v[68:69]
	v_add_f64_e32 v[22:23], v[10:11], v[22:23]
	s_delay_alu instid0(VALU_DEP_2) | instskip(NEXT) | instid1(VALU_DEP_1)
	v_fmac_f64_e32 v[58:59], v[60:61], v[66:67]
	v_add_f64_e32 v[66:67], v[58:59], v[12:13]
	ds_load_b128 v[10:13], v79 offset:224
	ds_load_b128 v[58:61], v81 offset:7168
	s_wait_dscnt 0x0
	v_mul_f64_e32 v[62:63], v[12:13], v[60:61]
	v_mul_f64_e32 v[64:65], v[10:11], v[60:61]
	s_delay_alu instid0(VALU_DEP_2) | instskip(NEXT) | instid1(VALU_DEP_2)
	v_fma_f64 v[62:63], v[10:11], v[58:59], -v[62:63]
	v_fmac_f64_e32 v[64:65], v[12:13], v[58:59]
	s_delay_alu instid0(VALU_DEP_2) | instskip(NEXT) | instid1(VALU_DEP_2)
	v_add_f64_e32 v[18:19], v[18:19], v[62:63]
	v_add_f64_e32 v[20:21], v[64:65], v[20:21]
	ds_load_b128 v[62:65], v81 offset:7424
	s_wait_dscnt 0x0
	v_mul_f64_e32 v[68:69], v[12:13], v[64:65]
	s_delay_alu instid0(VALU_DEP_1) | instskip(SKIP_1) | instid1(VALU_DEP_2)
	v_fma_f64 v[68:69], v[10:11], v[62:63], -v[68:69]
	v_mul_f64_e32 v[10:11], v[10:11], v[64:65]
	v_add_f64_e32 v[2:3], v[2:3], v[68:69]
	s_delay_alu instid0(VALU_DEP_2) | instskip(NEXT) | instid1(VALU_DEP_1)
	v_fmac_f64_e32 v[10:11], v[12:13], v[62:63]
	v_add_f64_e32 v[70:71], v[10:11], v[8:9]
	ds_load_b128 v[8:11], v79 offset:8416
	s_wait_dscnt 0x0
	v_mul_f64_e32 v[12:13], v[10:11], v[60:61]
	v_mul_f64_e32 v[60:61], v[8:9], v[60:61]
	s_delay_alu instid0(VALU_DEP_2) | instskip(NEXT) | instid1(VALU_DEP_2)
	v_fma_f64 v[12:13], v[8:9], v[58:59], -v[12:13]
	v_fmac_f64_e32 v[60:61], v[10:11], v[58:59]
	s_delay_alu instid0(VALU_DEP_2) | instskip(SKIP_1) | instid1(VALU_DEP_3)
	v_add_f64_e32 v[14:15], v[14:15], v[12:13]
	v_mul_f64_e32 v[12:13], v[10:11], v[64:65]
	v_add_f64_e32 v[16:17], v[60:61], v[16:17]
	s_delay_alu instid0(VALU_DEP_2) | instskip(SKIP_1) | instid1(VALU_DEP_1)
	v_fma_f64 v[12:13], v[8:9], v[62:63], -v[12:13]
	v_mul_f64_e32 v[8:9], v[8:9], v[64:65]
	v_fmac_f64_e32 v[8:9], v[10:11], v[62:63]
	ds_load_b128 v[58:61], v79 offset:240
	ds_load_b128 v[62:65], v81 offset:7680
	v_add_f64_e32 v[10:11], v[22:23], v[12:13]
	s_wait_dscnt 0x0
	v_mul_f64_e32 v[22:23], v[58:59], v[64:65]
	v_add_f64_e32 v[12:13], v[8:9], v[66:67]
	v_mul_f64_e32 v[8:9], v[60:61], v[64:65]
	ds_load_b128 v[66:69], v81 offset:7936
	v_fmac_f64_e32 v[22:23], v[60:61], v[62:63]
	v_fma_f64 v[8:9], v[58:59], v[62:63], -v[8:9]
	s_delay_alu instid0(VALU_DEP_2) | instskip(SKIP_2) | instid1(VALU_DEP_3)
	v_add_f64_e32 v[20:21], v[22:23], v[20:21]
	s_wait_dscnt 0x0
	v_mul_f64_e32 v[22:23], v[58:59], v[68:69]
	v_add_f64_e32 v[18:19], v[18:19], v[8:9]
	v_mul_f64_e32 v[8:9], v[60:61], v[68:69]
	s_delay_alu instid0(VALU_DEP_3) | instskip(NEXT) | instid1(VALU_DEP_2)
	v_fmac_f64_e32 v[22:23], v[60:61], v[66:67]
	v_fma_f64 v[8:9], v[58:59], v[66:67], -v[8:9]
	ds_load_b128 v[58:61], v79 offset:8432
	v_add_f64_e32 v[2:3], v[2:3], v[8:9]
	v_add_f64_e32 v[8:9], v[22:23], v[70:71]
	s_wait_dscnt 0x0
	v_mul_f64_e32 v[22:23], v[60:61], v[64:65]
	v_mul_f64_e32 v[64:65], v[58:59], v[64:65]
	s_delay_alu instid0(VALU_DEP_2) | instskip(NEXT) | instid1(VALU_DEP_2)
	v_fma_f64 v[22:23], v[58:59], v[62:63], -v[22:23]
	v_fmac_f64_e32 v[64:65], v[60:61], v[62:63]
	s_delay_alu instid0(VALU_DEP_2) | instskip(SKIP_1) | instid1(VALU_DEP_3)
	v_add_f64_e32 v[14:15], v[14:15], v[22:23]
	v_mul_f64_e32 v[22:23], v[60:61], v[68:69]
	v_add_f64_e32 v[16:17], v[64:65], v[16:17]
	s_delay_alu instid0(VALU_DEP_2) | instskip(SKIP_1) | instid1(VALU_DEP_2)
	v_fma_f64 v[22:23], v[58:59], v[66:67], -v[22:23]
	v_mul_f64_e32 v[58:59], v[58:59], v[68:69]
	v_add_f64_e32 v[22:23], v[10:11], v[22:23]
	s_delay_alu instid0(VALU_DEP_2) | instskip(NEXT) | instid1(VALU_DEP_1)
	v_fmac_f64_e32 v[58:59], v[60:61], v[66:67]
	v_add_f64_e32 v[66:67], v[58:59], v[12:13]
	ds_load_b128 v[10:13], v79 offset:256
	ds_load_b128 v[58:61], v81 offset:8192
	s_wait_dscnt 0x0
	v_mul_f64_e32 v[62:63], v[12:13], v[60:61]
	v_mul_f64_e32 v[64:65], v[10:11], v[60:61]
	s_delay_alu instid0(VALU_DEP_2) | instskip(NEXT) | instid1(VALU_DEP_2)
	v_fma_f64 v[62:63], v[10:11], v[58:59], -v[62:63]
	v_fmac_f64_e32 v[64:65], v[12:13], v[58:59]
	s_delay_alu instid0(VALU_DEP_2) | instskip(NEXT) | instid1(VALU_DEP_2)
	v_add_f64_e32 v[18:19], v[18:19], v[62:63]
	v_add_f64_e32 v[20:21], v[64:65], v[20:21]
	ds_load_b128 v[62:65], v81 offset:8448
	s_wait_dscnt 0x0
	v_mul_f64_e32 v[68:69], v[12:13], v[64:65]
	s_delay_alu instid0(VALU_DEP_1) | instskip(SKIP_1) | instid1(VALU_DEP_2)
	v_fma_f64 v[68:69], v[10:11], v[62:63], -v[68:69]
	v_mul_f64_e32 v[10:11], v[10:11], v[64:65]
	v_add_f64_e32 v[2:3], v[2:3], v[68:69]
	s_delay_alu instid0(VALU_DEP_2) | instskip(NEXT) | instid1(VALU_DEP_1)
	v_fmac_f64_e32 v[10:11], v[12:13], v[62:63]
	v_add_f64_e32 v[70:71], v[10:11], v[8:9]
	ds_load_b128 v[8:11], v79 offset:8448
	s_wait_dscnt 0x0
	v_mul_f64_e32 v[12:13], v[10:11], v[60:61]
	v_mul_f64_e32 v[60:61], v[8:9], v[60:61]
	s_delay_alu instid0(VALU_DEP_2) | instskip(NEXT) | instid1(VALU_DEP_2)
	v_fma_f64 v[12:13], v[8:9], v[58:59], -v[12:13]
	v_fmac_f64_e32 v[60:61], v[10:11], v[58:59]
	s_delay_alu instid0(VALU_DEP_2) | instskip(SKIP_1) | instid1(VALU_DEP_3)
	v_add_f64_e32 v[14:15], v[14:15], v[12:13]
	v_mul_f64_e32 v[12:13], v[10:11], v[64:65]
	v_add_f64_e32 v[16:17], v[60:61], v[16:17]
	s_delay_alu instid0(VALU_DEP_2) | instskip(SKIP_1) | instid1(VALU_DEP_1)
	v_fma_f64 v[12:13], v[8:9], v[62:63], -v[12:13]
	v_mul_f64_e32 v[8:9], v[8:9], v[64:65]
	v_fmac_f64_e32 v[8:9], v[10:11], v[62:63]
	ds_load_b128 v[58:61], v79 offset:272
	ds_load_b128 v[62:65], v81 offset:8704
	v_add_f64_e32 v[10:11], v[22:23], v[12:13]
	s_wait_dscnt 0x0
	v_mul_f64_e32 v[22:23], v[58:59], v[64:65]
	v_add_f64_e32 v[12:13], v[8:9], v[66:67]
	v_mul_f64_e32 v[8:9], v[60:61], v[64:65]
	ds_load_b128 v[66:69], v81 offset:8960
	v_fmac_f64_e32 v[22:23], v[60:61], v[62:63]
	v_fma_f64 v[8:9], v[58:59], v[62:63], -v[8:9]
	s_delay_alu instid0(VALU_DEP_2) | instskip(SKIP_2) | instid1(VALU_DEP_3)
	v_add_f64_e32 v[20:21], v[22:23], v[20:21]
	s_wait_dscnt 0x0
	v_mul_f64_e32 v[22:23], v[58:59], v[68:69]
	v_add_f64_e32 v[18:19], v[18:19], v[8:9]
	v_mul_f64_e32 v[8:9], v[60:61], v[68:69]
	s_delay_alu instid0(VALU_DEP_3) | instskip(NEXT) | instid1(VALU_DEP_2)
	v_fmac_f64_e32 v[22:23], v[60:61], v[66:67]
	v_fma_f64 v[8:9], v[58:59], v[66:67], -v[8:9]
	ds_load_b128 v[58:61], v79 offset:8464
	v_add_f64_e32 v[2:3], v[2:3], v[8:9]
	v_add_f64_e32 v[8:9], v[22:23], v[70:71]
	s_wait_dscnt 0x0
	v_mul_f64_e32 v[22:23], v[60:61], v[64:65]
	v_mul_f64_e32 v[64:65], v[58:59], v[64:65]
	s_delay_alu instid0(VALU_DEP_2) | instskip(NEXT) | instid1(VALU_DEP_2)
	v_fma_f64 v[22:23], v[58:59], v[62:63], -v[22:23]
	v_fmac_f64_e32 v[64:65], v[60:61], v[62:63]
	s_delay_alu instid0(VALU_DEP_2) | instskip(SKIP_1) | instid1(VALU_DEP_3)
	v_add_f64_e32 v[14:15], v[14:15], v[22:23]
	v_mul_f64_e32 v[22:23], v[60:61], v[68:69]
	v_add_f64_e32 v[16:17], v[64:65], v[16:17]
	s_delay_alu instid0(VALU_DEP_2) | instskip(SKIP_1) | instid1(VALU_DEP_2)
	v_fma_f64 v[22:23], v[58:59], v[66:67], -v[22:23]
	v_mul_f64_e32 v[58:59], v[58:59], v[68:69]
	v_add_f64_e32 v[22:23], v[10:11], v[22:23]
	s_delay_alu instid0(VALU_DEP_2) | instskip(NEXT) | instid1(VALU_DEP_1)
	v_fmac_f64_e32 v[58:59], v[60:61], v[66:67]
	v_add_f64_e32 v[66:67], v[58:59], v[12:13]
	ds_load_b128 v[10:13], v79 offset:288
	ds_load_b128 v[58:61], v81 offset:9216
	s_wait_dscnt 0x0
	v_mul_f64_e32 v[62:63], v[12:13], v[60:61]
	v_mul_f64_e32 v[64:65], v[10:11], v[60:61]
	s_delay_alu instid0(VALU_DEP_2) | instskip(NEXT) | instid1(VALU_DEP_2)
	v_fma_f64 v[62:63], v[10:11], v[58:59], -v[62:63]
	v_fmac_f64_e32 v[64:65], v[12:13], v[58:59]
	s_delay_alu instid0(VALU_DEP_2) | instskip(NEXT) | instid1(VALU_DEP_2)
	v_add_f64_e32 v[18:19], v[18:19], v[62:63]
	v_add_f64_e32 v[20:21], v[64:65], v[20:21]
	ds_load_b128 v[62:65], v81 offset:9472
	s_wait_dscnt 0x0
	v_mul_f64_e32 v[68:69], v[12:13], v[64:65]
	s_delay_alu instid0(VALU_DEP_1) | instskip(SKIP_1) | instid1(VALU_DEP_2)
	v_fma_f64 v[68:69], v[10:11], v[62:63], -v[68:69]
	v_mul_f64_e32 v[10:11], v[10:11], v[64:65]
	v_add_f64_e32 v[2:3], v[2:3], v[68:69]
	s_delay_alu instid0(VALU_DEP_2) | instskip(NEXT) | instid1(VALU_DEP_1)
	v_fmac_f64_e32 v[10:11], v[12:13], v[62:63]
	v_add_f64_e32 v[70:71], v[10:11], v[8:9]
	ds_load_b128 v[8:11], v79 offset:8480
	s_wait_dscnt 0x0
	v_mul_f64_e32 v[12:13], v[10:11], v[60:61]
	v_mul_f64_e32 v[60:61], v[8:9], v[60:61]
	s_delay_alu instid0(VALU_DEP_2) | instskip(NEXT) | instid1(VALU_DEP_2)
	v_fma_f64 v[12:13], v[8:9], v[58:59], -v[12:13]
	v_fmac_f64_e32 v[60:61], v[10:11], v[58:59]
	s_delay_alu instid0(VALU_DEP_2) | instskip(SKIP_1) | instid1(VALU_DEP_3)
	v_add_f64_e32 v[14:15], v[14:15], v[12:13]
	v_mul_f64_e32 v[12:13], v[10:11], v[64:65]
	v_add_f64_e32 v[16:17], v[60:61], v[16:17]
	s_delay_alu instid0(VALU_DEP_2) | instskip(SKIP_1) | instid1(VALU_DEP_1)
	v_fma_f64 v[12:13], v[8:9], v[62:63], -v[12:13]
	v_mul_f64_e32 v[8:9], v[8:9], v[64:65]
	v_fmac_f64_e32 v[8:9], v[10:11], v[62:63]
	ds_load_b128 v[58:61], v79 offset:304
	ds_load_b128 v[62:65], v81 offset:9728
	v_add_f64_e32 v[10:11], v[22:23], v[12:13]
	s_wait_dscnt 0x0
	v_mul_f64_e32 v[22:23], v[58:59], v[64:65]
	v_add_f64_e32 v[12:13], v[8:9], v[66:67]
	v_mul_f64_e32 v[8:9], v[60:61], v[64:65]
	ds_load_b128 v[66:69], v81 offset:9984
	v_fmac_f64_e32 v[22:23], v[60:61], v[62:63]
	v_fma_f64 v[8:9], v[58:59], v[62:63], -v[8:9]
	s_delay_alu instid0(VALU_DEP_2) | instskip(SKIP_2) | instid1(VALU_DEP_3)
	v_add_f64_e32 v[20:21], v[22:23], v[20:21]
	s_wait_dscnt 0x0
	v_mul_f64_e32 v[22:23], v[58:59], v[68:69]
	v_add_f64_e32 v[18:19], v[18:19], v[8:9]
	v_mul_f64_e32 v[8:9], v[60:61], v[68:69]
	s_delay_alu instid0(VALU_DEP_3) | instskip(NEXT) | instid1(VALU_DEP_2)
	v_fmac_f64_e32 v[22:23], v[60:61], v[66:67]
	v_fma_f64 v[8:9], v[58:59], v[66:67], -v[8:9]
	ds_load_b128 v[58:61], v79 offset:8496
	v_add_f64_e32 v[2:3], v[2:3], v[8:9]
	v_add_f64_e32 v[8:9], v[22:23], v[70:71]
	s_wait_dscnt 0x0
	v_mul_f64_e32 v[22:23], v[60:61], v[64:65]
	v_mul_f64_e32 v[64:65], v[58:59], v[64:65]
	s_delay_alu instid0(VALU_DEP_2) | instskip(NEXT) | instid1(VALU_DEP_2)
	v_fma_f64 v[22:23], v[58:59], v[62:63], -v[22:23]
	v_fmac_f64_e32 v[64:65], v[60:61], v[62:63]
	s_delay_alu instid0(VALU_DEP_2) | instskip(SKIP_1) | instid1(VALU_DEP_3)
	v_add_f64_e32 v[14:15], v[14:15], v[22:23]
	v_mul_f64_e32 v[22:23], v[60:61], v[68:69]
	v_add_f64_e32 v[16:17], v[64:65], v[16:17]
	s_delay_alu instid0(VALU_DEP_2) | instskip(SKIP_1) | instid1(VALU_DEP_2)
	v_fma_f64 v[22:23], v[58:59], v[66:67], -v[22:23]
	v_mul_f64_e32 v[58:59], v[58:59], v[68:69]
	v_add_f64_e32 v[22:23], v[10:11], v[22:23]
	s_delay_alu instid0(VALU_DEP_2) | instskip(NEXT) | instid1(VALU_DEP_1)
	v_fmac_f64_e32 v[58:59], v[60:61], v[66:67]
	v_add_f64_e32 v[66:67], v[58:59], v[12:13]
	ds_load_b128 v[10:13], v79 offset:320
	ds_load_b128 v[58:61], v81 offset:10240
	s_wait_dscnt 0x0
	v_mul_f64_e32 v[62:63], v[12:13], v[60:61]
	v_mul_f64_e32 v[64:65], v[10:11], v[60:61]
	s_delay_alu instid0(VALU_DEP_2) | instskip(NEXT) | instid1(VALU_DEP_2)
	v_fma_f64 v[62:63], v[10:11], v[58:59], -v[62:63]
	v_fmac_f64_e32 v[64:65], v[12:13], v[58:59]
	s_delay_alu instid0(VALU_DEP_2) | instskip(NEXT) | instid1(VALU_DEP_2)
	v_add_f64_e32 v[18:19], v[18:19], v[62:63]
	v_add_f64_e32 v[20:21], v[64:65], v[20:21]
	ds_load_b128 v[62:65], v81 offset:10496
	s_wait_dscnt 0x0
	v_mul_f64_e32 v[68:69], v[12:13], v[64:65]
	s_delay_alu instid0(VALU_DEP_1) | instskip(SKIP_1) | instid1(VALU_DEP_2)
	v_fma_f64 v[68:69], v[10:11], v[62:63], -v[68:69]
	v_mul_f64_e32 v[10:11], v[10:11], v[64:65]
	v_add_f64_e32 v[2:3], v[2:3], v[68:69]
	s_delay_alu instid0(VALU_DEP_2) | instskip(NEXT) | instid1(VALU_DEP_1)
	v_fmac_f64_e32 v[10:11], v[12:13], v[62:63]
	v_add_f64_e32 v[70:71], v[10:11], v[8:9]
	ds_load_b128 v[8:11], v79 offset:8512
	s_wait_dscnt 0x0
	v_mul_f64_e32 v[12:13], v[10:11], v[60:61]
	v_mul_f64_e32 v[60:61], v[8:9], v[60:61]
	s_delay_alu instid0(VALU_DEP_2) | instskip(NEXT) | instid1(VALU_DEP_2)
	v_fma_f64 v[12:13], v[8:9], v[58:59], -v[12:13]
	v_fmac_f64_e32 v[60:61], v[10:11], v[58:59]
	s_delay_alu instid0(VALU_DEP_2) | instskip(SKIP_1) | instid1(VALU_DEP_3)
	v_add_f64_e32 v[14:15], v[14:15], v[12:13]
	v_mul_f64_e32 v[12:13], v[10:11], v[64:65]
	v_add_f64_e32 v[16:17], v[60:61], v[16:17]
	s_delay_alu instid0(VALU_DEP_2) | instskip(SKIP_1) | instid1(VALU_DEP_1)
	v_fma_f64 v[12:13], v[8:9], v[62:63], -v[12:13]
	v_mul_f64_e32 v[8:9], v[8:9], v[64:65]
	v_fmac_f64_e32 v[8:9], v[10:11], v[62:63]
	ds_load_b128 v[58:61], v79 offset:336
	ds_load_b128 v[62:65], v81 offset:10752
	v_add_f64_e32 v[10:11], v[22:23], v[12:13]
	s_wait_dscnt 0x0
	v_mul_f64_e32 v[22:23], v[58:59], v[64:65]
	v_add_f64_e32 v[12:13], v[8:9], v[66:67]
	v_mul_f64_e32 v[8:9], v[60:61], v[64:65]
	ds_load_b128 v[66:69], v81 offset:11008
	v_fmac_f64_e32 v[22:23], v[60:61], v[62:63]
	v_fma_f64 v[8:9], v[58:59], v[62:63], -v[8:9]
	s_delay_alu instid0(VALU_DEP_2) | instskip(SKIP_2) | instid1(VALU_DEP_3)
	v_add_f64_e32 v[20:21], v[22:23], v[20:21]
	s_wait_dscnt 0x0
	v_mul_f64_e32 v[22:23], v[58:59], v[68:69]
	v_add_f64_e32 v[18:19], v[18:19], v[8:9]
	v_mul_f64_e32 v[8:9], v[60:61], v[68:69]
	s_delay_alu instid0(VALU_DEP_3) | instskip(NEXT) | instid1(VALU_DEP_2)
	v_fmac_f64_e32 v[22:23], v[60:61], v[66:67]
	v_fma_f64 v[8:9], v[58:59], v[66:67], -v[8:9]
	ds_load_b128 v[58:61], v79 offset:8528
	v_add_f64_e32 v[2:3], v[2:3], v[8:9]
	v_add_f64_e32 v[8:9], v[22:23], v[70:71]
	s_wait_dscnt 0x0
	v_mul_f64_e32 v[22:23], v[60:61], v[64:65]
	v_mul_f64_e32 v[64:65], v[58:59], v[64:65]
	s_delay_alu instid0(VALU_DEP_2) | instskip(NEXT) | instid1(VALU_DEP_2)
	v_fma_f64 v[22:23], v[58:59], v[62:63], -v[22:23]
	v_fmac_f64_e32 v[64:65], v[60:61], v[62:63]
	s_delay_alu instid0(VALU_DEP_2) | instskip(SKIP_1) | instid1(VALU_DEP_3)
	v_add_f64_e32 v[14:15], v[14:15], v[22:23]
	v_mul_f64_e32 v[22:23], v[60:61], v[68:69]
	v_add_f64_e32 v[16:17], v[64:65], v[16:17]
	s_delay_alu instid0(VALU_DEP_2) | instskip(SKIP_1) | instid1(VALU_DEP_2)
	v_fma_f64 v[22:23], v[58:59], v[66:67], -v[22:23]
	v_mul_f64_e32 v[58:59], v[58:59], v[68:69]
	v_add_f64_e32 v[22:23], v[10:11], v[22:23]
	s_delay_alu instid0(VALU_DEP_2) | instskip(NEXT) | instid1(VALU_DEP_1)
	v_fmac_f64_e32 v[58:59], v[60:61], v[66:67]
	v_add_f64_e32 v[66:67], v[58:59], v[12:13]
	ds_load_b128 v[10:13], v79 offset:352
	ds_load_b128 v[58:61], v81 offset:11264
	s_wait_dscnt 0x0
	v_mul_f64_e32 v[62:63], v[12:13], v[60:61]
	v_mul_f64_e32 v[64:65], v[10:11], v[60:61]
	s_delay_alu instid0(VALU_DEP_2) | instskip(NEXT) | instid1(VALU_DEP_2)
	v_fma_f64 v[62:63], v[10:11], v[58:59], -v[62:63]
	v_fmac_f64_e32 v[64:65], v[12:13], v[58:59]
	s_delay_alu instid0(VALU_DEP_2) | instskip(NEXT) | instid1(VALU_DEP_2)
	v_add_f64_e32 v[18:19], v[18:19], v[62:63]
	v_add_f64_e32 v[20:21], v[64:65], v[20:21]
	ds_load_b128 v[62:65], v81 offset:11520
	s_wait_dscnt 0x0
	v_mul_f64_e32 v[68:69], v[12:13], v[64:65]
	s_delay_alu instid0(VALU_DEP_1) | instskip(SKIP_1) | instid1(VALU_DEP_2)
	v_fma_f64 v[68:69], v[10:11], v[62:63], -v[68:69]
	v_mul_f64_e32 v[10:11], v[10:11], v[64:65]
	v_add_f64_e32 v[2:3], v[2:3], v[68:69]
	s_delay_alu instid0(VALU_DEP_2) | instskip(NEXT) | instid1(VALU_DEP_1)
	v_fmac_f64_e32 v[10:11], v[12:13], v[62:63]
	v_add_f64_e32 v[70:71], v[10:11], v[8:9]
	ds_load_b128 v[8:11], v79 offset:8544
	s_wait_dscnt 0x0
	v_mul_f64_e32 v[12:13], v[10:11], v[60:61]
	v_mul_f64_e32 v[60:61], v[8:9], v[60:61]
	s_delay_alu instid0(VALU_DEP_2) | instskip(NEXT) | instid1(VALU_DEP_2)
	v_fma_f64 v[12:13], v[8:9], v[58:59], -v[12:13]
	v_fmac_f64_e32 v[60:61], v[10:11], v[58:59]
	s_delay_alu instid0(VALU_DEP_2) | instskip(SKIP_1) | instid1(VALU_DEP_3)
	v_add_f64_e32 v[14:15], v[14:15], v[12:13]
	v_mul_f64_e32 v[12:13], v[10:11], v[64:65]
	v_add_f64_e32 v[16:17], v[60:61], v[16:17]
	s_delay_alu instid0(VALU_DEP_2) | instskip(SKIP_1) | instid1(VALU_DEP_1)
	v_fma_f64 v[12:13], v[8:9], v[62:63], -v[12:13]
	v_mul_f64_e32 v[8:9], v[8:9], v[64:65]
	v_fmac_f64_e32 v[8:9], v[10:11], v[62:63]
	ds_load_b128 v[58:61], v79 offset:368
	ds_load_b128 v[62:65], v81 offset:11776
	v_add_f64_e32 v[10:11], v[22:23], v[12:13]
	s_wait_dscnt 0x0
	v_mul_f64_e32 v[22:23], v[58:59], v[64:65]
	v_add_f64_e32 v[12:13], v[8:9], v[66:67]
	v_mul_f64_e32 v[8:9], v[60:61], v[64:65]
	ds_load_b128 v[66:69], v81 offset:12032
	v_fmac_f64_e32 v[22:23], v[60:61], v[62:63]
	v_fma_f64 v[8:9], v[58:59], v[62:63], -v[8:9]
	s_delay_alu instid0(VALU_DEP_2) | instskip(SKIP_2) | instid1(VALU_DEP_3)
	v_add_f64_e32 v[20:21], v[22:23], v[20:21]
	s_wait_dscnt 0x0
	v_mul_f64_e32 v[22:23], v[58:59], v[68:69]
	v_add_f64_e32 v[18:19], v[18:19], v[8:9]
	v_mul_f64_e32 v[8:9], v[60:61], v[68:69]
	s_delay_alu instid0(VALU_DEP_3) | instskip(NEXT) | instid1(VALU_DEP_2)
	v_fmac_f64_e32 v[22:23], v[60:61], v[66:67]
	v_fma_f64 v[8:9], v[58:59], v[66:67], -v[8:9]
	ds_load_b128 v[58:61], v79 offset:8560
	v_add_f64_e32 v[2:3], v[2:3], v[8:9]
	v_add_f64_e32 v[8:9], v[22:23], v[70:71]
	s_wait_dscnt 0x0
	v_mul_f64_e32 v[22:23], v[60:61], v[64:65]
	v_mul_f64_e32 v[64:65], v[58:59], v[64:65]
	s_delay_alu instid0(VALU_DEP_2) | instskip(NEXT) | instid1(VALU_DEP_2)
	v_fma_f64 v[22:23], v[58:59], v[62:63], -v[22:23]
	v_fmac_f64_e32 v[64:65], v[60:61], v[62:63]
	s_delay_alu instid0(VALU_DEP_2) | instskip(SKIP_1) | instid1(VALU_DEP_3)
	v_add_f64_e32 v[14:15], v[14:15], v[22:23]
	v_mul_f64_e32 v[22:23], v[60:61], v[68:69]
	v_add_f64_e32 v[16:17], v[64:65], v[16:17]
	s_delay_alu instid0(VALU_DEP_2) | instskip(SKIP_1) | instid1(VALU_DEP_2)
	v_fma_f64 v[22:23], v[58:59], v[66:67], -v[22:23]
	v_mul_f64_e32 v[58:59], v[58:59], v[68:69]
	v_add_f64_e32 v[22:23], v[10:11], v[22:23]
	s_delay_alu instid0(VALU_DEP_2) | instskip(NEXT) | instid1(VALU_DEP_1)
	v_fmac_f64_e32 v[58:59], v[60:61], v[66:67]
	v_add_f64_e32 v[66:67], v[58:59], v[12:13]
	ds_load_b128 v[10:13], v79 offset:384
	ds_load_b128 v[58:61], v81 offset:12288
	s_wait_dscnt 0x0
	v_mul_f64_e32 v[62:63], v[12:13], v[60:61]
	v_mul_f64_e32 v[64:65], v[10:11], v[60:61]
	s_delay_alu instid0(VALU_DEP_2) | instskip(NEXT) | instid1(VALU_DEP_2)
	v_fma_f64 v[62:63], v[10:11], v[58:59], -v[62:63]
	v_fmac_f64_e32 v[64:65], v[12:13], v[58:59]
	s_delay_alu instid0(VALU_DEP_2) | instskip(NEXT) | instid1(VALU_DEP_2)
	v_add_f64_e32 v[18:19], v[18:19], v[62:63]
	v_add_f64_e32 v[20:21], v[64:65], v[20:21]
	ds_load_b128 v[62:65], v81 offset:12544
	s_wait_dscnt 0x0
	v_mul_f64_e32 v[68:69], v[12:13], v[64:65]
	s_delay_alu instid0(VALU_DEP_1) | instskip(SKIP_1) | instid1(VALU_DEP_2)
	v_fma_f64 v[68:69], v[10:11], v[62:63], -v[68:69]
	v_mul_f64_e32 v[10:11], v[10:11], v[64:65]
	v_add_f64_e32 v[2:3], v[2:3], v[68:69]
	s_delay_alu instid0(VALU_DEP_2) | instskip(NEXT) | instid1(VALU_DEP_1)
	v_fmac_f64_e32 v[10:11], v[12:13], v[62:63]
	v_add_f64_e32 v[70:71], v[10:11], v[8:9]
	ds_load_b128 v[8:11], v79 offset:8576
	s_wait_dscnt 0x0
	v_mul_f64_e32 v[12:13], v[10:11], v[60:61]
	v_mul_f64_e32 v[60:61], v[8:9], v[60:61]
	s_delay_alu instid0(VALU_DEP_2) | instskip(NEXT) | instid1(VALU_DEP_2)
	v_fma_f64 v[12:13], v[8:9], v[58:59], -v[12:13]
	v_fmac_f64_e32 v[60:61], v[10:11], v[58:59]
	s_delay_alu instid0(VALU_DEP_2) | instskip(SKIP_1) | instid1(VALU_DEP_3)
	v_add_f64_e32 v[14:15], v[14:15], v[12:13]
	v_mul_f64_e32 v[12:13], v[10:11], v[64:65]
	v_add_f64_e32 v[16:17], v[60:61], v[16:17]
	s_delay_alu instid0(VALU_DEP_2) | instskip(SKIP_1) | instid1(VALU_DEP_1)
	v_fma_f64 v[12:13], v[8:9], v[62:63], -v[12:13]
	v_mul_f64_e32 v[8:9], v[8:9], v[64:65]
	v_fmac_f64_e32 v[8:9], v[10:11], v[62:63]
	ds_load_b128 v[58:61], v79 offset:400
	ds_load_b128 v[62:65], v81 offset:12800
	v_add_f64_e32 v[10:11], v[22:23], v[12:13]
	s_wait_dscnt 0x0
	v_mul_f64_e32 v[22:23], v[58:59], v[64:65]
	v_add_f64_e32 v[12:13], v[8:9], v[66:67]
	v_mul_f64_e32 v[8:9], v[60:61], v[64:65]
	ds_load_b128 v[66:69], v81 offset:13056
	v_fmac_f64_e32 v[22:23], v[60:61], v[62:63]
	v_fma_f64 v[8:9], v[58:59], v[62:63], -v[8:9]
	s_delay_alu instid0(VALU_DEP_2) | instskip(SKIP_2) | instid1(VALU_DEP_3)
	v_add_f64_e32 v[20:21], v[22:23], v[20:21]
	s_wait_dscnt 0x0
	v_mul_f64_e32 v[22:23], v[58:59], v[68:69]
	v_add_f64_e32 v[18:19], v[18:19], v[8:9]
	v_mul_f64_e32 v[8:9], v[60:61], v[68:69]
	s_delay_alu instid0(VALU_DEP_3) | instskip(NEXT) | instid1(VALU_DEP_2)
	v_fmac_f64_e32 v[22:23], v[60:61], v[66:67]
	v_fma_f64 v[8:9], v[58:59], v[66:67], -v[8:9]
	ds_load_b128 v[58:61], v79 offset:8592
	v_add_f64_e32 v[2:3], v[2:3], v[8:9]
	v_add_f64_e32 v[8:9], v[22:23], v[70:71]
	s_wait_dscnt 0x0
	v_mul_f64_e32 v[22:23], v[60:61], v[64:65]
	v_mul_f64_e32 v[64:65], v[58:59], v[64:65]
	s_delay_alu instid0(VALU_DEP_2) | instskip(NEXT) | instid1(VALU_DEP_2)
	v_fma_f64 v[22:23], v[58:59], v[62:63], -v[22:23]
	v_fmac_f64_e32 v[64:65], v[60:61], v[62:63]
	s_delay_alu instid0(VALU_DEP_2) | instskip(SKIP_1) | instid1(VALU_DEP_3)
	v_add_f64_e32 v[14:15], v[14:15], v[22:23]
	v_mul_f64_e32 v[22:23], v[60:61], v[68:69]
	v_add_f64_e32 v[16:17], v[64:65], v[16:17]
	s_delay_alu instid0(VALU_DEP_2) | instskip(SKIP_1) | instid1(VALU_DEP_2)
	v_fma_f64 v[22:23], v[58:59], v[66:67], -v[22:23]
	v_mul_f64_e32 v[58:59], v[58:59], v[68:69]
	v_add_f64_e32 v[22:23], v[10:11], v[22:23]
	s_delay_alu instid0(VALU_DEP_2) | instskip(NEXT) | instid1(VALU_DEP_1)
	v_fmac_f64_e32 v[58:59], v[60:61], v[66:67]
	v_add_f64_e32 v[66:67], v[58:59], v[12:13]
	ds_load_b128 v[10:13], v79 offset:416
	ds_load_b128 v[58:61], v81 offset:13312
	s_wait_dscnt 0x0
	v_mul_f64_e32 v[62:63], v[12:13], v[60:61]
	v_mul_f64_e32 v[64:65], v[10:11], v[60:61]
	s_delay_alu instid0(VALU_DEP_2) | instskip(NEXT) | instid1(VALU_DEP_2)
	v_fma_f64 v[62:63], v[10:11], v[58:59], -v[62:63]
	v_fmac_f64_e32 v[64:65], v[12:13], v[58:59]
	s_delay_alu instid0(VALU_DEP_2) | instskip(NEXT) | instid1(VALU_DEP_2)
	v_add_f64_e32 v[18:19], v[18:19], v[62:63]
	v_add_f64_e32 v[20:21], v[64:65], v[20:21]
	ds_load_b128 v[62:65], v81 offset:13568
	s_wait_dscnt 0x0
	v_mul_f64_e32 v[68:69], v[12:13], v[64:65]
	s_delay_alu instid0(VALU_DEP_1) | instskip(SKIP_1) | instid1(VALU_DEP_2)
	v_fma_f64 v[68:69], v[10:11], v[62:63], -v[68:69]
	v_mul_f64_e32 v[10:11], v[10:11], v[64:65]
	v_add_f64_e32 v[2:3], v[2:3], v[68:69]
	s_delay_alu instid0(VALU_DEP_2) | instskip(NEXT) | instid1(VALU_DEP_1)
	v_fmac_f64_e32 v[10:11], v[12:13], v[62:63]
	v_add_f64_e32 v[70:71], v[10:11], v[8:9]
	ds_load_b128 v[8:11], v79 offset:8608
	s_wait_dscnt 0x0
	v_mul_f64_e32 v[12:13], v[10:11], v[60:61]
	v_mul_f64_e32 v[60:61], v[8:9], v[60:61]
	s_delay_alu instid0(VALU_DEP_2) | instskip(NEXT) | instid1(VALU_DEP_2)
	v_fma_f64 v[12:13], v[8:9], v[58:59], -v[12:13]
	v_fmac_f64_e32 v[60:61], v[10:11], v[58:59]
	s_delay_alu instid0(VALU_DEP_2) | instskip(SKIP_1) | instid1(VALU_DEP_3)
	v_add_f64_e32 v[14:15], v[14:15], v[12:13]
	v_mul_f64_e32 v[12:13], v[10:11], v[64:65]
	v_add_f64_e32 v[16:17], v[60:61], v[16:17]
	s_delay_alu instid0(VALU_DEP_2) | instskip(SKIP_1) | instid1(VALU_DEP_1)
	v_fma_f64 v[12:13], v[8:9], v[62:63], -v[12:13]
	v_mul_f64_e32 v[8:9], v[8:9], v[64:65]
	v_fmac_f64_e32 v[8:9], v[10:11], v[62:63]
	ds_load_b128 v[58:61], v79 offset:432
	ds_load_b128 v[62:65], v81 offset:13824
	v_add_f64_e32 v[10:11], v[22:23], v[12:13]
	s_wait_dscnt 0x0
	v_mul_f64_e32 v[22:23], v[58:59], v[64:65]
	v_add_f64_e32 v[12:13], v[8:9], v[66:67]
	v_mul_f64_e32 v[8:9], v[60:61], v[64:65]
	ds_load_b128 v[66:69], v81 offset:14080
	v_fmac_f64_e32 v[22:23], v[60:61], v[62:63]
	v_fma_f64 v[8:9], v[58:59], v[62:63], -v[8:9]
	s_delay_alu instid0(VALU_DEP_2) | instskip(SKIP_2) | instid1(VALU_DEP_3)
	v_add_f64_e32 v[20:21], v[22:23], v[20:21]
	s_wait_dscnt 0x0
	v_mul_f64_e32 v[22:23], v[58:59], v[68:69]
	v_add_f64_e32 v[18:19], v[18:19], v[8:9]
	v_mul_f64_e32 v[8:9], v[60:61], v[68:69]
	s_delay_alu instid0(VALU_DEP_3) | instskip(NEXT) | instid1(VALU_DEP_2)
	v_fmac_f64_e32 v[22:23], v[60:61], v[66:67]
	v_fma_f64 v[8:9], v[58:59], v[66:67], -v[8:9]
	ds_load_b128 v[58:61], v79 offset:8624
	v_add_f64_e32 v[2:3], v[2:3], v[8:9]
	v_add_f64_e32 v[8:9], v[22:23], v[70:71]
	s_wait_dscnt 0x0
	v_mul_f64_e32 v[22:23], v[60:61], v[64:65]
	v_mul_f64_e32 v[64:65], v[58:59], v[64:65]
	s_delay_alu instid0(VALU_DEP_2) | instskip(NEXT) | instid1(VALU_DEP_2)
	v_fma_f64 v[22:23], v[58:59], v[62:63], -v[22:23]
	v_fmac_f64_e32 v[64:65], v[60:61], v[62:63]
	s_delay_alu instid0(VALU_DEP_2) | instskip(SKIP_1) | instid1(VALU_DEP_3)
	v_add_f64_e32 v[14:15], v[14:15], v[22:23]
	v_mul_f64_e32 v[22:23], v[60:61], v[68:69]
	v_add_f64_e32 v[16:17], v[64:65], v[16:17]
	s_delay_alu instid0(VALU_DEP_2) | instskip(SKIP_1) | instid1(VALU_DEP_2)
	v_fma_f64 v[22:23], v[58:59], v[66:67], -v[22:23]
	v_mul_f64_e32 v[58:59], v[58:59], v[68:69]
	v_add_f64_e32 v[22:23], v[10:11], v[22:23]
	s_delay_alu instid0(VALU_DEP_2) | instskip(NEXT) | instid1(VALU_DEP_1)
	v_fmac_f64_e32 v[58:59], v[60:61], v[66:67]
	v_add_f64_e32 v[66:67], v[58:59], v[12:13]
	ds_load_b128 v[58:61], v79 offset:448
	ds_load_b128 v[62:65], v81 offset:14336
	s_wait_dscnt 0x0
	v_mul_f64_e32 v[10:11], v[60:61], v[64:65]
	v_mul_f64_e32 v[12:13], v[58:59], v[64:65]
	s_delay_alu instid0(VALU_DEP_2) | instskip(NEXT) | instid1(VALU_DEP_2)
	v_fma_f64 v[10:11], v[58:59], v[62:63], -v[10:11]
	v_fmac_f64_e32 v[12:13], v[60:61], v[62:63]
	s_delay_alu instid0(VALU_DEP_2) | instskip(NEXT) | instid1(VALU_DEP_2)
	v_add_f64_e32 v[10:11], v[18:19], v[10:11]
	v_add_f64_e32 v[12:13], v[12:13], v[20:21]
	ds_load_b128 v[18:21], v81 offset:14592
	s_wait_dscnt 0x0
	v_mul_f64_e32 v[68:69], v[60:61], v[20:21]
	s_delay_alu instid0(VALU_DEP_1) | instskip(SKIP_1) | instid1(VALU_DEP_2)
	v_fma_f64 v[68:69], v[58:59], v[18:19], -v[68:69]
	v_mul_f64_e32 v[58:59], v[58:59], v[20:21]
	v_add_f64_e32 v[2:3], v[2:3], v[68:69]
	s_delay_alu instid0(VALU_DEP_2) | instskip(NEXT) | instid1(VALU_DEP_1)
	v_fmac_f64_e32 v[58:59], v[60:61], v[18:19]
	v_add_f64_e32 v[8:9], v[58:59], v[8:9]
	ds_load_b128 v[58:61], v79 offset:8640
	s_wait_dscnt 0x0
	v_mul_f64_e32 v[68:69], v[60:61], v[64:65]
	v_mul_f64_e32 v[64:65], v[58:59], v[64:65]
	s_delay_alu instid0(VALU_DEP_2) | instskip(NEXT) | instid1(VALU_DEP_2)
	v_fma_f64 v[68:69], v[58:59], v[62:63], -v[68:69]
	v_fmac_f64_e32 v[64:65], v[60:61], v[62:63]
	v_mul_f64_e32 v[62:63], v[60:61], v[20:21]
	v_mul_f64_e32 v[20:21], v[58:59], v[20:21]
	s_delay_alu instid0(VALU_DEP_4) | instskip(NEXT) | instid1(VALU_DEP_4)
	v_add_f64_e32 v[14:15], v[14:15], v[68:69]
	v_add_f64_e32 v[16:17], v[64:65], v[16:17]
	s_delay_alu instid0(VALU_DEP_4) | instskip(NEXT) | instid1(VALU_DEP_4)
	v_fma_f64 v[62:63], v[58:59], v[18:19], -v[62:63]
	v_fmac_f64_e32 v[20:21], v[60:61], v[18:19]
	s_delay_alu instid0(VALU_DEP_2)
	v_add_f64_e32 v[18:19], v[22:23], v[62:63]
	ds_load_b128 v[58:61], v79 offset:464
	ds_load_b128 v[62:65], v81 offset:14848
	v_add_f64_e32 v[20:21], v[20:21], v[66:67]
	s_wait_dscnt 0x0
	v_mul_f64_e32 v[66:67], v[58:59], v[64:65]
	v_mul_f64_e32 v[22:23], v[60:61], v[64:65]
	s_delay_alu instid0(VALU_DEP_2) | instskip(NEXT) | instid1(VALU_DEP_2)
	v_fmac_f64_e32 v[66:67], v[60:61], v[62:63]
	v_fma_f64 v[22:23], v[58:59], v[62:63], -v[22:23]
	s_delay_alu instid0(VALU_DEP_2) | instskip(SKIP_4) | instid1(VALU_DEP_1)
	v_add_f64_e32 v[12:13], v[66:67], v[12:13]
	ds_load_b128 v[66:69], v81 offset:15104
	v_add_f64_e32 v[10:11], v[10:11], v[22:23]
	s_wait_dscnt 0x0
	v_mul_f64_e32 v[22:23], v[60:61], v[68:69]
	v_fma_f64 v[22:23], v[58:59], v[66:67], -v[22:23]
	v_mul_f64_e32 v[58:59], v[58:59], v[68:69]
	s_delay_alu instid0(VALU_DEP_2) | instskip(NEXT) | instid1(VALU_DEP_2)
	v_add_f64_e32 v[2:3], v[2:3], v[22:23]
	v_fmac_f64_e32 v[58:59], v[60:61], v[66:67]
	s_delay_alu instid0(VALU_DEP_1) | instskip(SKIP_4) | instid1(VALU_DEP_2)
	v_add_f64_e32 v[8:9], v[58:59], v[8:9]
	ds_load_b128 v[58:61], v79 offset:8656
	s_wait_dscnt 0x0
	v_mul_f64_e32 v[22:23], v[60:61], v[64:65]
	v_mul_f64_e32 v[64:65], v[58:59], v[64:65]
	v_fma_f64 v[22:23], v[58:59], v[62:63], -v[22:23]
	s_delay_alu instid0(VALU_DEP_2) | instskip(NEXT) | instid1(VALU_DEP_2)
	v_fmac_f64_e32 v[64:65], v[60:61], v[62:63]
	v_add_f64_e32 v[14:15], v[14:15], v[22:23]
	v_mul_f64_e32 v[22:23], v[60:61], v[68:69]
	s_delay_alu instid0(VALU_DEP_3) | instskip(NEXT) | instid1(VALU_DEP_2)
	v_add_f64_e32 v[16:17], v[64:65], v[16:17]
	v_fma_f64 v[22:23], v[58:59], v[66:67], -v[22:23]
	v_mul_f64_e32 v[58:59], v[58:59], v[68:69]
	s_delay_alu instid0(VALU_DEP_2) | instskip(NEXT) | instid1(VALU_DEP_2)
	v_add_f64_e32 v[18:19], v[18:19], v[22:23]
	v_fmac_f64_e32 v[58:59], v[60:61], v[66:67]
	s_delay_alu instid0(VALU_DEP_1)
	v_add_f64_e32 v[20:21], v[58:59], v[20:21]
	ds_load_b128 v[58:61], v79 offset:480
	ds_load_b128 v[62:65], v81 offset:15360
	ds_load_b128 v[72:75], v81 offset:15616
	s_wait_dscnt 0x1
	v_mul_f64_e32 v[22:23], v[60:61], v[64:65]
	v_mul_f64_e32 v[66:67], v[58:59], v[64:65]
	s_delay_alu instid0(VALU_DEP_2) | instskip(NEXT) | instid1(VALU_DEP_2)
	v_fma_f64 v[22:23], v[58:59], v[62:63], -v[22:23]
	v_fmac_f64_e32 v[66:67], v[60:61], v[62:63]
	s_delay_alu instid0(VALU_DEP_2) | instskip(NEXT) | instid1(VALU_DEP_2)
	v_add_f64_e32 v[10:11], v[10:11], v[22:23]
	v_add_f64_e32 v[22:23], v[66:67], v[12:13]
	s_wait_dscnt 0x0
	v_mul_f64_e32 v[12:13], v[60:61], v[74:75]
	s_delay_alu instid0(VALU_DEP_1) | instskip(SKIP_1) | instid1(VALU_DEP_2)
	v_fma_f64 v[12:13], v[58:59], v[72:73], -v[12:13]
	v_mul_f64_e32 v[58:59], v[58:59], v[74:75]
	v_add_f64_e32 v[68:69], v[2:3], v[12:13]
	s_delay_alu instid0(VALU_DEP_2) | instskip(NEXT) | instid1(VALU_DEP_1)
	v_fmac_f64_e32 v[58:59], v[60:61], v[72:73]
	v_add_f64_e32 v[70:71], v[58:59], v[8:9]
	ds_load_b128 v[58:61], v79 offset:8672
	s_wait_dscnt 0x0
	v_mul_f64_e32 v[2:3], v[60:61], v[64:65]
	v_mul_f64_e32 v[8:9], v[58:59], v[64:65]
	s_delay_alu instid0(VALU_DEP_2) | instskip(NEXT) | instid1(VALU_DEP_2)
	v_fma_f64 v[2:3], v[58:59], v[62:63], -v[2:3]
	v_fmac_f64_e32 v[8:9], v[60:61], v[62:63]
	s_delay_alu instid0(VALU_DEP_2) | instskip(SKIP_1) | instid1(VALU_DEP_3)
	v_add_f64_e32 v[64:65], v[14:15], v[2:3]
	v_mul_f64_e32 v[2:3], v[60:61], v[74:75]
	v_add_f64_e32 v[66:67], v[8:9], v[16:17]
	v_mul_f64_e32 v[8:9], v[58:59], v[74:75]
	s_delay_alu instid0(VALU_DEP_3) | instskip(NEXT) | instid1(VALU_DEP_2)
	v_fma_f64 v[2:3], v[58:59], v[72:73], -v[2:3]
	v_fmac_f64_e32 v[8:9], v[60:61], v[72:73]
	s_delay_alu instid0(VALU_DEP_2)
	v_add_f64_e32 v[2:3], v[18:19], v[2:3]
	ds_load_b128 v[16:19], v79 offset:496
	ds_load_b128 v[12:15], v81 offset:15872
	v_add_f64_e32 v[62:63], v[8:9], v[20:21]
	s_wait_dscnt 0x0
	v_mul_f64_e32 v[8:9], v[18:19], v[14:15]
	v_mul_f64_e32 v[20:21], v[16:17], v[14:15]
	s_delay_alu instid0(VALU_DEP_2) | instskip(NEXT) | instid1(VALU_DEP_2)
	v_fma_f64 v[8:9], v[16:17], v[12:13], -v[8:9]
	v_fmac_f64_e32 v[20:21], v[18:19], v[12:13]
	s_delay_alu instid0(VALU_DEP_2) | instskip(SKIP_4) | instid1(VALU_DEP_1)
	v_add_f64_e32 v[58:59], v[10:11], v[8:9]
	ds_load_b128 v[8:11], v81 offset:16128
	v_add_f64_e32 v[60:61], v[20:21], v[22:23]
	s_wait_dscnt 0x0
	v_mul_f64_e32 v[20:21], v[18:19], v[10:11]
	v_fma_f64 v[20:21], v[16:17], v[8:9], -v[20:21]
	v_mul_f64_e32 v[16:17], v[16:17], v[10:11]
	s_delay_alu instid0(VALU_DEP_2) | instskip(NEXT) | instid1(VALU_DEP_2)
	v_add_f64_e32 v[20:21], v[68:69], v[20:21]
	v_fmac_f64_e32 v[16:17], v[18:19], v[8:9]
	s_delay_alu instid0(VALU_DEP_1)
	v_add_f64_e32 v[22:23], v[16:17], v[70:71]
	ds_load_b128 v[16:19], v79 offset:8688
	s_wait_dscnt 0x0
	s_barrier_signal -1
	s_barrier_wait -1
	v_mul_f64_e32 v[68:69], v[18:19], v[14:15]
	v_mul_f64_e32 v[14:15], v[16:17], v[14:15]
	s_delay_alu instid0(VALU_DEP_2) | instskip(NEXT) | instid1(VALU_DEP_2)
	v_fma_f64 v[68:69], v[16:17], v[12:13], -v[68:69]
	v_fmac_f64_e32 v[14:15], v[18:19], v[12:13]
	v_mul_f64_e32 v[12:13], v[18:19], v[10:11]
	v_mul_f64_e32 v[10:11], v[16:17], v[10:11]
	s_delay_alu instid0(VALU_DEP_4) | instskip(NEXT) | instid1(VALU_DEP_4)
	v_add_f64_e32 v[68:69], v[64:65], v[68:69]
	v_add_f64_e32 v[64:65], v[14:15], v[66:67]
	s_delay_alu instid0(VALU_DEP_4) | instskip(NEXT) | instid1(VALU_DEP_4)
	v_fma_f64 v[12:13], v[16:17], v[8:9], -v[12:13]
	v_fmac_f64_e32 v[10:11], v[18:19], v[8:9]
	s_delay_alu instid0(VALU_DEP_2) | instskip(NEXT) | instid1(VALU_DEP_2)
	v_add_f64_e32 v[66:67], v[2:3], v[12:13]
	v_add_f64_e32 v[62:63], v[10:11], v[62:63]
	s_cbranch_scc1 .LBB120_60
.LBB120_11:                             ;   Parent Loop BB120_4 Depth=1
                                        ;     Parent Loop BB120_8 Depth=2
                                        ; =>    This Inner Loop Header: Depth=3
	v_add_nc_u64_e32 v[8:9], s[52:53], v[34:35]
	v_cmp_eq_u64_e64 s7, s[52:53], v[46:47]
	v_add_nc_u64_e32 v[10:11], v[40:41], v[50:51]
	s_delay_alu instid0(VALU_DEP_3) | instskip(SKIP_3) | instid1(SALU_CYCLE_1)
	v_cmp_lt_i64_e64 s5, v[8:9], v[36:37]
	v_cmp_le_i64_e64 s6, s[42:43], v[8:9]
	s_and_b32 s62, s56, s7
	s_or_b32 s8, s4, s5
	s_or_b32 s7, s6, s8
	s_delay_alu instid0(SALU_CYCLE_1) | instskip(NEXT) | instid1(SALU_CYCLE_1)
	s_nor_b32 s7, s7, s62
	s_and_saveexec_b32 s8, s7
	s_delay_alu instid0(SALU_CYCLE_1)
	s_xor_b32 s7, exec_lo, s8
	s_cbranch_execz .LBB120_13
; %bb.12:                               ;   in Loop: Header=BB120_11 Depth=3
	global_load_b128 v[12:15], v[10:11], off offset:-256
	s_wait_loadcnt 0x0
	ds_store_2addr_b64 v80, v[12:13], v[14:15] offset1:1
.LBB120_13:                             ;   in Loop: Header=BB120_11 Depth=3
	s_wait_xcnt 0x0
	s_or_saveexec_b32 s7, s7
	s_xor_b32 s61, s62, -1
	s_xor_b32 exec_lo, exec_lo, s7
	s_cbranch_execz .LBB120_19
; %bb.14:                               ;   in Loop: Header=BB120_11 Depth=3
	s_and_saveexec_b32 s8, s61
	s_delay_alu instid0(SALU_CYCLE_1)
	s_xor_b32 s8, exec_lo, s8
; %bb.15:                               ;   in Loop: Header=BB120_11 Depth=3
	v_dual_mov_b32 v12, v0 :: v_dual_mov_b32 v13, v0
	v_dual_mov_b32 v14, v0 :: v_dual_mov_b32 v15, v0
	ds_store_b128 v80, v[12:15]
; %bb.16:                               ;   in Loop: Header=BB120_11 Depth=3
	s_and_not1_saveexec_b32 s8, s8
; %bb.17:                               ;   in Loop: Header=BB120_11 Depth=3
	v_dual_mov_b32 v2, v0 :: v_dual_mov_b32 v3, v0
	ds_store_b128 v80, v[0:3]
; %bb.18:                               ;   in Loop: Header=BB120_11 Depth=3
	s_or_b32 exec_lo, exec_lo, s8
.LBB120_19:                             ;   in Loop: Header=BB120_11 Depth=3
	s_delay_alu instid0(SALU_CYCLE_1) | instskip(SKIP_2) | instid1(VALU_DEP_2)
	s_or_b32 exec_lo, exec_lo, s7
	v_add_nc_u64_e32 v[2:3], 16, v[8:9]
	v_cmp_eq_u64_e64 s9, s[52:53], v[54:55]
	v_cmp_lt_i64_e64 s8, v[2:3], v[36:37]
	v_cmp_le_i64_e64 s7, s[42:43], v[2:3]
	s_and_b32 s9, s56, s9
	s_or_b32 s8, s4, s8
	s_delay_alu instid0(SALU_CYCLE_1) | instskip(NEXT) | instid1(SALU_CYCLE_1)
	s_or_b32 s8, s7, s8
	s_nor_b32 s8, s8, s9
	s_delay_alu instid0(SALU_CYCLE_1) | instskip(NEXT) | instid1(SALU_CYCLE_1)
	s_and_saveexec_b32 s63, s8
	s_xor_b32 s8, exec_lo, s63
	s_cbranch_execz .LBB120_21
; %bb.20:                               ;   in Loop: Header=BB120_11 Depth=3
	global_load_b128 v[10:13], v[10:11], off
	v_add_nc_u32_e32 v2, 0x100, v80
	s_wait_loadcnt 0x0
	ds_store_2addr_b64 v2, v[10:11], v[12:13] offset1:1
.LBB120_21:                             ;   in Loop: Header=BB120_11 Depth=3
	s_wait_xcnt 0x0
	s_and_not1_saveexec_b32 s8, s8
	s_cbranch_execz .LBB120_27
; %bb.22:                               ;   in Loop: Header=BB120_11 Depth=3
	s_xor_b32 s9, s9, -1
	s_delay_alu instid0(SALU_CYCLE_1) | instskip(NEXT) | instid1(SALU_CYCLE_1)
	s_and_saveexec_b32 s63, s9
	s_xor_b32 s9, exec_lo, s63
; %bb.23:                               ;   in Loop: Header=BB120_11 Depth=3
	v_dual_mov_b32 v10, v0 :: v_dual_mov_b32 v11, v0
	v_dual_mov_b32 v12, v0 :: v_dual_mov_b32 v13, v0
	ds_store_b128 v80, v[10:13] offset:256
; %bb.24:                               ;   in Loop: Header=BB120_11 Depth=3
	s_and_not1_saveexec_b32 s9, s9
; %bb.25:                               ;   in Loop: Header=BB120_11 Depth=3
	v_dual_mov_b32 v2, v0 :: v_dual_mov_b32 v3, v0
	ds_store_b128 v80, v[0:3] offset:256
; %bb.26:                               ;   in Loop: Header=BB120_11 Depth=3
	s_or_b32 exec_lo, exec_lo, s9
.LBB120_27:                             ;   in Loop: Header=BB120_11 Depth=3
	s_delay_alu instid0(SALU_CYCLE_1)
	s_or_b32 exec_lo, exec_lo, s8
	v_cmp_eq_u64_e64 s8, s[52:53], v[52:53]
	v_cmp_lt_i64_e64 s9, v[8:9], v[48:49]
	v_add_nc_u64_e32 v[8:9], v[44:45], v[50:51]
	s_and_b32 s8, s56, s8
	s_or_b32 s9, vcc_lo, s9
	s_delay_alu instid0(SALU_CYCLE_1) | instskip(NEXT) | instid1(SALU_CYCLE_1)
	s_or_b32 s9, s9, s8
	s_nor_b32 s6, s6, s9
	s_delay_alu instid0(SALU_CYCLE_1) | instskip(NEXT) | instid1(SALU_CYCLE_1)
	s_and_saveexec_b32 s9, s6
	s_xor_b32 s6, exec_lo, s9
	s_cbranch_execz .LBB120_29
; %bb.28:                               ;   in Loop: Header=BB120_11 Depth=3
	global_load_b128 v[10:13], v[8:9], off offset:-256
	v_add_nc_u32_e32 v2, 0x2000, v80
	s_wait_loadcnt 0x0
	ds_store_2addr_b64 v2, v[10:11], v[12:13] offset1:1
.LBB120_29:                             ;   in Loop: Header=BB120_11 Depth=3
	s_wait_xcnt 0x0
	s_and_not1_saveexec_b32 s6, s6
	s_cbranch_execz .LBB120_35
; %bb.30:                               ;   in Loop: Header=BB120_11 Depth=3
	s_xor_b32 s8, s8, -1
	s_delay_alu instid0(SALU_CYCLE_1) | instskip(NEXT) | instid1(SALU_CYCLE_1)
	s_and_saveexec_b32 s9, s8
	s_xor_b32 s8, exec_lo, s9
; %bb.31:                               ;   in Loop: Header=BB120_11 Depth=3
	v_dual_mov_b32 v10, v0 :: v_dual_mov_b32 v11, v0
	v_dual_mov_b32 v12, v0 :: v_dual_mov_b32 v13, v0
	ds_store_b128 v80, v[10:13] offset:8192
; %bb.32:                               ;   in Loop: Header=BB120_11 Depth=3
	s_and_not1_saveexec_b32 s8, s8
; %bb.33:                               ;   in Loop: Header=BB120_11 Depth=3
	v_dual_mov_b32 v2, v0 :: v_dual_mov_b32 v3, v0
	ds_store_b128 v80, v[0:3] offset:8192
; %bb.34:                               ;   in Loop: Header=BB120_11 Depth=3
	s_or_b32 exec_lo, exec_lo, s8
.LBB120_35:                             ;   in Loop: Header=BB120_11 Depth=3
	s_delay_alu instid0(SALU_CYCLE_1) | instskip(SKIP_1) | instid1(SALU_CYCLE_1)
	s_or_b32 exec_lo, exec_lo, s6
	s_or_b32 s5, vcc_lo, s5
	s_or_b32 s5, s7, s5
	s_delay_alu instid0(SALU_CYCLE_1) | instskip(NEXT) | instid1(SALU_CYCLE_1)
	s_nor_b32 s5, s5, s62
	s_and_saveexec_b32 s6, s5
	s_delay_alu instid0(SALU_CYCLE_1)
	s_xor_b32 s5, exec_lo, s6
	s_cbranch_execz .LBB120_37
; %bb.36:                               ;   in Loop: Header=BB120_11 Depth=3
	global_load_b128 v[8:11], v[8:9], off
	s_wait_loadcnt 0x0
	ds_store_2addr_b64 v83, v[8:9], v[10:11] offset1:1
.LBB120_37:                             ;   in Loop: Header=BB120_11 Depth=3
	s_wait_xcnt 0x0
	s_and_not1_saveexec_b32 s5, s5
	s_cbranch_execz .LBB120_43
; %bb.38:                               ;   in Loop: Header=BB120_11 Depth=3
	s_and_saveexec_b32 s6, s61
	s_delay_alu instid0(SALU_CYCLE_1)
	s_xor_b32 s6, exec_lo, s6
; %bb.39:                               ;   in Loop: Header=BB120_11 Depth=3
	v_dual_mov_b32 v8, v0 :: v_dual_mov_b32 v9, v0
	v_dual_mov_b32 v10, v0 :: v_dual_mov_b32 v11, v0
	ds_store_b128 v80, v[8:11] offset:8448
; %bb.40:                               ;   in Loop: Header=BB120_11 Depth=3
	s_and_not1_saveexec_b32 s6, s6
; %bb.41:                               ;   in Loop: Header=BB120_11 Depth=3
	v_dual_mov_b32 v2, v0 :: v_dual_mov_b32 v3, v0
	ds_store_b128 v80, v[0:3] offset:8448
; %bb.42:                               ;   in Loop: Header=BB120_11 Depth=3
	s_or_b32 exec_lo, exec_lo, s6
.LBB120_43:                             ;   in Loop: Header=BB120_11 Depth=3
	s_delay_alu instid0(SALU_CYCLE_1) | instskip(SKIP_2) | instid1(VALU_DEP_2)
	s_or_b32 exec_lo, exec_lo, s5
	v_add_nc_u64_e32 v[2:3], s[52:53], v[32:33]
	v_add_nc_u64_e32 v[8:9], v[56:57], v[38:39]
	v_cmp_le_i64_e64 s5, s[42:43], v[2:3]
	s_nor_b32 s6, s5, s0
	s_delay_alu instid0(SALU_CYCLE_1) | instskip(NEXT) | instid1(SALU_CYCLE_1)
	s_and_saveexec_b32 s7, s6
	s_xor_b32 s6, exec_lo, s7
	s_cbranch_execz .LBB120_45
; %bb.44:                               ;   in Loop: Header=BB120_11 Depth=3
	global_load_b128 v[10:13], v[8:9], off offset:-256
	s_wait_loadcnt 0x0
	ds_store_2addr_b64 v82, v[10:11], v[12:13] offset1:1
.LBB120_45:                             ;   in Loop: Header=BB120_11 Depth=3
	s_wait_xcnt 0x0
	s_and_not1_saveexec_b32 s6, s6
; %bb.46:                               ;   in Loop: Header=BB120_11 Depth=3
	v_dual_mov_b32 v10, v0 :: v_dual_mov_b32 v11, v0
	v_dual_mov_b32 v12, v0 :: v_dual_mov_b32 v13, v0
	ds_store_b128 v82, v[10:13]
; %bb.47:                               ;   in Loop: Header=BB120_11 Depth=3
	s_or_b32 exec_lo, exec_lo, s6
	s_nor_b32 s5, s5, s1
	s_delay_alu instid0(SALU_CYCLE_1) | instskip(NEXT) | instid1(SALU_CYCLE_1)
	s_and_saveexec_b32 s6, s5
	s_xor_b32 s5, exec_lo, s6
	s_cbranch_execz .LBB120_49
; %bb.48:                               ;   in Loop: Header=BB120_11 Depth=3
	global_load_b128 v[8:11], v[8:9], off
	s_wait_loadcnt 0x0
	ds_store_2addr_b64 v84, v[8:9], v[10:11] offset1:1
.LBB120_49:                             ;   in Loop: Header=BB120_11 Depth=3
	s_wait_xcnt 0x0
	s_and_not1_saveexec_b32 s5, s5
; %bb.50:                               ;   in Loop: Header=BB120_11 Depth=3
	v_dual_mov_b32 v8, v0 :: v_dual_mov_b32 v9, v0
	v_dual_mov_b32 v10, v0 :: v_dual_mov_b32 v11, v0
	ds_store_b128 v82, v[8:11] offset:256
; %bb.51:                               ;   in Loop: Header=BB120_11 Depth=3
	s_or_b32 exec_lo, exec_lo, s5
	v_cmp_le_i64_e64 s5, s[48:49], v[2:3]
	v_add_nc_u64_e32 v[2:3], v[56:57], v[42:43]
	s_nor_b32 s6, s5, s0
	s_delay_alu instid0(SALU_CYCLE_1) | instskip(NEXT) | instid1(SALU_CYCLE_1)
	s_and_saveexec_b32 s7, s6
	s_xor_b32 s6, exec_lo, s7
	s_cbranch_execz .LBB120_53
; %bb.52:                               ;   in Loop: Header=BB120_11 Depth=3
	global_load_b128 v[8:11], v[2:3], off offset:-256
	s_wait_loadcnt 0x0
	ds_store_2addr_b64 v85, v[8:9], v[10:11] offset1:1
.LBB120_53:                             ;   in Loop: Header=BB120_11 Depth=3
	s_wait_xcnt 0x0
	s_and_not1_saveexec_b32 s6, s6
; %bb.54:                               ;   in Loop: Header=BB120_11 Depth=3
	v_dual_mov_b32 v8, v0 :: v_dual_mov_b32 v9, v0
	v_dual_mov_b32 v10, v0 :: v_dual_mov_b32 v11, v0
	ds_store_b128 v82, v[8:11] offset:8192
; %bb.55:                               ;   in Loop: Header=BB120_11 Depth=3
	s_or_b32 exec_lo, exec_lo, s6
	s_nor_b32 s5, s5, s1
	s_delay_alu instid0(SALU_CYCLE_1) | instskip(NEXT) | instid1(SALU_CYCLE_1)
	s_and_saveexec_b32 s6, s5
	s_xor_b32 s5, exec_lo, s6
	s_cbranch_execz .LBB120_57
; %bb.56:                               ;   in Loop: Header=BB120_11 Depth=3
	global_load_b128 v[8:11], v[2:3], off
	s_wait_loadcnt 0x0
	ds_store_2addr_b64 v86, v[8:9], v[10:11] offset1:1
.LBB120_57:                             ;   in Loop: Header=BB120_11 Depth=3
	s_wait_xcnt 0x0
	s_and_not1_saveexec_b32 s5, s5
	s_cbranch_execz .LBB120_10
; %bb.58:                               ;   in Loop: Header=BB120_11 Depth=3
	v_dual_mov_b32 v8, v0 :: v_dual_mov_b32 v9, v0
	v_dual_mov_b32 v10, v0 :: v_dual_mov_b32 v11, v0
	ds_store_b128 v82, v[8:11] offset:8448
	s_branch .LBB120_10
.LBB120_59:                             ;   in Loop: Header=BB120_8 Depth=2
	v_mov_b64_e32 v[58:59], 0
	v_mov_b64_e32 v[60:61], 0
	;; [unrolled: 1-line block ×8, first 2 shown]
.LBB120_60:                             ;   in Loop: Header=BB120_8 Depth=2
	v_mul_u64_e32 v[2:3], s[28:29], v[36:37]
	v_cmp_gt_i32_e32 vcc_lo, s10, v36
	s_and_b32 s5, s2, vcc_lo
	s_delay_alu instid0(VALU_DEP_2)
	v_lshl_add_u64 v[2:3], v[2:3], 4, s[50:51]
	s_and_saveexec_b32 s4, s5
	s_cbranch_execz .LBB120_62
; %bb.61:                               ;   in Loop: Header=BB120_8 Depth=2
	s_delay_alu instid0(VALU_DEP_1)
	v_lshl_add_u64 v[12:13], v[24:25], 4, v[2:3]
	v_mul_f64_e32 v[14:15], v[6:7], v[60:61]
	v_mul_f64_e32 v[16:17], v[4:5], v[60:61]
	global_load_b128 v[8:11], v[12:13], off
	v_fma_f64 v[14:15], v[4:5], v[58:59], -v[14:15]
	v_fmac_f64_e32 v[16:17], v[6:7], v[58:59]
	s_wait_loadcnt 0x0
	s_delay_alu instid0(VALU_DEP_2) | instskip(NEXT) | instid1(VALU_DEP_2)
	v_add_f64_e32 v[8:9], v[8:9], v[14:15]
	v_add_f64_e32 v[10:11], v[16:17], v[10:11]
	global_store_b128 v[12:13], v[8:11], off
.LBB120_62:                             ;   in Loop: Header=BB120_8 Depth=2
	s_wait_xcnt 0x0
	s_or_b32 exec_lo, exec_lo, s4
	s_and_b32 s5, s3, vcc_lo
	s_delay_alu instid0(SALU_CYCLE_1)
	s_and_saveexec_b32 s4, s5
	s_cbranch_execz .LBB120_64
; %bb.63:                               ;   in Loop: Header=BB120_8 Depth=2
	v_lshl_add_u64 v[2:3], v[26:27], 4, v[2:3]
	v_mul_f64_e32 v[12:13], v[6:7], v[22:23]
	v_mul_f64_e32 v[14:15], v[4:5], v[22:23]
	global_load_b128 v[8:11], v[2:3], off
	v_fma_f64 v[12:13], v[4:5], v[20:21], -v[12:13]
	v_fmac_f64_e32 v[14:15], v[6:7], v[20:21]
	s_wait_loadcnt 0x0
	s_delay_alu instid0(VALU_DEP_2) | instskip(NEXT) | instid1(VALU_DEP_2)
	v_add_f64_e32 v[8:9], v[8:9], v[12:13]
	v_add_f64_e32 v[10:11], v[14:15], v[10:11]
	global_store_b128 v[2:3], v[8:11], off
.LBB120_64:                             ;   in Loop: Header=BB120_8 Depth=2
	s_wait_xcnt 0x0
	s_or_b32 exec_lo, exec_lo, s4
	v_add_nc_u32_e32 v2, 16, v36
	s_delay_alu instid0(VALU_DEP_1) | instskip(SKIP_1) | instid1(VALU_DEP_2)
	v_ashrrev_i32_e32 v3, 31, v2
	v_cmp_gt_i32_e32 vcc_lo, s10, v2
	v_mul_u64_e32 v[8:9], s[28:29], v[2:3]
	s_and_b32 s5, s2, vcc_lo
	s_delay_alu instid0(VALU_DEP_1)
	v_lshl_add_u64 v[2:3], v[8:9], 4, s[50:51]
	s_and_saveexec_b32 s4, s5
	s_cbranch_execz .LBB120_66
; %bb.65:                               ;   in Loop: Header=BB120_8 Depth=2
	s_delay_alu instid0(VALU_DEP_1)
	v_lshl_add_u64 v[12:13], v[24:25], 4, v[2:3]
	v_mul_f64_e32 v[14:15], v[6:7], v[64:65]
	v_mul_f64_e32 v[16:17], v[4:5], v[64:65]
	global_load_b128 v[8:11], v[12:13], off
	v_fma_f64 v[14:15], v[4:5], v[68:69], -v[14:15]
	v_fmac_f64_e32 v[16:17], v[6:7], v[68:69]
	s_wait_loadcnt 0x0
	s_delay_alu instid0(VALU_DEP_2) | instskip(NEXT) | instid1(VALU_DEP_2)
	v_add_f64_e32 v[8:9], v[8:9], v[14:15]
	v_add_f64_e32 v[10:11], v[16:17], v[10:11]
	global_store_b128 v[12:13], v[8:11], off
.LBB120_66:                             ;   in Loop: Header=BB120_8 Depth=2
	s_wait_xcnt 0x0
	s_or_b32 exec_lo, exec_lo, s4
	s_and_b32 s5, s3, vcc_lo
	s_delay_alu instid0(SALU_CYCLE_1)
	s_and_saveexec_b32 s4, s5
	s_cbranch_execz .LBB120_7
; %bb.67:                               ;   in Loop: Header=BB120_8 Depth=2
	v_lshl_add_u64 v[2:3], v[26:27], 4, v[2:3]
	v_mul_f64_e32 v[12:13], v[6:7], v[62:63]
	v_mul_f64_e32 v[14:15], v[4:5], v[62:63]
	global_load_b128 v[8:11], v[2:3], off
	v_fma_f64 v[12:13], v[4:5], v[66:67], -v[12:13]
	v_fmac_f64_e32 v[14:15], v[6:7], v[66:67]
	s_wait_loadcnt 0x0
	s_delay_alu instid0(VALU_DEP_2) | instskip(NEXT) | instid1(VALU_DEP_2)
	v_add_f64_e32 v[8:9], v[8:9], v[12:13]
	v_add_f64_e32 v[10:11], v[14:15], v[10:11]
	global_store_b128 v[2:3], v[8:11], off
	s_branch .LBB120_7
.LBB120_68:
	s_sendmsg sendmsg(MSG_DEALLOC_VGPRS)
	s_endpgm
	.section	.rodata,"a",@progbits
	.p2align	6, 0x0
	.amdhsa_kernel _ZL30rocblas_trmm_outofplace_kernelI19rocblas_complex_numIdELi32ELi2ELb0ELb0ELb0ELb0EPKS1_S2_S1_Ev17rocblas_diagonal_iiT6_lPT7_lllS7_lllPT8_llli
		.amdhsa_group_segment_fixed_size 32768
		.amdhsa_private_segment_fixed_size 0
		.amdhsa_kernarg_size 392
		.amdhsa_user_sgpr_count 2
		.amdhsa_user_sgpr_dispatch_ptr 0
		.amdhsa_user_sgpr_queue_ptr 0
		.amdhsa_user_sgpr_kernarg_segment_ptr 1
		.amdhsa_user_sgpr_dispatch_id 0
		.amdhsa_user_sgpr_kernarg_preload_length 0
		.amdhsa_user_sgpr_kernarg_preload_offset 0
		.amdhsa_user_sgpr_private_segment_size 0
		.amdhsa_wavefront_size32 1
		.amdhsa_uses_dynamic_stack 0
		.amdhsa_enable_private_segment 0
		.amdhsa_system_sgpr_workgroup_id_x 1
		.amdhsa_system_sgpr_workgroup_id_y 1
		.amdhsa_system_sgpr_workgroup_id_z 1
		.amdhsa_system_sgpr_workgroup_info 0
		.amdhsa_system_vgpr_workitem_id 1
		.amdhsa_next_free_vgpr 98
		.amdhsa_next_free_sgpr 64
		.amdhsa_named_barrier_count 0
		.amdhsa_reserve_vcc 1
		.amdhsa_float_round_mode_32 0
		.amdhsa_float_round_mode_16_64 0
		.amdhsa_float_denorm_mode_32 3
		.amdhsa_float_denorm_mode_16_64 3
		.amdhsa_fp16_overflow 0
		.amdhsa_memory_ordered 1
		.amdhsa_forward_progress 1
		.amdhsa_inst_pref_size 66
		.amdhsa_round_robin_scheduling 0
		.amdhsa_exception_fp_ieee_invalid_op 0
		.amdhsa_exception_fp_denorm_src 0
		.amdhsa_exception_fp_ieee_div_zero 0
		.amdhsa_exception_fp_ieee_overflow 0
		.amdhsa_exception_fp_ieee_underflow 0
		.amdhsa_exception_fp_ieee_inexact 0
		.amdhsa_exception_int_div_zero 0
	.end_amdhsa_kernel
	.section	.text._ZL30rocblas_trmm_outofplace_kernelI19rocblas_complex_numIdELi32ELi2ELb0ELb0ELb0ELb0EPKS1_S2_S1_Ev17rocblas_diagonal_iiT6_lPT7_lllS7_lllPT8_llli,"axG",@progbits,_ZL30rocblas_trmm_outofplace_kernelI19rocblas_complex_numIdELi32ELi2ELb0ELb0ELb0ELb0EPKS1_S2_S1_Ev17rocblas_diagonal_iiT6_lPT7_lllS7_lllPT8_llli,comdat
.Lfunc_end120:
	.size	_ZL30rocblas_trmm_outofplace_kernelI19rocblas_complex_numIdELi32ELi2ELb0ELb0ELb0ELb0EPKS1_S2_S1_Ev17rocblas_diagonal_iiT6_lPT7_lllS7_lllPT8_llli, .Lfunc_end120-_ZL30rocblas_trmm_outofplace_kernelI19rocblas_complex_numIdELi32ELi2ELb0ELb0ELb0ELb0EPKS1_S2_S1_Ev17rocblas_diagonal_iiT6_lPT7_lllS7_lllPT8_llli
                                        ; -- End function
	.set _ZL30rocblas_trmm_outofplace_kernelI19rocblas_complex_numIdELi32ELi2ELb0ELb0ELb0ELb0EPKS1_S2_S1_Ev17rocblas_diagonal_iiT6_lPT7_lllS7_lllPT8_llli.num_vgpr, 98
	.set _ZL30rocblas_trmm_outofplace_kernelI19rocblas_complex_numIdELi32ELi2ELb0ELb0ELb0ELb0EPKS1_S2_S1_Ev17rocblas_diagonal_iiT6_lPT7_lllS7_lllPT8_llli.num_agpr, 0
	.set _ZL30rocblas_trmm_outofplace_kernelI19rocblas_complex_numIdELi32ELi2ELb0ELb0ELb0ELb0EPKS1_S2_S1_Ev17rocblas_diagonal_iiT6_lPT7_lllS7_lllPT8_llli.numbered_sgpr, 64
	.set _ZL30rocblas_trmm_outofplace_kernelI19rocblas_complex_numIdELi32ELi2ELb0ELb0ELb0ELb0EPKS1_S2_S1_Ev17rocblas_diagonal_iiT6_lPT7_lllS7_lllPT8_llli.num_named_barrier, 0
	.set _ZL30rocblas_trmm_outofplace_kernelI19rocblas_complex_numIdELi32ELi2ELb0ELb0ELb0ELb0EPKS1_S2_S1_Ev17rocblas_diagonal_iiT6_lPT7_lllS7_lllPT8_llli.private_seg_size, 0
	.set _ZL30rocblas_trmm_outofplace_kernelI19rocblas_complex_numIdELi32ELi2ELb0ELb0ELb0ELb0EPKS1_S2_S1_Ev17rocblas_diagonal_iiT6_lPT7_lllS7_lllPT8_llli.uses_vcc, 1
	.set _ZL30rocblas_trmm_outofplace_kernelI19rocblas_complex_numIdELi32ELi2ELb0ELb0ELb0ELb0EPKS1_S2_S1_Ev17rocblas_diagonal_iiT6_lPT7_lllS7_lllPT8_llli.uses_flat_scratch, 0
	.set _ZL30rocblas_trmm_outofplace_kernelI19rocblas_complex_numIdELi32ELi2ELb0ELb0ELb0ELb0EPKS1_S2_S1_Ev17rocblas_diagonal_iiT6_lPT7_lllS7_lllPT8_llli.has_dyn_sized_stack, 0
	.set _ZL30rocblas_trmm_outofplace_kernelI19rocblas_complex_numIdELi32ELi2ELb0ELb0ELb0ELb0EPKS1_S2_S1_Ev17rocblas_diagonal_iiT6_lPT7_lllS7_lllPT8_llli.has_recursion, 0
	.set _ZL30rocblas_trmm_outofplace_kernelI19rocblas_complex_numIdELi32ELi2ELb0ELb0ELb0ELb0EPKS1_S2_S1_Ev17rocblas_diagonal_iiT6_lPT7_lllS7_lllPT8_llli.has_indirect_call, 0
	.section	.AMDGPU.csdata,"",@progbits
; Kernel info:
; codeLenInByte = 8360
; TotalNumSgprs: 66
; NumVgprs: 98
; ScratchSize: 0
; MemoryBound: 0
; FloatMode: 240
; IeeeMode: 1
; LDSByteSize: 32768 bytes/workgroup (compile time only)
; SGPRBlocks: 0
; VGPRBlocks: 6
; NumSGPRsForWavesPerEU: 66
; NumVGPRsForWavesPerEU: 98
; NamedBarCnt: 0
; Occupancy: 9
; WaveLimiterHint : 0
; COMPUTE_PGM_RSRC2:SCRATCH_EN: 0
; COMPUTE_PGM_RSRC2:USER_SGPR: 2
; COMPUTE_PGM_RSRC2:TRAP_HANDLER: 0
; COMPUTE_PGM_RSRC2:TGID_X_EN: 1
; COMPUTE_PGM_RSRC2:TGID_Y_EN: 1
; COMPUTE_PGM_RSRC2:TGID_Z_EN: 1
; COMPUTE_PGM_RSRC2:TIDIG_COMP_CNT: 1
	.section	.text._ZL30rocblas_trmm_outofplace_kernelI19rocblas_complex_numIdELi32ELi2ELb0ELb0ELb0ELb0ES1_KS1_S1_Ev17rocblas_diagonal_iiT6_lPT7_lllS6_lllPT8_llli,"axG",@progbits,_ZL30rocblas_trmm_outofplace_kernelI19rocblas_complex_numIdELi32ELi2ELb0ELb0ELb0ELb0ES1_KS1_S1_Ev17rocblas_diagonal_iiT6_lPT7_lllS6_lllPT8_llli,comdat
	.globl	_ZL30rocblas_trmm_outofplace_kernelI19rocblas_complex_numIdELi32ELi2ELb0ELb0ELb0ELb0ES1_KS1_S1_Ev17rocblas_diagonal_iiT6_lPT7_lllS6_lllPT8_llli ; -- Begin function _ZL30rocblas_trmm_outofplace_kernelI19rocblas_complex_numIdELi32ELi2ELb0ELb0ELb0ELb0ES1_KS1_S1_Ev17rocblas_diagonal_iiT6_lPT7_lllS6_lllPT8_llli
	.p2align	8
	.type	_ZL30rocblas_trmm_outofplace_kernelI19rocblas_complex_numIdELi32ELi2ELb0ELb0ELb0ELb0ES1_KS1_S1_Ev17rocblas_diagonal_iiT6_lPT7_lllS6_lllPT8_llli,@function
_ZL30rocblas_trmm_outofplace_kernelI19rocblas_complex_numIdELi32ELi2ELb0ELb0ELb0ELb0ES1_KS1_S1_Ev17rocblas_diagonal_iiT6_lPT7_lllS6_lllPT8_llli: ; @_ZL30rocblas_trmm_outofplace_kernelI19rocblas_complex_numIdELi32ELi2ELb0ELb0ELb0ELb0ES1_KS1_S1_Ev17rocblas_diagonal_iiT6_lPT7_lllS6_lllPT8_llli
; %bb.0:
	s_load_b32 s33, s[0:1], 0x88
	s_bfe_u32 s2, ttmp6, 0x40014
	s_lshr_b32 s3, ttmp7, 16
	s_add_co_i32 s2, s2, 1
	s_bfe_u32 s5, ttmp6, 0x40008
	s_mul_i32 s4, s3, s2
	s_getreg_b32 s2, hwreg(HW_REG_IB_STS2, 6, 4)
	s_add_co_i32 s5, s5, s4
	s_cmp_eq_u32 s2, 0
	s_cselect_b32 s34, s3, s5
	s_wait_kmcnt 0x0
	s_cmp_ge_u32 s34, s33
	s_cbranch_scc1 .LBB121_67
; %bb.1:
	s_load_b128 s[36:39], s[0:1], 0x10
	s_wait_kmcnt 0x0
	v_cmp_eq_f64_e64 s3, s[36:37], 0
	v_cmp_eq_f64_e64 s4, s[38:39], 0
	s_and_b32 s3, s3, s4
	s_delay_alu instid0(SALU_CYCLE_1)
	s_and_b32 vcc_lo, exec_lo, s3
	s_cbranch_vccnz .LBB121_67
; %bb.2:
	s_clause 0x1
	s_load_b96 s[40:42], s[0:1], 0x0
	s_load_b512 s[8:23], s[0:1], 0x28
	s_bfe_u32 s4, ttmp6, 0x4000c
	s_and_b32 s3, ttmp6, 15
	s_add_co_i32 s4, s4, 1
	s_bfe_u32 s6, ttmp6, 0x40010
	s_add_nc_u64 s[44:45], s[0:1], 0x90
	s_load_b256 s[24:31], s[0:1], 0x68
	s_wait_xcnt 0x0
	s_mul_i32 s0, ttmp9, s4
	s_and_b32 s5, ttmp7, 0xffff
	s_add_co_i32 s6, s6, 1
	s_add_co_i32 s3, s3, s0
	s_bfe_u32 s7, ttmp6, 0x40004
	s_mul_i32 s1, s5, s6
	v_and_b32_e32 v2, 0x3ff, v0
	s_add_co_i32 s7, s7, s1
	v_bfe_u32 v66, v0, 10, 10
	s_mov_b32 s35, 0
	s_wait_kmcnt 0x0
	s_add_co_i32 s0, s42, -1
	s_mov_b32 s46, s42
	s_ashr_i32 s4, s0, 31
	s_delay_alu instid0(SALU_CYCLE_1) | instskip(NEXT) | instid1(SALU_CYCLE_1)
	s_lshr_b32 s1, s4, 27
	s_add_co_i32 s0, s0, s1
	s_delay_alu instid0(SALU_CYCLE_1)
	s_ashr_i32 s43, s0, 5
	s_cmp_eq_u32 s2, 0
	s_cselect_b32 s0, ttmp9, s3
	s_cselect_b32 s54, s5, s7
	v_lshl_add_u32 v14, s0, 5, v2
	s_cmp_le_i32 s54, s43
	s_mov_b32 s0, s41
	s_cselect_b32 s55, -1, 0
	s_cmp_eq_u32 s40, 0x84
	v_add_nc_u32_e32 v16, 16, v14
	v_lshlrev_b32_e32 v67, 9, v66
	s_cselect_b32 s56, -1, 0
	s_ashr_i32 s1, s41, 31
	s_lshl_b64 s[4:5], s[18:19], 4
	v_dual_ashrrev_i32 v17, 31, v16 :: v_dual_lshlrev_b32 v0, 4, v2
	s_add_nc_u64 s[4:5], s[16:17], s[4:5]
	s_lshl_b32 s6, s54, 5
	v_cmp_gt_i32_e64 s2, s41, v14
	v_add_nc_u32_e32 v77, s6, v2
	v_or_b32_e32 v68, 0x4000, v0
	v_add_nc_u32_e32 v78, s6, v66
	s_ashr_i32 s47, s42, 31
	s_lshl_b64 s[16:17], s[20:21], 4
	s_delay_alu instid0(VALU_DEP_2) | instskip(SKIP_3) | instid1(VALU_DEP_2)
	v_dual_ashrrev_i32 v15, 31, v14 :: v_dual_add_nc_u32 v70, v68, v67
	v_add_nc_u32_e32 v69, v67, v0
	s_add_nc_u64 s[48:49], s[46:47], -16
	s_lshl_b64 s[14:15], s[14:15], 4
	v_sub_nc_u64_e32 v[0:1], s[0:1], v[14:15]
	s_lshl_b64 s[0:1], s[26:27], 4
	v_lshl_add_u64 v[18:19], v[14:15], 4, s[4:5]
	s_add_nc_u64 s[24:25], s[24:25], s[0:1]
	s_lshl_b64 s[4:5], s[10:11], 4
	v_add_nc_u32_e32 v71, 0x100, v69
	v_add_nc_u32_e32 v72, 0x2000, v69
	v_cmp_gt_i64_e64 s0, 1, v[0:1]
	v_cmp_gt_i64_e64 s1, 17, v[0:1]
	v_add_nc_u32_e32 v73, 0x2100, v69
	v_add_nc_u32_e32 v74, 0x100, v70
	v_add_nc_u32_e32 v75, 0x2000, v70
	v_add_nc_u32_e32 v76, 0x2100, v70
	v_dual_mov_b32 v0, 0 :: v_dual_mov_b32 v1, 0x3ff00000
	v_cmp_gt_i32_e64 s3, s41, v16
	s_add_nc_u64 s[4:5], s[8:9], s[4:5]
	s_lshl_b64 s[26:27], s[20:21], 9
	s_lshl_b64 s[10:11], s[22:23], 4
	s_add_nc_u64 s[18:19], s[4:5], 0x100
	s_lshl_b64 s[22:23], s[12:13], 4
	s_branch .LBB121_4
.LBB121_3:                              ;   in Loop: Header=BB121_4 Depth=1
	s_add_co_i32 s34, s34, 0x10000
	s_delay_alu instid0(SALU_CYCLE_1)
	s_cmp_ge_u32 s34, s33
	s_cbranch_scc1 .LBB121_67
.LBB121_4:                              ; =>This Loop Header: Depth=1
                                        ;     Child Loop BB121_7 Depth 2
                                        ;       Child Loop BB121_10 Depth 3
	s_and_not1_b32 vcc_lo, exec_lo, s55
	s_cbranch_vccnz .LBB121_3
; %bb.5:                                ;   in Loop: Header=BB121_4 Depth=1
	s_load_b32 s57, s[44:45], 0x4
	v_mad_nc_u64_u32 v[20:21], s10, s34, v[18:19]
	s_mul_u64 s[6:7], s[30:31], s[34:35]
	v_dual_mov_b32 v22, v78 :: v_dual_mov_b32 v24, v77
	s_mul_u64 s[4:5], s[14:15], s[34:35]
	s_lshl_b64 s[6:7], s[6:7], 4
	s_add_nc_u64 s[40:41], s[18:19], s[4:5]
	s_add_nc_u64 s[50:51], s[24:25], s[6:7]
	s_mov_b32 s59, s54
	s_delay_alu instid0(VALU_DEP_2)
	v_mad_u32 v21, s11, s34, v21
	s_wait_kmcnt 0x0
	s_lshl_b32 s58, s57, 5
	s_branch .LBB121_7
.LBB121_6:                              ;   in Loop: Header=BB121_7 Depth=2
	s_wait_xcnt 0x0
	s_or_b32 exec_lo, exec_lo, s4
	v_dual_add_nc_u32 v24, s58, v24 :: v_dual_add_nc_u32 v22, s58, v22
	s_add_co_i32 s59, s57, s59
	s_delay_alu instid0(SALU_CYCLE_1)
	s_cmp_gt_i32 s59, s43
	s_cbranch_scc1 .LBB121_3
.LBB121_7:                              ;   Parent Loop BB121_4 Depth=1
                                        ; =>  This Loop Header: Depth=2
                                        ;       Child Loop BB121_10 Depth 3
	s_lshl_b32 s4, s59, 5
	v_ashrrev_i32_e32 v23, 31, v22
	v_dual_add_nc_u32 v26, s4, v66 :: v_dual_ashrrev_i32 v25, 31, v24
	s_sub_co_i32 s60, s42, s4
	s_delay_alu instid0(SALU_CYCLE_1) | instskip(NEXT) | instid1(VALU_DEP_1)
	s_cmp_lt_i32 s60, 1
	v_ashrrev_i32_e32 v27, 31, v26
	s_cbranch_scc1 .LBB121_58
; %bb.8:                                ;   in Loop: Header=BB121_7 Depth=2
	v_lshl_add_u64 v[2:3], v[22:23], 4, 0x100
	v_mad_nc_u64_u32 v[28:29], s16, v22, 0x100
	v_mad_nc_u64_u32 v[30:31], s22, v22, s[40:41]
	v_sub_nc_u64_e32 v[36:37], v[22:23], v[24:25]
	v_add_nc_u64_e32 v[38:39], 16, v[26:27]
	v_mad_nc_u64_u32 v[32:33], s20, v2, 0x100
	v_mad_nc_u64_u32 v[34:35], s12, v2, s[40:41]
	v_lshlrev_b64_e32 v[40:41], 4, v[24:25]
	v_mov_b64_e32 v[56:57], 0
	v_mov_b64_e32 v[64:65], 0
	;; [unrolled: 1-line block ×3, first 2 shown]
	v_add_nc_u64_e32 v[42:43], 16, v[36:37]
	v_mad_u32 v4, s17, v22, v29
	v_mad_u32 v5, s23, v22, v31
	v_add_nc_u64_e32 v[44:45], -16, v[36:37]
	v_mov_b64_e32 v[62:63], 0
	v_mad_u32 v6, s21, v2, v33
	v_mad_u32 v2, s13, v2, v35
	v_mov_b64_e32 v[50:51], 0
	v_mov_b64_e32 v[48:49], 0
	;; [unrolled: 1-line block ×5, first 2 shown]
	v_mad_u32 v29, s16, v23, v4
	v_mad_u32 v31, s22, v23, v5
	v_cmp_le_i32_e64 s4, s42, v26
	s_mov_b64 s[52:53], 0
	v_mad_u32 v33, s20, v3, v6
	v_mad_u32 v35, s12, v3, v2
	v_cmp_le_i64_e32 vcc_lo, s[46:47], v[38:39]
	s_branch .LBB121_10
.LBB121_9:                              ;   in Loop: Header=BB121_10 Depth=3
	s_or_b32 exec_lo, exec_lo, s5
	s_wait_dscnt 0x0
	s_barrier_signal -1
	s_barrier_wait -1
	ds_load_b128 v[80:83], v67
	ds_load_b128 v[10:13], v67 offset:16
	ds_load_b128 v[6:9], v67 offset:32
	;; [unrolled: 1-line block ×3, first 2 shown]
	ds_load_b128 v[84:87], v68
	v_add_nc_u64_e32 v[46:47], s[26:27], v[46:47]
	v_add_nc_u64_e32 v[34:35], 0x200, v[34:35]
	;; [unrolled: 1-line block ×3, first 2 shown]
	s_add_nc_u64 s[52:53], s[52:53], 32
	s_delay_alu instid0(SALU_CYCLE_1) | instskip(SKIP_3) | instid1(VALU_DEP_2)
	s_cmp_ge_i32 s52, s60
	s_wait_dscnt 0x0
	v_mul_f64_e32 v[58:59], v[82:83], v[86:87]
	v_mul_f64_e32 v[88:89], v[80:81], v[86:87]
	v_fma_f64 v[58:59], v[80:81], v[84:85], -v[58:59]
	s_delay_alu instid0(VALU_DEP_2) | instskip(NEXT) | instid1(VALU_DEP_2)
	v_fmac_f64_e32 v[88:89], v[82:83], v[84:85]
	v_add_f64_e32 v[58:59], v[52:53], v[58:59]
	s_delay_alu instid0(VALU_DEP_2) | instskip(SKIP_3) | instid1(VALU_DEP_1)
	v_add_f64_e32 v[88:89], v[88:89], v[54:55]
	ds_load_b128 v[52:55], v68 offset:256
	s_wait_dscnt 0x0
	v_mul_f64_e32 v[90:91], v[82:83], v[54:55]
	v_fma_f64 v[90:91], v[80:81], v[52:53], -v[90:91]
	v_mul_f64_e32 v[80:81], v[80:81], v[54:55]
	s_delay_alu instid0(VALU_DEP_2) | instskip(NEXT) | instid1(VALU_DEP_2)
	v_add_f64_e32 v[90:91], v[48:49], v[90:91]
	v_fmac_f64_e32 v[80:81], v[82:83], v[52:53]
	s_delay_alu instid0(VALU_DEP_1) | instskip(SKIP_4) | instid1(VALU_DEP_2)
	v_add_f64_e32 v[92:93], v[80:81], v[50:51]
	ds_load_b128 v[80:83], v67 offset:8192
	s_wait_dscnt 0x0
	v_mul_f64_e32 v[50:51], v[80:81], v[86:87]
	v_mul_f64_e32 v[48:49], v[82:83], v[86:87]
	v_fmac_f64_e32 v[50:51], v[82:83], v[84:85]
	s_delay_alu instid0(VALU_DEP_2) | instskip(NEXT) | instid1(VALU_DEP_2)
	v_fma_f64 v[48:49], v[80:81], v[84:85], -v[48:49]
	v_add_f64_e32 v[50:51], v[50:51], v[60:61]
	v_mul_f64_e32 v[60:61], v[82:83], v[54:55]
	v_mul_f64_e32 v[54:55], v[80:81], v[54:55]
	s_delay_alu instid0(VALU_DEP_4) | instskip(NEXT) | instid1(VALU_DEP_3)
	v_add_f64_e32 v[48:49], v[62:63], v[48:49]
	v_fma_f64 v[60:61], v[80:81], v[52:53], -v[60:61]
	s_delay_alu instid0(VALU_DEP_3)
	v_fmac_f64_e32 v[54:55], v[82:83], v[52:53]
	ds_load_b128 v[80:83], v68 offset:768
	s_wait_dscnt 0x0
	v_mul_f64_e32 v[84:85], v[10:11], v[82:83]
	v_add_f64_e32 v[52:53], v[64:65], v[60:61]
	ds_load_b128 v[60:63], v68 offset:512
	v_add_f64_e32 v[54:55], v[54:55], v[56:57]
	s_wait_dscnt 0x0
	v_mul_f64_e32 v[56:57], v[12:13], v[62:63]
	v_mul_f64_e32 v[64:65], v[10:11], v[62:63]
	v_fmac_f64_e32 v[84:85], v[12:13], v[80:81]
	s_delay_alu instid0(VALU_DEP_3) | instskip(NEXT) | instid1(VALU_DEP_3)
	v_fma_f64 v[56:57], v[10:11], v[60:61], -v[56:57]
	v_fmac_f64_e32 v[64:65], v[12:13], v[60:61]
	s_delay_alu instid0(VALU_DEP_2) | instskip(NEXT) | instid1(VALU_DEP_2)
	v_add_f64_e32 v[56:57], v[58:59], v[56:57]
	v_add_f64_e32 v[58:59], v[64:65], v[88:89]
	v_mul_f64_e32 v[64:65], v[12:13], v[82:83]
	v_add_f64_e32 v[12:13], v[84:85], v[92:93]
	ds_load_b128 v[84:87], v67 offset:8208
	v_fma_f64 v[64:65], v[10:11], v[80:81], -v[64:65]
	s_delay_alu instid0(VALU_DEP_1) | instskip(SKIP_3) | instid1(VALU_DEP_2)
	v_add_f64_e32 v[10:11], v[90:91], v[64:65]
	s_wait_dscnt 0x0
	v_mul_f64_e32 v[64:65], v[86:87], v[62:63]
	v_mul_f64_e32 v[62:63], v[84:85], v[62:63]
	v_fma_f64 v[64:65], v[84:85], v[60:61], -v[64:65]
	s_delay_alu instid0(VALU_DEP_2) | instskip(NEXT) | instid1(VALU_DEP_2)
	v_fmac_f64_e32 v[62:63], v[86:87], v[60:61]
	v_add_f64_e32 v[60:61], v[48:49], v[64:65]
	s_delay_alu instid0(VALU_DEP_2) | instskip(SKIP_2) | instid1(VALU_DEP_2)
	v_add_f64_e32 v[62:63], v[62:63], v[50:51]
	v_mul_f64_e32 v[48:49], v[86:87], v[82:83]
	v_mul_f64_e32 v[50:51], v[84:85], v[82:83]
	v_fma_f64 v[48:49], v[84:85], v[80:81], -v[48:49]
	s_delay_alu instid0(VALU_DEP_2) | instskip(NEXT) | instid1(VALU_DEP_2)
	v_fmac_f64_e32 v[50:51], v[86:87], v[80:81]
	v_add_f64_e32 v[64:65], v[52:53], v[48:49]
	s_delay_alu instid0(VALU_DEP_2) | instskip(SKIP_4) | instid1(VALU_DEP_2)
	v_add_f64_e32 v[80:81], v[50:51], v[54:55]
	ds_load_b128 v[48:51], v68 offset:1024
	s_wait_dscnt 0x0
	v_mul_f64_e32 v[52:53], v[8:9], v[50:51]
	v_mul_f64_e32 v[54:55], v[6:7], v[50:51]
	v_fma_f64 v[52:53], v[6:7], v[48:49], -v[52:53]
	s_delay_alu instid0(VALU_DEP_2) | instskip(NEXT) | instid1(VALU_DEP_2)
	v_fmac_f64_e32 v[54:55], v[8:9], v[48:49]
	v_add_f64_e32 v[82:83], v[56:57], v[52:53]
	s_delay_alu instid0(VALU_DEP_2) | instskip(SKIP_3) | instid1(VALU_DEP_1)
	v_add_f64_e32 v[84:85], v[54:55], v[58:59]
	ds_load_b128 v[52:55], v68 offset:1280
	s_wait_dscnt 0x0
	v_mul_f64_e32 v[56:57], v[8:9], v[54:55]
	v_fma_f64 v[56:57], v[6:7], v[52:53], -v[56:57]
	v_mul_f64_e32 v[6:7], v[6:7], v[54:55]
	s_delay_alu instid0(VALU_DEP_2) | instskip(NEXT) | instid1(VALU_DEP_2)
	v_add_f64_e32 v[86:87], v[10:11], v[56:57]
	v_fmac_f64_e32 v[6:7], v[8:9], v[52:53]
	s_delay_alu instid0(VALU_DEP_1) | instskip(SKIP_4) | instid1(VALU_DEP_2)
	v_add_f64_e32 v[88:89], v[6:7], v[12:13]
	ds_load_b128 v[6:9], v67 offset:8224
	s_wait_dscnt 0x0
	v_mul_f64_e32 v[10:11], v[8:9], v[50:51]
	v_mul_f64_e32 v[12:13], v[6:7], v[50:51]
	v_fma_f64 v[10:11], v[6:7], v[48:49], -v[10:11]
	s_delay_alu instid0(VALU_DEP_2) | instskip(NEXT) | instid1(VALU_DEP_2)
	v_fmac_f64_e32 v[12:13], v[8:9], v[48:49]
	v_add_f64_e32 v[56:57], v[60:61], v[10:11]
	v_mul_f64_e32 v[10:11], v[8:9], v[54:55]
	s_delay_alu instid0(VALU_DEP_3) | instskip(NEXT) | instid1(VALU_DEP_2)
	v_add_f64_e32 v[58:59], v[12:13], v[62:63]
	v_fma_f64 v[10:11], v[6:7], v[52:53], -v[10:11]
	v_mul_f64_e32 v[6:7], v[6:7], v[54:55]
	s_delay_alu instid0(VALU_DEP_1) | instskip(NEXT) | instid1(VALU_DEP_3)
	v_fmac_f64_e32 v[6:7], v[8:9], v[52:53]
	v_add_f64_e32 v[52:53], v[64:65], v[10:11]
	ds_load_b128 v[10:13], v68 offset:1536
	s_wait_dscnt 0x0
	v_mul_f64_e32 v[8:9], v[2:3], v[12:13]
	v_add_f64_e32 v[54:55], v[6:7], v[80:81]
	v_mul_f64_e32 v[6:7], v[4:5], v[12:13]
	s_delay_alu instid0(VALU_DEP_3) | instskip(NEXT) | instid1(VALU_DEP_2)
	v_fmac_f64_e32 v[8:9], v[4:5], v[10:11]
	v_fma_f64 v[6:7], v[2:3], v[10:11], -v[6:7]
	s_delay_alu instid0(VALU_DEP_2) | instskip(NEXT) | instid1(VALU_DEP_2)
	v_add_f64_e32 v[50:51], v[8:9], v[84:85]
	v_add_f64_e32 v[48:49], v[82:83], v[6:7]
	ds_load_b128 v[6:9], v68 offset:1792
	s_wait_dscnt 0x0
	v_mul_f64_e32 v[60:61], v[4:5], v[8:9]
	v_mul_f64_e32 v[62:63], v[2:3], v[8:9]
	s_delay_alu instid0(VALU_DEP_2) | instskip(NEXT) | instid1(VALU_DEP_2)
	v_fma_f64 v[60:61], v[2:3], v[6:7], -v[60:61]
	v_fmac_f64_e32 v[62:63], v[4:5], v[6:7]
	s_delay_alu instid0(VALU_DEP_2) | instskip(NEXT) | instid1(VALU_DEP_2)
	v_add_f64_e32 v[2:3], v[86:87], v[60:61]
	v_add_f64_e32 v[4:5], v[62:63], v[88:89]
	ds_load_b128 v[60:63], v67 offset:8240
	s_wait_dscnt 0x0
	v_mul_f64_e32 v[64:65], v[62:63], v[12:13]
	v_mul_f64_e32 v[12:13], v[60:61], v[12:13]
	s_delay_alu instid0(VALU_DEP_2) | instskip(NEXT) | instid1(VALU_DEP_2)
	v_fma_f64 v[64:65], v[60:61], v[10:11], -v[64:65]
	v_fmac_f64_e32 v[12:13], v[62:63], v[10:11]
	v_mul_f64_e32 v[10:11], v[62:63], v[8:9]
	v_mul_f64_e32 v[8:9], v[60:61], v[8:9]
	s_delay_alu instid0(VALU_DEP_4) | instskip(NEXT) | instid1(VALU_DEP_4)
	v_add_f64_e32 v[56:57], v[56:57], v[64:65]
	v_add_f64_e32 v[58:59], v[12:13], v[58:59]
	s_delay_alu instid0(VALU_DEP_4) | instskip(NEXT) | instid1(VALU_DEP_4)
	v_fma_f64 v[10:11], v[60:61], v[6:7], -v[10:11]
	v_fmac_f64_e32 v[8:9], v[62:63], v[6:7]
	s_delay_alu instid0(VALU_DEP_2) | instskip(NEXT) | instid1(VALU_DEP_2)
	v_add_f64_e32 v[52:53], v[52:53], v[10:11]
	v_add_f64_e32 v[54:55], v[8:9], v[54:55]
	ds_load_b128 v[6:9], v67 offset:64
	ds_load_b128 v[10:13], v68 offset:2048
	s_wait_dscnt 0x0
	v_mul_f64_e32 v[60:61], v[8:9], v[12:13]
	v_mul_f64_e32 v[62:63], v[6:7], v[12:13]
	s_delay_alu instid0(VALU_DEP_2) | instskip(NEXT) | instid1(VALU_DEP_2)
	v_fma_f64 v[60:61], v[6:7], v[10:11], -v[60:61]
	v_fmac_f64_e32 v[62:63], v[8:9], v[10:11]
	s_delay_alu instid0(VALU_DEP_2) | instskip(NEXT) | instid1(VALU_DEP_2)
	v_add_f64_e32 v[60:61], v[48:49], v[60:61]
	v_add_f64_e32 v[62:63], v[62:63], v[50:51]
	ds_load_b128 v[48:51], v68 offset:2304
	s_wait_dscnt 0x0
	v_mul_f64_e32 v[64:65], v[8:9], v[50:51]
	s_delay_alu instid0(VALU_DEP_1) | instskip(SKIP_1) | instid1(VALU_DEP_2)
	v_fma_f64 v[64:65], v[6:7], v[48:49], -v[64:65]
	v_mul_f64_e32 v[6:7], v[6:7], v[50:51]
	v_add_f64_e32 v[64:65], v[2:3], v[64:65]
	s_delay_alu instid0(VALU_DEP_2) | instskip(NEXT) | instid1(VALU_DEP_1)
	v_fmac_f64_e32 v[6:7], v[8:9], v[48:49]
	v_add_f64_e32 v[80:81], v[6:7], v[4:5]
	ds_load_b128 v[2:5], v67 offset:8256
	s_wait_dscnt 0x0
	v_mul_f64_e32 v[6:7], v[4:5], v[12:13]
	v_mul_f64_e32 v[8:9], v[2:3], v[12:13]
	s_delay_alu instid0(VALU_DEP_2) | instskip(NEXT) | instid1(VALU_DEP_2)
	v_fma_f64 v[6:7], v[2:3], v[10:11], -v[6:7]
	v_fmac_f64_e32 v[8:9], v[4:5], v[10:11]
	s_delay_alu instid0(VALU_DEP_2) | instskip(SKIP_1) | instid1(VALU_DEP_3)
	v_add_f64_e32 v[10:11], v[56:57], v[6:7]
	v_mul_f64_e32 v[6:7], v[4:5], v[50:51]
	v_add_f64_e32 v[12:13], v[8:9], v[58:59]
	s_delay_alu instid0(VALU_DEP_2) | instskip(SKIP_1) | instid1(VALU_DEP_2)
	v_fma_f64 v[6:7], v[2:3], v[48:49], -v[6:7]
	v_mul_f64_e32 v[2:3], v[2:3], v[50:51]
	v_add_f64_e32 v[6:7], v[52:53], v[6:7]
	s_delay_alu instid0(VALU_DEP_2)
	v_fmac_f64_e32 v[2:3], v[4:5], v[48:49]
	ds_load_b128 v[48:51], v67 offset:80
	ds_load_b128 v[56:59], v68 offset:2560
	s_wait_dscnt 0x0
	v_mul_f64_e32 v[4:5], v[48:49], v[58:59]
	v_add_f64_e32 v[8:9], v[2:3], v[54:55]
	v_mul_f64_e32 v[2:3], v[50:51], v[58:59]
	s_delay_alu instid0(VALU_DEP_3) | instskip(NEXT) | instid1(VALU_DEP_2)
	v_fmac_f64_e32 v[4:5], v[50:51], v[56:57]
	v_fma_f64 v[2:3], v[48:49], v[56:57], -v[2:3]
	s_delay_alu instid0(VALU_DEP_2) | instskip(NEXT) | instid1(VALU_DEP_2)
	v_add_f64_e32 v[54:55], v[4:5], v[62:63]
	v_add_f64_e32 v[52:53], v[60:61], v[2:3]
	ds_load_b128 v[2:5], v68 offset:2816
	s_wait_dscnt 0x0
	v_mul_f64_e32 v[60:61], v[50:51], v[4:5]
	v_mul_f64_e32 v[62:63], v[48:49], v[4:5]
	s_delay_alu instid0(VALU_DEP_2) | instskip(NEXT) | instid1(VALU_DEP_2)
	v_fma_f64 v[60:61], v[48:49], v[2:3], -v[60:61]
	v_fmac_f64_e32 v[62:63], v[50:51], v[2:3]
	s_delay_alu instid0(VALU_DEP_2) | instskip(NEXT) | instid1(VALU_DEP_2)
	v_add_f64_e32 v[48:49], v[64:65], v[60:61]
	v_add_f64_e32 v[50:51], v[62:63], v[80:81]
	ds_load_b128 v[60:63], v67 offset:8272
	s_wait_dscnt 0x0
	v_mul_f64_e32 v[64:65], v[62:63], v[58:59]
	v_mul_f64_e32 v[58:59], v[60:61], v[58:59]
	s_delay_alu instid0(VALU_DEP_2) | instskip(NEXT) | instid1(VALU_DEP_2)
	v_fma_f64 v[64:65], v[60:61], v[56:57], -v[64:65]
	v_fmac_f64_e32 v[58:59], v[62:63], v[56:57]
	v_mul_f64_e32 v[56:57], v[62:63], v[4:5]
	v_mul_f64_e32 v[4:5], v[60:61], v[4:5]
	s_delay_alu instid0(VALU_DEP_4) | instskip(NEXT) | instid1(VALU_DEP_4)
	v_add_f64_e32 v[10:11], v[10:11], v[64:65]
	v_add_f64_e32 v[12:13], v[58:59], v[12:13]
	s_delay_alu instid0(VALU_DEP_4) | instskip(NEXT) | instid1(VALU_DEP_4)
	v_fma_f64 v[56:57], v[60:61], v[2:3], -v[56:57]
	v_fmac_f64_e32 v[4:5], v[62:63], v[2:3]
	s_delay_alu instid0(VALU_DEP_2) | instskip(NEXT) | instid1(VALU_DEP_2)
	v_add_f64_e32 v[56:57], v[6:7], v[56:57]
	v_add_f64_e32 v[58:59], v[4:5], v[8:9]
	ds_load_b128 v[2:5], v67 offset:96
	ds_load_b128 v[6:9], v68 offset:3072
	s_wait_dscnt 0x0
	v_mul_f64_e32 v[60:61], v[4:5], v[8:9]
	v_mul_f64_e32 v[62:63], v[2:3], v[8:9]
	s_delay_alu instid0(VALU_DEP_2) | instskip(NEXT) | instid1(VALU_DEP_2)
	v_fma_f64 v[60:61], v[2:3], v[6:7], -v[60:61]
	v_fmac_f64_e32 v[62:63], v[4:5], v[6:7]
	s_delay_alu instid0(VALU_DEP_2) | instskip(NEXT) | instid1(VALU_DEP_2)
	v_add_f64_e32 v[60:61], v[52:53], v[60:61]
	v_add_f64_e32 v[62:63], v[62:63], v[54:55]
	ds_load_b128 v[52:55], v68 offset:3328
	s_wait_dscnt 0x0
	v_mul_f64_e32 v[64:65], v[4:5], v[54:55]
	s_delay_alu instid0(VALU_DEP_1) | instskip(SKIP_1) | instid1(VALU_DEP_2)
	v_fma_f64 v[64:65], v[2:3], v[52:53], -v[64:65]
	v_mul_f64_e32 v[2:3], v[2:3], v[54:55]
	v_add_f64_e32 v[64:65], v[48:49], v[64:65]
	s_delay_alu instid0(VALU_DEP_2) | instskip(NEXT) | instid1(VALU_DEP_1)
	v_fmac_f64_e32 v[2:3], v[4:5], v[52:53]
	v_add_f64_e32 v[80:81], v[2:3], v[50:51]
	ds_load_b128 v[2:5], v67 offset:8288
	s_wait_dscnt 0x0
	v_mul_f64_e32 v[48:49], v[4:5], v[8:9]
	v_mul_f64_e32 v[8:9], v[2:3], v[8:9]
	s_delay_alu instid0(VALU_DEP_2) | instskip(NEXT) | instid1(VALU_DEP_2)
	v_fma_f64 v[48:49], v[2:3], v[6:7], -v[48:49]
	v_fmac_f64_e32 v[8:9], v[4:5], v[6:7]
	v_mul_f64_e32 v[6:7], v[4:5], v[54:55]
	s_delay_alu instid0(VALU_DEP_3) | instskip(NEXT) | instid1(VALU_DEP_3)
	v_add_f64_e32 v[10:11], v[10:11], v[48:49]
	v_add_f64_e32 v[12:13], v[8:9], v[12:13]
	s_delay_alu instid0(VALU_DEP_3) | instskip(SKIP_1) | instid1(VALU_DEP_2)
	v_fma_f64 v[6:7], v[2:3], v[52:53], -v[6:7]
	v_mul_f64_e32 v[2:3], v[2:3], v[54:55]
	v_add_f64_e32 v[6:7], v[56:57], v[6:7]
	s_delay_alu instid0(VALU_DEP_2) | instskip(NEXT) | instid1(VALU_DEP_1)
	v_fmac_f64_e32 v[2:3], v[4:5], v[52:53]
	v_add_f64_e32 v[8:9], v[2:3], v[58:59]
	ds_load_b128 v[48:51], v67 offset:112
	ds_load_b128 v[56:59], v68 offset:3584
	s_wait_dscnt 0x0
	v_mul_f64_e32 v[2:3], v[50:51], v[58:59]
	v_mul_f64_e32 v[4:5], v[48:49], v[58:59]
	s_delay_alu instid0(VALU_DEP_2) | instskip(NEXT) | instid1(VALU_DEP_2)
	v_fma_f64 v[2:3], v[48:49], v[56:57], -v[2:3]
	v_fmac_f64_e32 v[4:5], v[50:51], v[56:57]
	s_delay_alu instid0(VALU_DEP_2) | instskip(NEXT) | instid1(VALU_DEP_2)
	v_add_f64_e32 v[52:53], v[60:61], v[2:3]
	v_add_f64_e32 v[54:55], v[4:5], v[62:63]
	ds_load_b128 v[2:5], v68 offset:3840
	s_wait_dscnt 0x0
	v_mul_f64_e32 v[60:61], v[50:51], v[4:5]
	v_mul_f64_e32 v[62:63], v[48:49], v[4:5]
	s_delay_alu instid0(VALU_DEP_2) | instskip(NEXT) | instid1(VALU_DEP_2)
	v_fma_f64 v[60:61], v[48:49], v[2:3], -v[60:61]
	v_fmac_f64_e32 v[62:63], v[50:51], v[2:3]
	s_delay_alu instid0(VALU_DEP_2) | instskip(NEXT) | instid1(VALU_DEP_2)
	v_add_f64_e32 v[48:49], v[64:65], v[60:61]
	v_add_f64_e32 v[50:51], v[62:63], v[80:81]
	ds_load_b128 v[60:63], v67 offset:8304
	s_wait_dscnt 0x0
	v_mul_f64_e32 v[64:65], v[62:63], v[58:59]
	v_mul_f64_e32 v[58:59], v[60:61], v[58:59]
	s_delay_alu instid0(VALU_DEP_2) | instskip(NEXT) | instid1(VALU_DEP_2)
	v_fma_f64 v[64:65], v[60:61], v[56:57], -v[64:65]
	v_fmac_f64_e32 v[58:59], v[62:63], v[56:57]
	v_mul_f64_e32 v[56:57], v[62:63], v[4:5]
	v_mul_f64_e32 v[4:5], v[60:61], v[4:5]
	s_delay_alu instid0(VALU_DEP_4) | instskip(NEXT) | instid1(VALU_DEP_4)
	v_add_f64_e32 v[10:11], v[10:11], v[64:65]
	v_add_f64_e32 v[12:13], v[58:59], v[12:13]
	s_delay_alu instid0(VALU_DEP_4) | instskip(NEXT) | instid1(VALU_DEP_4)
	v_fma_f64 v[56:57], v[60:61], v[2:3], -v[56:57]
	v_fmac_f64_e32 v[4:5], v[62:63], v[2:3]
	s_delay_alu instid0(VALU_DEP_2) | instskip(NEXT) | instid1(VALU_DEP_2)
	v_add_f64_e32 v[56:57], v[6:7], v[56:57]
	v_add_f64_e32 v[58:59], v[4:5], v[8:9]
	ds_load_b128 v[2:5], v67 offset:128
	ds_load_b128 v[6:9], v68 offset:4096
	s_wait_dscnt 0x0
	v_mul_f64_e32 v[60:61], v[4:5], v[8:9]
	v_mul_f64_e32 v[62:63], v[2:3], v[8:9]
	s_delay_alu instid0(VALU_DEP_2) | instskip(NEXT) | instid1(VALU_DEP_2)
	v_fma_f64 v[60:61], v[2:3], v[6:7], -v[60:61]
	v_fmac_f64_e32 v[62:63], v[4:5], v[6:7]
	s_delay_alu instid0(VALU_DEP_2) | instskip(NEXT) | instid1(VALU_DEP_2)
	v_add_f64_e32 v[60:61], v[52:53], v[60:61]
	v_add_f64_e32 v[62:63], v[62:63], v[54:55]
	ds_load_b128 v[52:55], v68 offset:4352
	s_wait_dscnt 0x0
	v_mul_f64_e32 v[64:65], v[4:5], v[54:55]
	s_delay_alu instid0(VALU_DEP_1) | instskip(SKIP_1) | instid1(VALU_DEP_2)
	v_fma_f64 v[64:65], v[2:3], v[52:53], -v[64:65]
	v_mul_f64_e32 v[2:3], v[2:3], v[54:55]
	v_add_f64_e32 v[64:65], v[48:49], v[64:65]
	s_delay_alu instid0(VALU_DEP_2) | instskip(NEXT) | instid1(VALU_DEP_1)
	v_fmac_f64_e32 v[2:3], v[4:5], v[52:53]
	v_add_f64_e32 v[80:81], v[2:3], v[50:51]
	ds_load_b128 v[2:5], v67 offset:8320
	s_wait_dscnt 0x0
	v_mul_f64_e32 v[48:49], v[4:5], v[8:9]
	v_mul_f64_e32 v[8:9], v[2:3], v[8:9]
	s_delay_alu instid0(VALU_DEP_2) | instskip(NEXT) | instid1(VALU_DEP_2)
	v_fma_f64 v[48:49], v[2:3], v[6:7], -v[48:49]
	v_fmac_f64_e32 v[8:9], v[4:5], v[6:7]
	v_mul_f64_e32 v[6:7], v[4:5], v[54:55]
	s_delay_alu instid0(VALU_DEP_3) | instskip(NEXT) | instid1(VALU_DEP_3)
	v_add_f64_e32 v[10:11], v[10:11], v[48:49]
	v_add_f64_e32 v[12:13], v[8:9], v[12:13]
	s_delay_alu instid0(VALU_DEP_3) | instskip(SKIP_1) | instid1(VALU_DEP_2)
	v_fma_f64 v[6:7], v[2:3], v[52:53], -v[6:7]
	v_mul_f64_e32 v[2:3], v[2:3], v[54:55]
	v_add_f64_e32 v[6:7], v[56:57], v[6:7]
	s_delay_alu instid0(VALU_DEP_2) | instskip(NEXT) | instid1(VALU_DEP_1)
	v_fmac_f64_e32 v[2:3], v[4:5], v[52:53]
	v_add_f64_e32 v[8:9], v[2:3], v[58:59]
	ds_load_b128 v[48:51], v67 offset:144
	ds_load_b128 v[56:59], v68 offset:4608
	s_wait_dscnt 0x0
	v_mul_f64_e32 v[2:3], v[50:51], v[58:59]
	v_mul_f64_e32 v[4:5], v[48:49], v[58:59]
	s_delay_alu instid0(VALU_DEP_2) | instskip(NEXT) | instid1(VALU_DEP_2)
	v_fma_f64 v[2:3], v[48:49], v[56:57], -v[2:3]
	v_fmac_f64_e32 v[4:5], v[50:51], v[56:57]
	s_delay_alu instid0(VALU_DEP_2) | instskip(NEXT) | instid1(VALU_DEP_2)
	v_add_f64_e32 v[52:53], v[60:61], v[2:3]
	v_add_f64_e32 v[54:55], v[4:5], v[62:63]
	ds_load_b128 v[2:5], v68 offset:4864
	s_wait_dscnt 0x0
	v_mul_f64_e32 v[60:61], v[50:51], v[4:5]
	v_mul_f64_e32 v[62:63], v[48:49], v[4:5]
	s_delay_alu instid0(VALU_DEP_2) | instskip(NEXT) | instid1(VALU_DEP_2)
	v_fma_f64 v[60:61], v[48:49], v[2:3], -v[60:61]
	v_fmac_f64_e32 v[62:63], v[50:51], v[2:3]
	s_delay_alu instid0(VALU_DEP_2) | instskip(NEXT) | instid1(VALU_DEP_2)
	v_add_f64_e32 v[48:49], v[64:65], v[60:61]
	v_add_f64_e32 v[50:51], v[62:63], v[80:81]
	ds_load_b128 v[60:63], v67 offset:8336
	s_wait_dscnt 0x0
	v_mul_f64_e32 v[64:65], v[62:63], v[58:59]
	v_mul_f64_e32 v[58:59], v[60:61], v[58:59]
	s_delay_alu instid0(VALU_DEP_2) | instskip(NEXT) | instid1(VALU_DEP_2)
	v_fma_f64 v[64:65], v[60:61], v[56:57], -v[64:65]
	v_fmac_f64_e32 v[58:59], v[62:63], v[56:57]
	v_mul_f64_e32 v[56:57], v[62:63], v[4:5]
	v_mul_f64_e32 v[4:5], v[60:61], v[4:5]
	s_delay_alu instid0(VALU_DEP_4) | instskip(NEXT) | instid1(VALU_DEP_4)
	v_add_f64_e32 v[10:11], v[10:11], v[64:65]
	v_add_f64_e32 v[12:13], v[58:59], v[12:13]
	s_delay_alu instid0(VALU_DEP_4) | instskip(NEXT) | instid1(VALU_DEP_4)
	v_fma_f64 v[56:57], v[60:61], v[2:3], -v[56:57]
	v_fmac_f64_e32 v[4:5], v[62:63], v[2:3]
	s_delay_alu instid0(VALU_DEP_2) | instskip(NEXT) | instid1(VALU_DEP_2)
	v_add_f64_e32 v[56:57], v[6:7], v[56:57]
	v_add_f64_e32 v[58:59], v[4:5], v[8:9]
	ds_load_b128 v[2:5], v67 offset:160
	ds_load_b128 v[6:9], v68 offset:5120
	s_wait_dscnt 0x0
	v_mul_f64_e32 v[60:61], v[4:5], v[8:9]
	v_mul_f64_e32 v[62:63], v[2:3], v[8:9]
	s_delay_alu instid0(VALU_DEP_2) | instskip(NEXT) | instid1(VALU_DEP_2)
	v_fma_f64 v[60:61], v[2:3], v[6:7], -v[60:61]
	v_fmac_f64_e32 v[62:63], v[4:5], v[6:7]
	s_delay_alu instid0(VALU_DEP_2) | instskip(NEXT) | instid1(VALU_DEP_2)
	v_add_f64_e32 v[60:61], v[52:53], v[60:61]
	v_add_f64_e32 v[62:63], v[62:63], v[54:55]
	ds_load_b128 v[52:55], v68 offset:5376
	s_wait_dscnt 0x0
	v_mul_f64_e32 v[64:65], v[4:5], v[54:55]
	s_delay_alu instid0(VALU_DEP_1) | instskip(SKIP_1) | instid1(VALU_DEP_2)
	v_fma_f64 v[64:65], v[2:3], v[52:53], -v[64:65]
	v_mul_f64_e32 v[2:3], v[2:3], v[54:55]
	v_add_f64_e32 v[64:65], v[48:49], v[64:65]
	s_delay_alu instid0(VALU_DEP_2) | instskip(NEXT) | instid1(VALU_DEP_1)
	v_fmac_f64_e32 v[2:3], v[4:5], v[52:53]
	v_add_f64_e32 v[80:81], v[2:3], v[50:51]
	ds_load_b128 v[2:5], v67 offset:8352
	s_wait_dscnt 0x0
	v_mul_f64_e32 v[48:49], v[4:5], v[8:9]
	v_mul_f64_e32 v[8:9], v[2:3], v[8:9]
	s_delay_alu instid0(VALU_DEP_2) | instskip(NEXT) | instid1(VALU_DEP_2)
	v_fma_f64 v[48:49], v[2:3], v[6:7], -v[48:49]
	v_fmac_f64_e32 v[8:9], v[4:5], v[6:7]
	v_mul_f64_e32 v[6:7], v[4:5], v[54:55]
	s_delay_alu instid0(VALU_DEP_3) | instskip(NEXT) | instid1(VALU_DEP_3)
	v_add_f64_e32 v[10:11], v[10:11], v[48:49]
	v_add_f64_e32 v[12:13], v[8:9], v[12:13]
	s_delay_alu instid0(VALU_DEP_3) | instskip(SKIP_1) | instid1(VALU_DEP_2)
	v_fma_f64 v[6:7], v[2:3], v[52:53], -v[6:7]
	v_mul_f64_e32 v[2:3], v[2:3], v[54:55]
	v_add_f64_e32 v[6:7], v[56:57], v[6:7]
	s_delay_alu instid0(VALU_DEP_2) | instskip(NEXT) | instid1(VALU_DEP_1)
	v_fmac_f64_e32 v[2:3], v[4:5], v[52:53]
	v_add_f64_e32 v[8:9], v[2:3], v[58:59]
	ds_load_b128 v[48:51], v67 offset:176
	ds_load_b128 v[56:59], v68 offset:5632
	s_wait_dscnt 0x0
	v_mul_f64_e32 v[2:3], v[50:51], v[58:59]
	v_mul_f64_e32 v[4:5], v[48:49], v[58:59]
	s_delay_alu instid0(VALU_DEP_2) | instskip(NEXT) | instid1(VALU_DEP_2)
	v_fma_f64 v[2:3], v[48:49], v[56:57], -v[2:3]
	v_fmac_f64_e32 v[4:5], v[50:51], v[56:57]
	s_delay_alu instid0(VALU_DEP_2) | instskip(NEXT) | instid1(VALU_DEP_2)
	v_add_f64_e32 v[52:53], v[60:61], v[2:3]
	v_add_f64_e32 v[54:55], v[4:5], v[62:63]
	ds_load_b128 v[2:5], v68 offset:5888
	s_wait_dscnt 0x0
	v_mul_f64_e32 v[60:61], v[50:51], v[4:5]
	v_mul_f64_e32 v[62:63], v[48:49], v[4:5]
	s_delay_alu instid0(VALU_DEP_2) | instskip(NEXT) | instid1(VALU_DEP_2)
	v_fma_f64 v[60:61], v[48:49], v[2:3], -v[60:61]
	v_fmac_f64_e32 v[62:63], v[50:51], v[2:3]
	s_delay_alu instid0(VALU_DEP_2) | instskip(NEXT) | instid1(VALU_DEP_2)
	v_add_f64_e32 v[48:49], v[64:65], v[60:61]
	v_add_f64_e32 v[50:51], v[62:63], v[80:81]
	ds_load_b128 v[60:63], v67 offset:8368
	s_wait_dscnt 0x0
	v_mul_f64_e32 v[64:65], v[62:63], v[58:59]
	v_mul_f64_e32 v[58:59], v[60:61], v[58:59]
	s_delay_alu instid0(VALU_DEP_2) | instskip(NEXT) | instid1(VALU_DEP_2)
	v_fma_f64 v[64:65], v[60:61], v[56:57], -v[64:65]
	v_fmac_f64_e32 v[58:59], v[62:63], v[56:57]
	v_mul_f64_e32 v[56:57], v[62:63], v[4:5]
	v_mul_f64_e32 v[4:5], v[60:61], v[4:5]
	s_delay_alu instid0(VALU_DEP_4) | instskip(NEXT) | instid1(VALU_DEP_4)
	v_add_f64_e32 v[10:11], v[10:11], v[64:65]
	v_add_f64_e32 v[12:13], v[58:59], v[12:13]
	s_delay_alu instid0(VALU_DEP_4) | instskip(NEXT) | instid1(VALU_DEP_4)
	v_fma_f64 v[56:57], v[60:61], v[2:3], -v[56:57]
	v_fmac_f64_e32 v[4:5], v[62:63], v[2:3]
	s_delay_alu instid0(VALU_DEP_2) | instskip(NEXT) | instid1(VALU_DEP_2)
	v_add_f64_e32 v[56:57], v[6:7], v[56:57]
	v_add_f64_e32 v[58:59], v[4:5], v[8:9]
	ds_load_b128 v[2:5], v67 offset:192
	ds_load_b128 v[6:9], v68 offset:6144
	s_wait_dscnt 0x0
	v_mul_f64_e32 v[60:61], v[4:5], v[8:9]
	v_mul_f64_e32 v[62:63], v[2:3], v[8:9]
	s_delay_alu instid0(VALU_DEP_2) | instskip(NEXT) | instid1(VALU_DEP_2)
	v_fma_f64 v[60:61], v[2:3], v[6:7], -v[60:61]
	v_fmac_f64_e32 v[62:63], v[4:5], v[6:7]
	s_delay_alu instid0(VALU_DEP_2) | instskip(NEXT) | instid1(VALU_DEP_2)
	v_add_f64_e32 v[60:61], v[52:53], v[60:61]
	v_add_f64_e32 v[62:63], v[62:63], v[54:55]
	ds_load_b128 v[52:55], v68 offset:6400
	s_wait_dscnt 0x0
	v_mul_f64_e32 v[64:65], v[4:5], v[54:55]
	s_delay_alu instid0(VALU_DEP_1) | instskip(SKIP_1) | instid1(VALU_DEP_2)
	v_fma_f64 v[64:65], v[2:3], v[52:53], -v[64:65]
	v_mul_f64_e32 v[2:3], v[2:3], v[54:55]
	v_add_f64_e32 v[64:65], v[48:49], v[64:65]
	s_delay_alu instid0(VALU_DEP_2) | instskip(NEXT) | instid1(VALU_DEP_1)
	v_fmac_f64_e32 v[2:3], v[4:5], v[52:53]
	v_add_f64_e32 v[80:81], v[2:3], v[50:51]
	ds_load_b128 v[2:5], v67 offset:8384
	s_wait_dscnt 0x0
	v_mul_f64_e32 v[48:49], v[4:5], v[8:9]
	v_mul_f64_e32 v[8:9], v[2:3], v[8:9]
	s_delay_alu instid0(VALU_DEP_2) | instskip(NEXT) | instid1(VALU_DEP_2)
	v_fma_f64 v[48:49], v[2:3], v[6:7], -v[48:49]
	v_fmac_f64_e32 v[8:9], v[4:5], v[6:7]
	v_mul_f64_e32 v[6:7], v[4:5], v[54:55]
	s_delay_alu instid0(VALU_DEP_3) | instskip(NEXT) | instid1(VALU_DEP_3)
	v_add_f64_e32 v[10:11], v[10:11], v[48:49]
	v_add_f64_e32 v[12:13], v[8:9], v[12:13]
	s_delay_alu instid0(VALU_DEP_3) | instskip(SKIP_1) | instid1(VALU_DEP_2)
	v_fma_f64 v[6:7], v[2:3], v[52:53], -v[6:7]
	v_mul_f64_e32 v[2:3], v[2:3], v[54:55]
	v_add_f64_e32 v[6:7], v[56:57], v[6:7]
	s_delay_alu instid0(VALU_DEP_2) | instskip(NEXT) | instid1(VALU_DEP_1)
	v_fmac_f64_e32 v[2:3], v[4:5], v[52:53]
	v_add_f64_e32 v[8:9], v[2:3], v[58:59]
	ds_load_b128 v[48:51], v67 offset:208
	ds_load_b128 v[56:59], v68 offset:6656
	s_wait_dscnt 0x0
	v_mul_f64_e32 v[2:3], v[50:51], v[58:59]
	v_mul_f64_e32 v[4:5], v[48:49], v[58:59]
	s_delay_alu instid0(VALU_DEP_2) | instskip(NEXT) | instid1(VALU_DEP_2)
	v_fma_f64 v[2:3], v[48:49], v[56:57], -v[2:3]
	v_fmac_f64_e32 v[4:5], v[50:51], v[56:57]
	s_delay_alu instid0(VALU_DEP_2) | instskip(NEXT) | instid1(VALU_DEP_2)
	v_add_f64_e32 v[52:53], v[60:61], v[2:3]
	v_add_f64_e32 v[54:55], v[4:5], v[62:63]
	ds_load_b128 v[2:5], v68 offset:6912
	s_wait_dscnt 0x0
	v_mul_f64_e32 v[60:61], v[50:51], v[4:5]
	v_mul_f64_e32 v[62:63], v[48:49], v[4:5]
	s_delay_alu instid0(VALU_DEP_2) | instskip(NEXT) | instid1(VALU_DEP_2)
	v_fma_f64 v[60:61], v[48:49], v[2:3], -v[60:61]
	v_fmac_f64_e32 v[62:63], v[50:51], v[2:3]
	s_delay_alu instid0(VALU_DEP_2) | instskip(NEXT) | instid1(VALU_DEP_2)
	v_add_f64_e32 v[48:49], v[64:65], v[60:61]
	v_add_f64_e32 v[50:51], v[62:63], v[80:81]
	ds_load_b128 v[60:63], v67 offset:8400
	s_wait_dscnt 0x0
	v_mul_f64_e32 v[64:65], v[62:63], v[58:59]
	v_mul_f64_e32 v[58:59], v[60:61], v[58:59]
	s_delay_alu instid0(VALU_DEP_2) | instskip(NEXT) | instid1(VALU_DEP_2)
	v_fma_f64 v[64:65], v[60:61], v[56:57], -v[64:65]
	v_fmac_f64_e32 v[58:59], v[62:63], v[56:57]
	v_mul_f64_e32 v[56:57], v[62:63], v[4:5]
	v_mul_f64_e32 v[4:5], v[60:61], v[4:5]
	s_delay_alu instid0(VALU_DEP_4) | instskip(NEXT) | instid1(VALU_DEP_4)
	v_add_f64_e32 v[10:11], v[10:11], v[64:65]
	v_add_f64_e32 v[12:13], v[58:59], v[12:13]
	s_delay_alu instid0(VALU_DEP_4) | instskip(NEXT) | instid1(VALU_DEP_4)
	v_fma_f64 v[56:57], v[60:61], v[2:3], -v[56:57]
	v_fmac_f64_e32 v[4:5], v[62:63], v[2:3]
	s_delay_alu instid0(VALU_DEP_2) | instskip(NEXT) | instid1(VALU_DEP_2)
	v_add_f64_e32 v[56:57], v[6:7], v[56:57]
	v_add_f64_e32 v[58:59], v[4:5], v[8:9]
	ds_load_b128 v[2:5], v67 offset:224
	ds_load_b128 v[6:9], v68 offset:7168
	s_wait_dscnt 0x0
	v_mul_f64_e32 v[60:61], v[4:5], v[8:9]
	v_mul_f64_e32 v[62:63], v[2:3], v[8:9]
	s_delay_alu instid0(VALU_DEP_2) | instskip(NEXT) | instid1(VALU_DEP_2)
	v_fma_f64 v[60:61], v[2:3], v[6:7], -v[60:61]
	v_fmac_f64_e32 v[62:63], v[4:5], v[6:7]
	s_delay_alu instid0(VALU_DEP_2) | instskip(NEXT) | instid1(VALU_DEP_2)
	v_add_f64_e32 v[60:61], v[52:53], v[60:61]
	v_add_f64_e32 v[62:63], v[62:63], v[54:55]
	ds_load_b128 v[52:55], v68 offset:7424
	s_wait_dscnt 0x0
	v_mul_f64_e32 v[64:65], v[4:5], v[54:55]
	s_delay_alu instid0(VALU_DEP_1) | instskip(SKIP_1) | instid1(VALU_DEP_2)
	v_fma_f64 v[64:65], v[2:3], v[52:53], -v[64:65]
	v_mul_f64_e32 v[2:3], v[2:3], v[54:55]
	v_add_f64_e32 v[64:65], v[48:49], v[64:65]
	s_delay_alu instid0(VALU_DEP_2) | instskip(NEXT) | instid1(VALU_DEP_1)
	v_fmac_f64_e32 v[2:3], v[4:5], v[52:53]
	v_add_f64_e32 v[80:81], v[2:3], v[50:51]
	ds_load_b128 v[2:5], v67 offset:8416
	s_wait_dscnt 0x0
	v_mul_f64_e32 v[48:49], v[4:5], v[8:9]
	v_mul_f64_e32 v[8:9], v[2:3], v[8:9]
	s_delay_alu instid0(VALU_DEP_2) | instskip(NEXT) | instid1(VALU_DEP_2)
	v_fma_f64 v[48:49], v[2:3], v[6:7], -v[48:49]
	v_fmac_f64_e32 v[8:9], v[4:5], v[6:7]
	v_mul_f64_e32 v[6:7], v[4:5], v[54:55]
	s_delay_alu instid0(VALU_DEP_3) | instskip(NEXT) | instid1(VALU_DEP_3)
	v_add_f64_e32 v[10:11], v[10:11], v[48:49]
	v_add_f64_e32 v[12:13], v[8:9], v[12:13]
	s_delay_alu instid0(VALU_DEP_3) | instskip(SKIP_1) | instid1(VALU_DEP_2)
	v_fma_f64 v[6:7], v[2:3], v[52:53], -v[6:7]
	v_mul_f64_e32 v[2:3], v[2:3], v[54:55]
	v_add_f64_e32 v[6:7], v[56:57], v[6:7]
	s_delay_alu instid0(VALU_DEP_2) | instskip(NEXT) | instid1(VALU_DEP_1)
	v_fmac_f64_e32 v[2:3], v[4:5], v[52:53]
	v_add_f64_e32 v[8:9], v[2:3], v[58:59]
	ds_load_b128 v[48:51], v67 offset:240
	ds_load_b128 v[56:59], v68 offset:7680
	s_wait_dscnt 0x0
	v_mul_f64_e32 v[2:3], v[50:51], v[58:59]
	v_mul_f64_e32 v[4:5], v[48:49], v[58:59]
	s_delay_alu instid0(VALU_DEP_2) | instskip(NEXT) | instid1(VALU_DEP_2)
	v_fma_f64 v[2:3], v[48:49], v[56:57], -v[2:3]
	v_fmac_f64_e32 v[4:5], v[50:51], v[56:57]
	s_delay_alu instid0(VALU_DEP_2) | instskip(NEXT) | instid1(VALU_DEP_2)
	v_add_f64_e32 v[52:53], v[60:61], v[2:3]
	v_add_f64_e32 v[54:55], v[4:5], v[62:63]
	ds_load_b128 v[2:5], v68 offset:7936
	s_wait_dscnt 0x0
	v_mul_f64_e32 v[60:61], v[50:51], v[4:5]
	v_mul_f64_e32 v[62:63], v[48:49], v[4:5]
	s_delay_alu instid0(VALU_DEP_2) | instskip(NEXT) | instid1(VALU_DEP_2)
	v_fma_f64 v[60:61], v[48:49], v[2:3], -v[60:61]
	v_fmac_f64_e32 v[62:63], v[50:51], v[2:3]
	s_delay_alu instid0(VALU_DEP_2) | instskip(NEXT) | instid1(VALU_DEP_2)
	v_add_f64_e32 v[48:49], v[64:65], v[60:61]
	v_add_f64_e32 v[50:51], v[62:63], v[80:81]
	ds_load_b128 v[60:63], v67 offset:8432
	s_wait_dscnt 0x0
	v_mul_f64_e32 v[64:65], v[62:63], v[58:59]
	v_mul_f64_e32 v[58:59], v[60:61], v[58:59]
	s_delay_alu instid0(VALU_DEP_2) | instskip(NEXT) | instid1(VALU_DEP_2)
	v_fma_f64 v[64:65], v[60:61], v[56:57], -v[64:65]
	v_fmac_f64_e32 v[58:59], v[62:63], v[56:57]
	v_mul_f64_e32 v[56:57], v[62:63], v[4:5]
	v_mul_f64_e32 v[4:5], v[60:61], v[4:5]
	s_delay_alu instid0(VALU_DEP_4) | instskip(NEXT) | instid1(VALU_DEP_4)
	v_add_f64_e32 v[10:11], v[10:11], v[64:65]
	v_add_f64_e32 v[12:13], v[58:59], v[12:13]
	s_delay_alu instid0(VALU_DEP_4) | instskip(NEXT) | instid1(VALU_DEP_4)
	v_fma_f64 v[56:57], v[60:61], v[2:3], -v[56:57]
	v_fmac_f64_e32 v[4:5], v[62:63], v[2:3]
	s_delay_alu instid0(VALU_DEP_2) | instskip(NEXT) | instid1(VALU_DEP_2)
	v_add_f64_e32 v[56:57], v[6:7], v[56:57]
	v_add_f64_e32 v[58:59], v[4:5], v[8:9]
	ds_load_b128 v[2:5], v67 offset:256
	ds_load_b128 v[6:9], v68 offset:8192
	s_wait_dscnt 0x0
	v_mul_f64_e32 v[60:61], v[4:5], v[8:9]
	v_mul_f64_e32 v[62:63], v[2:3], v[8:9]
	s_delay_alu instid0(VALU_DEP_2) | instskip(NEXT) | instid1(VALU_DEP_2)
	v_fma_f64 v[60:61], v[2:3], v[6:7], -v[60:61]
	v_fmac_f64_e32 v[62:63], v[4:5], v[6:7]
	s_delay_alu instid0(VALU_DEP_2) | instskip(NEXT) | instid1(VALU_DEP_2)
	v_add_f64_e32 v[60:61], v[52:53], v[60:61]
	v_add_f64_e32 v[62:63], v[62:63], v[54:55]
	ds_load_b128 v[52:55], v68 offset:8448
	s_wait_dscnt 0x0
	v_mul_f64_e32 v[64:65], v[4:5], v[54:55]
	s_delay_alu instid0(VALU_DEP_1) | instskip(SKIP_1) | instid1(VALU_DEP_2)
	v_fma_f64 v[64:65], v[2:3], v[52:53], -v[64:65]
	v_mul_f64_e32 v[2:3], v[2:3], v[54:55]
	v_add_f64_e32 v[64:65], v[48:49], v[64:65]
	s_delay_alu instid0(VALU_DEP_2) | instskip(NEXT) | instid1(VALU_DEP_1)
	v_fmac_f64_e32 v[2:3], v[4:5], v[52:53]
	v_add_f64_e32 v[80:81], v[2:3], v[50:51]
	ds_load_b128 v[2:5], v67 offset:8448
	s_wait_dscnt 0x0
	v_mul_f64_e32 v[48:49], v[4:5], v[8:9]
	v_mul_f64_e32 v[8:9], v[2:3], v[8:9]
	s_delay_alu instid0(VALU_DEP_2) | instskip(NEXT) | instid1(VALU_DEP_2)
	v_fma_f64 v[48:49], v[2:3], v[6:7], -v[48:49]
	v_fmac_f64_e32 v[8:9], v[4:5], v[6:7]
	v_mul_f64_e32 v[6:7], v[4:5], v[54:55]
	s_delay_alu instid0(VALU_DEP_3) | instskip(NEXT) | instid1(VALU_DEP_3)
	v_add_f64_e32 v[10:11], v[10:11], v[48:49]
	v_add_f64_e32 v[12:13], v[8:9], v[12:13]
	s_delay_alu instid0(VALU_DEP_3) | instskip(SKIP_1) | instid1(VALU_DEP_2)
	v_fma_f64 v[6:7], v[2:3], v[52:53], -v[6:7]
	v_mul_f64_e32 v[2:3], v[2:3], v[54:55]
	v_add_f64_e32 v[6:7], v[56:57], v[6:7]
	s_delay_alu instid0(VALU_DEP_2) | instskip(NEXT) | instid1(VALU_DEP_1)
	v_fmac_f64_e32 v[2:3], v[4:5], v[52:53]
	v_add_f64_e32 v[8:9], v[2:3], v[58:59]
	ds_load_b128 v[48:51], v67 offset:272
	ds_load_b128 v[56:59], v68 offset:8704
	s_wait_dscnt 0x0
	v_mul_f64_e32 v[2:3], v[50:51], v[58:59]
	v_mul_f64_e32 v[4:5], v[48:49], v[58:59]
	s_delay_alu instid0(VALU_DEP_2) | instskip(NEXT) | instid1(VALU_DEP_2)
	v_fma_f64 v[2:3], v[48:49], v[56:57], -v[2:3]
	v_fmac_f64_e32 v[4:5], v[50:51], v[56:57]
	s_delay_alu instid0(VALU_DEP_2) | instskip(NEXT) | instid1(VALU_DEP_2)
	v_add_f64_e32 v[52:53], v[60:61], v[2:3]
	v_add_f64_e32 v[54:55], v[4:5], v[62:63]
	ds_load_b128 v[2:5], v68 offset:8960
	s_wait_dscnt 0x0
	v_mul_f64_e32 v[60:61], v[50:51], v[4:5]
	v_mul_f64_e32 v[62:63], v[48:49], v[4:5]
	s_delay_alu instid0(VALU_DEP_2) | instskip(NEXT) | instid1(VALU_DEP_2)
	v_fma_f64 v[60:61], v[48:49], v[2:3], -v[60:61]
	v_fmac_f64_e32 v[62:63], v[50:51], v[2:3]
	s_delay_alu instid0(VALU_DEP_2) | instskip(NEXT) | instid1(VALU_DEP_2)
	v_add_f64_e32 v[48:49], v[64:65], v[60:61]
	v_add_f64_e32 v[50:51], v[62:63], v[80:81]
	ds_load_b128 v[60:63], v67 offset:8464
	s_wait_dscnt 0x0
	v_mul_f64_e32 v[64:65], v[62:63], v[58:59]
	v_mul_f64_e32 v[58:59], v[60:61], v[58:59]
	s_delay_alu instid0(VALU_DEP_2) | instskip(NEXT) | instid1(VALU_DEP_2)
	v_fma_f64 v[64:65], v[60:61], v[56:57], -v[64:65]
	v_fmac_f64_e32 v[58:59], v[62:63], v[56:57]
	v_mul_f64_e32 v[56:57], v[62:63], v[4:5]
	v_mul_f64_e32 v[4:5], v[60:61], v[4:5]
	s_delay_alu instid0(VALU_DEP_4) | instskip(NEXT) | instid1(VALU_DEP_4)
	v_add_f64_e32 v[10:11], v[10:11], v[64:65]
	v_add_f64_e32 v[12:13], v[58:59], v[12:13]
	s_delay_alu instid0(VALU_DEP_4) | instskip(NEXT) | instid1(VALU_DEP_4)
	v_fma_f64 v[56:57], v[60:61], v[2:3], -v[56:57]
	v_fmac_f64_e32 v[4:5], v[62:63], v[2:3]
	s_delay_alu instid0(VALU_DEP_2) | instskip(NEXT) | instid1(VALU_DEP_2)
	v_add_f64_e32 v[56:57], v[6:7], v[56:57]
	v_add_f64_e32 v[58:59], v[4:5], v[8:9]
	ds_load_b128 v[2:5], v67 offset:288
	ds_load_b128 v[6:9], v68 offset:9216
	s_wait_dscnt 0x0
	v_mul_f64_e32 v[60:61], v[4:5], v[8:9]
	v_mul_f64_e32 v[62:63], v[2:3], v[8:9]
	s_delay_alu instid0(VALU_DEP_2) | instskip(NEXT) | instid1(VALU_DEP_2)
	v_fma_f64 v[60:61], v[2:3], v[6:7], -v[60:61]
	v_fmac_f64_e32 v[62:63], v[4:5], v[6:7]
	s_delay_alu instid0(VALU_DEP_2) | instskip(NEXT) | instid1(VALU_DEP_2)
	v_add_f64_e32 v[60:61], v[52:53], v[60:61]
	v_add_f64_e32 v[62:63], v[62:63], v[54:55]
	ds_load_b128 v[52:55], v68 offset:9472
	s_wait_dscnt 0x0
	v_mul_f64_e32 v[64:65], v[4:5], v[54:55]
	s_delay_alu instid0(VALU_DEP_1) | instskip(SKIP_1) | instid1(VALU_DEP_2)
	v_fma_f64 v[64:65], v[2:3], v[52:53], -v[64:65]
	v_mul_f64_e32 v[2:3], v[2:3], v[54:55]
	v_add_f64_e32 v[64:65], v[48:49], v[64:65]
	s_delay_alu instid0(VALU_DEP_2) | instskip(NEXT) | instid1(VALU_DEP_1)
	v_fmac_f64_e32 v[2:3], v[4:5], v[52:53]
	v_add_f64_e32 v[80:81], v[2:3], v[50:51]
	ds_load_b128 v[2:5], v67 offset:8480
	s_wait_dscnt 0x0
	v_mul_f64_e32 v[48:49], v[4:5], v[8:9]
	v_mul_f64_e32 v[8:9], v[2:3], v[8:9]
	s_delay_alu instid0(VALU_DEP_2) | instskip(NEXT) | instid1(VALU_DEP_2)
	v_fma_f64 v[48:49], v[2:3], v[6:7], -v[48:49]
	v_fmac_f64_e32 v[8:9], v[4:5], v[6:7]
	v_mul_f64_e32 v[6:7], v[4:5], v[54:55]
	s_delay_alu instid0(VALU_DEP_3) | instskip(NEXT) | instid1(VALU_DEP_3)
	v_add_f64_e32 v[10:11], v[10:11], v[48:49]
	v_add_f64_e32 v[12:13], v[8:9], v[12:13]
	s_delay_alu instid0(VALU_DEP_3) | instskip(SKIP_1) | instid1(VALU_DEP_2)
	v_fma_f64 v[6:7], v[2:3], v[52:53], -v[6:7]
	v_mul_f64_e32 v[2:3], v[2:3], v[54:55]
	v_add_f64_e32 v[6:7], v[56:57], v[6:7]
	s_delay_alu instid0(VALU_DEP_2) | instskip(NEXT) | instid1(VALU_DEP_1)
	v_fmac_f64_e32 v[2:3], v[4:5], v[52:53]
	v_add_f64_e32 v[8:9], v[2:3], v[58:59]
	ds_load_b128 v[48:51], v67 offset:304
	ds_load_b128 v[56:59], v68 offset:9728
	s_wait_dscnt 0x0
	v_mul_f64_e32 v[2:3], v[50:51], v[58:59]
	v_mul_f64_e32 v[4:5], v[48:49], v[58:59]
	s_delay_alu instid0(VALU_DEP_2) | instskip(NEXT) | instid1(VALU_DEP_2)
	v_fma_f64 v[2:3], v[48:49], v[56:57], -v[2:3]
	v_fmac_f64_e32 v[4:5], v[50:51], v[56:57]
	s_delay_alu instid0(VALU_DEP_2) | instskip(NEXT) | instid1(VALU_DEP_2)
	v_add_f64_e32 v[52:53], v[60:61], v[2:3]
	v_add_f64_e32 v[54:55], v[4:5], v[62:63]
	ds_load_b128 v[2:5], v68 offset:9984
	s_wait_dscnt 0x0
	v_mul_f64_e32 v[60:61], v[50:51], v[4:5]
	v_mul_f64_e32 v[62:63], v[48:49], v[4:5]
	s_delay_alu instid0(VALU_DEP_2) | instskip(NEXT) | instid1(VALU_DEP_2)
	v_fma_f64 v[60:61], v[48:49], v[2:3], -v[60:61]
	v_fmac_f64_e32 v[62:63], v[50:51], v[2:3]
	s_delay_alu instid0(VALU_DEP_2) | instskip(NEXT) | instid1(VALU_DEP_2)
	v_add_f64_e32 v[48:49], v[64:65], v[60:61]
	v_add_f64_e32 v[50:51], v[62:63], v[80:81]
	ds_load_b128 v[60:63], v67 offset:8496
	s_wait_dscnt 0x0
	v_mul_f64_e32 v[64:65], v[62:63], v[58:59]
	v_mul_f64_e32 v[58:59], v[60:61], v[58:59]
	s_delay_alu instid0(VALU_DEP_2) | instskip(NEXT) | instid1(VALU_DEP_2)
	v_fma_f64 v[64:65], v[60:61], v[56:57], -v[64:65]
	v_fmac_f64_e32 v[58:59], v[62:63], v[56:57]
	v_mul_f64_e32 v[56:57], v[62:63], v[4:5]
	v_mul_f64_e32 v[4:5], v[60:61], v[4:5]
	s_delay_alu instid0(VALU_DEP_4) | instskip(NEXT) | instid1(VALU_DEP_4)
	v_add_f64_e32 v[10:11], v[10:11], v[64:65]
	v_add_f64_e32 v[12:13], v[58:59], v[12:13]
	s_delay_alu instid0(VALU_DEP_4) | instskip(NEXT) | instid1(VALU_DEP_4)
	v_fma_f64 v[56:57], v[60:61], v[2:3], -v[56:57]
	v_fmac_f64_e32 v[4:5], v[62:63], v[2:3]
	s_delay_alu instid0(VALU_DEP_2) | instskip(NEXT) | instid1(VALU_DEP_2)
	v_add_f64_e32 v[56:57], v[6:7], v[56:57]
	v_add_f64_e32 v[58:59], v[4:5], v[8:9]
	ds_load_b128 v[2:5], v67 offset:320
	ds_load_b128 v[6:9], v68 offset:10240
	s_wait_dscnt 0x0
	v_mul_f64_e32 v[60:61], v[4:5], v[8:9]
	v_mul_f64_e32 v[62:63], v[2:3], v[8:9]
	s_delay_alu instid0(VALU_DEP_2) | instskip(NEXT) | instid1(VALU_DEP_2)
	v_fma_f64 v[60:61], v[2:3], v[6:7], -v[60:61]
	v_fmac_f64_e32 v[62:63], v[4:5], v[6:7]
	s_delay_alu instid0(VALU_DEP_2) | instskip(NEXT) | instid1(VALU_DEP_2)
	v_add_f64_e32 v[60:61], v[52:53], v[60:61]
	v_add_f64_e32 v[62:63], v[62:63], v[54:55]
	ds_load_b128 v[52:55], v68 offset:10496
	s_wait_dscnt 0x0
	v_mul_f64_e32 v[64:65], v[4:5], v[54:55]
	s_delay_alu instid0(VALU_DEP_1) | instskip(SKIP_1) | instid1(VALU_DEP_2)
	v_fma_f64 v[64:65], v[2:3], v[52:53], -v[64:65]
	v_mul_f64_e32 v[2:3], v[2:3], v[54:55]
	v_add_f64_e32 v[64:65], v[48:49], v[64:65]
	s_delay_alu instid0(VALU_DEP_2) | instskip(NEXT) | instid1(VALU_DEP_1)
	v_fmac_f64_e32 v[2:3], v[4:5], v[52:53]
	v_add_f64_e32 v[80:81], v[2:3], v[50:51]
	ds_load_b128 v[2:5], v67 offset:8512
	s_wait_dscnt 0x0
	v_mul_f64_e32 v[48:49], v[4:5], v[8:9]
	v_mul_f64_e32 v[8:9], v[2:3], v[8:9]
	s_delay_alu instid0(VALU_DEP_2) | instskip(NEXT) | instid1(VALU_DEP_2)
	v_fma_f64 v[48:49], v[2:3], v[6:7], -v[48:49]
	v_fmac_f64_e32 v[8:9], v[4:5], v[6:7]
	v_mul_f64_e32 v[6:7], v[4:5], v[54:55]
	s_delay_alu instid0(VALU_DEP_3) | instskip(NEXT) | instid1(VALU_DEP_3)
	v_add_f64_e32 v[10:11], v[10:11], v[48:49]
	v_add_f64_e32 v[12:13], v[8:9], v[12:13]
	s_delay_alu instid0(VALU_DEP_3) | instskip(SKIP_1) | instid1(VALU_DEP_2)
	v_fma_f64 v[6:7], v[2:3], v[52:53], -v[6:7]
	v_mul_f64_e32 v[2:3], v[2:3], v[54:55]
	v_add_f64_e32 v[6:7], v[56:57], v[6:7]
	s_delay_alu instid0(VALU_DEP_2) | instskip(NEXT) | instid1(VALU_DEP_1)
	v_fmac_f64_e32 v[2:3], v[4:5], v[52:53]
	v_add_f64_e32 v[8:9], v[2:3], v[58:59]
	ds_load_b128 v[48:51], v67 offset:336
	ds_load_b128 v[56:59], v68 offset:10752
	s_wait_dscnt 0x0
	v_mul_f64_e32 v[2:3], v[50:51], v[58:59]
	v_mul_f64_e32 v[4:5], v[48:49], v[58:59]
	s_delay_alu instid0(VALU_DEP_2) | instskip(NEXT) | instid1(VALU_DEP_2)
	v_fma_f64 v[2:3], v[48:49], v[56:57], -v[2:3]
	v_fmac_f64_e32 v[4:5], v[50:51], v[56:57]
	s_delay_alu instid0(VALU_DEP_2) | instskip(NEXT) | instid1(VALU_DEP_2)
	v_add_f64_e32 v[52:53], v[60:61], v[2:3]
	v_add_f64_e32 v[54:55], v[4:5], v[62:63]
	ds_load_b128 v[2:5], v68 offset:11008
	s_wait_dscnt 0x0
	v_mul_f64_e32 v[60:61], v[50:51], v[4:5]
	v_mul_f64_e32 v[62:63], v[48:49], v[4:5]
	s_delay_alu instid0(VALU_DEP_2) | instskip(NEXT) | instid1(VALU_DEP_2)
	v_fma_f64 v[60:61], v[48:49], v[2:3], -v[60:61]
	v_fmac_f64_e32 v[62:63], v[50:51], v[2:3]
	s_delay_alu instid0(VALU_DEP_2) | instskip(NEXT) | instid1(VALU_DEP_2)
	v_add_f64_e32 v[48:49], v[64:65], v[60:61]
	v_add_f64_e32 v[50:51], v[62:63], v[80:81]
	ds_load_b128 v[60:63], v67 offset:8528
	s_wait_dscnt 0x0
	v_mul_f64_e32 v[64:65], v[62:63], v[58:59]
	v_mul_f64_e32 v[58:59], v[60:61], v[58:59]
	s_delay_alu instid0(VALU_DEP_2) | instskip(NEXT) | instid1(VALU_DEP_2)
	v_fma_f64 v[64:65], v[60:61], v[56:57], -v[64:65]
	v_fmac_f64_e32 v[58:59], v[62:63], v[56:57]
	v_mul_f64_e32 v[56:57], v[62:63], v[4:5]
	v_mul_f64_e32 v[4:5], v[60:61], v[4:5]
	s_delay_alu instid0(VALU_DEP_4) | instskip(NEXT) | instid1(VALU_DEP_4)
	v_add_f64_e32 v[10:11], v[10:11], v[64:65]
	v_add_f64_e32 v[12:13], v[58:59], v[12:13]
	s_delay_alu instid0(VALU_DEP_4) | instskip(NEXT) | instid1(VALU_DEP_4)
	v_fma_f64 v[56:57], v[60:61], v[2:3], -v[56:57]
	v_fmac_f64_e32 v[4:5], v[62:63], v[2:3]
	s_delay_alu instid0(VALU_DEP_2) | instskip(NEXT) | instid1(VALU_DEP_2)
	v_add_f64_e32 v[56:57], v[6:7], v[56:57]
	v_add_f64_e32 v[58:59], v[4:5], v[8:9]
	ds_load_b128 v[2:5], v67 offset:352
	ds_load_b128 v[6:9], v68 offset:11264
	s_wait_dscnt 0x0
	v_mul_f64_e32 v[60:61], v[4:5], v[8:9]
	v_mul_f64_e32 v[62:63], v[2:3], v[8:9]
	s_delay_alu instid0(VALU_DEP_2) | instskip(NEXT) | instid1(VALU_DEP_2)
	v_fma_f64 v[60:61], v[2:3], v[6:7], -v[60:61]
	v_fmac_f64_e32 v[62:63], v[4:5], v[6:7]
	s_delay_alu instid0(VALU_DEP_2) | instskip(NEXT) | instid1(VALU_DEP_2)
	v_add_f64_e32 v[60:61], v[52:53], v[60:61]
	v_add_f64_e32 v[62:63], v[62:63], v[54:55]
	ds_load_b128 v[52:55], v68 offset:11520
	s_wait_dscnt 0x0
	v_mul_f64_e32 v[64:65], v[4:5], v[54:55]
	s_delay_alu instid0(VALU_DEP_1) | instskip(SKIP_1) | instid1(VALU_DEP_2)
	v_fma_f64 v[64:65], v[2:3], v[52:53], -v[64:65]
	v_mul_f64_e32 v[2:3], v[2:3], v[54:55]
	v_add_f64_e32 v[64:65], v[48:49], v[64:65]
	s_delay_alu instid0(VALU_DEP_2) | instskip(NEXT) | instid1(VALU_DEP_1)
	v_fmac_f64_e32 v[2:3], v[4:5], v[52:53]
	v_add_f64_e32 v[80:81], v[2:3], v[50:51]
	ds_load_b128 v[2:5], v67 offset:8544
	s_wait_dscnt 0x0
	v_mul_f64_e32 v[48:49], v[4:5], v[8:9]
	v_mul_f64_e32 v[8:9], v[2:3], v[8:9]
	s_delay_alu instid0(VALU_DEP_2) | instskip(NEXT) | instid1(VALU_DEP_2)
	v_fma_f64 v[48:49], v[2:3], v[6:7], -v[48:49]
	v_fmac_f64_e32 v[8:9], v[4:5], v[6:7]
	v_mul_f64_e32 v[6:7], v[4:5], v[54:55]
	s_delay_alu instid0(VALU_DEP_3) | instskip(NEXT) | instid1(VALU_DEP_3)
	v_add_f64_e32 v[10:11], v[10:11], v[48:49]
	v_add_f64_e32 v[12:13], v[8:9], v[12:13]
	s_delay_alu instid0(VALU_DEP_3) | instskip(SKIP_1) | instid1(VALU_DEP_2)
	v_fma_f64 v[6:7], v[2:3], v[52:53], -v[6:7]
	v_mul_f64_e32 v[2:3], v[2:3], v[54:55]
	v_add_f64_e32 v[6:7], v[56:57], v[6:7]
	s_delay_alu instid0(VALU_DEP_2) | instskip(NEXT) | instid1(VALU_DEP_1)
	v_fmac_f64_e32 v[2:3], v[4:5], v[52:53]
	v_add_f64_e32 v[8:9], v[2:3], v[58:59]
	ds_load_b128 v[48:51], v67 offset:368
	ds_load_b128 v[56:59], v68 offset:11776
	s_wait_dscnt 0x0
	v_mul_f64_e32 v[2:3], v[50:51], v[58:59]
	v_mul_f64_e32 v[4:5], v[48:49], v[58:59]
	s_delay_alu instid0(VALU_DEP_2) | instskip(NEXT) | instid1(VALU_DEP_2)
	v_fma_f64 v[2:3], v[48:49], v[56:57], -v[2:3]
	v_fmac_f64_e32 v[4:5], v[50:51], v[56:57]
	s_delay_alu instid0(VALU_DEP_2) | instskip(NEXT) | instid1(VALU_DEP_2)
	v_add_f64_e32 v[52:53], v[60:61], v[2:3]
	v_add_f64_e32 v[54:55], v[4:5], v[62:63]
	ds_load_b128 v[2:5], v68 offset:12032
	s_wait_dscnt 0x0
	v_mul_f64_e32 v[60:61], v[50:51], v[4:5]
	v_mul_f64_e32 v[62:63], v[48:49], v[4:5]
	s_delay_alu instid0(VALU_DEP_2) | instskip(NEXT) | instid1(VALU_DEP_2)
	v_fma_f64 v[60:61], v[48:49], v[2:3], -v[60:61]
	v_fmac_f64_e32 v[62:63], v[50:51], v[2:3]
	s_delay_alu instid0(VALU_DEP_2) | instskip(NEXT) | instid1(VALU_DEP_2)
	v_add_f64_e32 v[48:49], v[64:65], v[60:61]
	v_add_f64_e32 v[50:51], v[62:63], v[80:81]
	ds_load_b128 v[60:63], v67 offset:8560
	s_wait_dscnt 0x0
	v_mul_f64_e32 v[64:65], v[62:63], v[58:59]
	v_mul_f64_e32 v[58:59], v[60:61], v[58:59]
	s_delay_alu instid0(VALU_DEP_2) | instskip(NEXT) | instid1(VALU_DEP_2)
	v_fma_f64 v[64:65], v[60:61], v[56:57], -v[64:65]
	v_fmac_f64_e32 v[58:59], v[62:63], v[56:57]
	s_delay_alu instid0(VALU_DEP_2) | instskip(SKIP_2) | instid1(VALU_DEP_4)
	v_add_f64_e32 v[56:57], v[10:11], v[64:65]
	v_mul_f64_e32 v[10:11], v[62:63], v[4:5]
	v_mul_f64_e32 v[4:5], v[60:61], v[4:5]
	v_add_f64_e32 v[58:59], v[58:59], v[12:13]
	s_delay_alu instid0(VALU_DEP_3) | instskip(NEXT) | instid1(VALU_DEP_3)
	v_fma_f64 v[10:11], v[60:61], v[2:3], -v[10:11]
	v_fmac_f64_e32 v[4:5], v[62:63], v[2:3]
	s_delay_alu instid0(VALU_DEP_2) | instskip(NEXT) | instid1(VALU_DEP_2)
	v_add_f64_e32 v[60:61], v[6:7], v[10:11]
	v_add_f64_e32 v[62:63], v[4:5], v[8:9]
	ds_load_b128 v[2:5], v67 offset:384
	ds_load_b128 v[6:9], v68 offset:12288
	s_wait_dscnt 0x0
	v_mul_f64_e32 v[10:11], v[4:5], v[8:9]
	v_mul_f64_e32 v[12:13], v[2:3], v[8:9]
	s_delay_alu instid0(VALU_DEP_2) | instskip(NEXT) | instid1(VALU_DEP_2)
	v_fma_f64 v[10:11], v[2:3], v[6:7], -v[10:11]
	v_fmac_f64_e32 v[12:13], v[4:5], v[6:7]
	s_delay_alu instid0(VALU_DEP_2) | instskip(NEXT) | instid1(VALU_DEP_2)
	v_add_f64_e32 v[64:65], v[52:53], v[10:11]
	v_add_f64_e32 v[80:81], v[12:13], v[54:55]
	ds_load_b128 v[10:13], v68 offset:12544
	s_wait_dscnt 0x0
	v_mul_f64_e32 v[52:53], v[4:5], v[12:13]
	s_delay_alu instid0(VALU_DEP_1) | instskip(SKIP_1) | instid1(VALU_DEP_2)
	v_fma_f64 v[52:53], v[2:3], v[10:11], -v[52:53]
	v_mul_f64_e32 v[2:3], v[2:3], v[12:13]
	v_add_f64_e32 v[82:83], v[48:49], v[52:53]
	s_delay_alu instid0(VALU_DEP_2) | instskip(NEXT) | instid1(VALU_DEP_1)
	v_fmac_f64_e32 v[2:3], v[4:5], v[10:11]
	v_add_f64_e32 v[84:85], v[2:3], v[50:51]
	ds_load_b128 v[2:5], v67 offset:8576
	s_wait_dscnt 0x0
	v_mul_f64_e32 v[48:49], v[4:5], v[8:9]
	v_mul_f64_e32 v[8:9], v[2:3], v[8:9]
	s_delay_alu instid0(VALU_DEP_2) | instskip(NEXT) | instid1(VALU_DEP_2)
	v_fma_f64 v[48:49], v[2:3], v[6:7], -v[48:49]
	v_fmac_f64_e32 v[8:9], v[4:5], v[6:7]
	v_mul_f64_e32 v[6:7], v[4:5], v[12:13]
	s_delay_alu instid0(VALU_DEP_3) | instskip(NEXT) | instid1(VALU_DEP_3)
	v_add_f64_e32 v[48:49], v[56:57], v[48:49]
	v_add_f64_e32 v[50:51], v[8:9], v[58:59]
	s_delay_alu instid0(VALU_DEP_3) | instskip(SKIP_1) | instid1(VALU_DEP_2)
	v_fma_f64 v[6:7], v[2:3], v[10:11], -v[6:7]
	v_mul_f64_e32 v[2:3], v[2:3], v[12:13]
	v_add_f64_e32 v[52:53], v[60:61], v[6:7]
	s_delay_alu instid0(VALU_DEP_2) | instskip(NEXT) | instid1(VALU_DEP_1)
	v_fmac_f64_e32 v[2:3], v[4:5], v[10:11]
	v_add_f64_e32 v[54:55], v[2:3], v[62:63]
	ds_load_b128 v[10:13], v67 offset:400
	ds_load_b128 v[2:5], v68 offset:12800
	s_wait_dscnt 0x0
	v_mul_f64_e32 v[6:7], v[12:13], v[4:5]
	v_mul_f64_e32 v[8:9], v[10:11], v[4:5]
	s_delay_alu instid0(VALU_DEP_2) | instskip(NEXT) | instid1(VALU_DEP_2)
	v_fma_f64 v[6:7], v[10:11], v[2:3], -v[6:7]
	v_fmac_f64_e32 v[8:9], v[12:13], v[2:3]
	s_delay_alu instid0(VALU_DEP_2) | instskip(NEXT) | instid1(VALU_DEP_2)
	v_add_f64_e32 v[60:61], v[64:65], v[6:7]
	v_add_f64_e32 v[62:63], v[8:9], v[80:81]
	ds_load_b128 v[6:9], v68 offset:13056
	s_wait_dscnt 0x0
	v_mul_f64_e32 v[56:57], v[12:13], v[8:9]
	s_delay_alu instid0(VALU_DEP_1) | instskip(SKIP_1) | instid1(VALU_DEP_2)
	v_fma_f64 v[56:57], v[10:11], v[6:7], -v[56:57]
	v_mul_f64_e32 v[10:11], v[10:11], v[8:9]
	v_add_f64_e32 v[56:57], v[82:83], v[56:57]
	s_delay_alu instid0(VALU_DEP_2) | instskip(NEXT) | instid1(VALU_DEP_1)
	v_fmac_f64_e32 v[10:11], v[12:13], v[6:7]
	v_add_f64_e32 v[58:59], v[10:11], v[84:85]
	ds_load_b128 v[10:13], v67 offset:8592
	s_wait_dscnt 0x0
	v_mul_f64_e32 v[64:65], v[12:13], v[4:5]
	v_mul_f64_e32 v[4:5], v[10:11], v[4:5]
	s_delay_alu instid0(VALU_DEP_2) | instskip(NEXT) | instid1(VALU_DEP_2)
	v_fma_f64 v[64:65], v[10:11], v[2:3], -v[64:65]
	v_fmac_f64_e32 v[4:5], v[12:13], v[2:3]
	v_mul_f64_e32 v[2:3], v[12:13], v[8:9]
	s_delay_alu instid0(VALU_DEP_3) | instskip(NEXT) | instid1(VALU_DEP_3)
	v_add_f64_e32 v[48:49], v[48:49], v[64:65]
	v_add_f64_e32 v[50:51], v[4:5], v[50:51]
	v_mul_f64_e32 v[4:5], v[10:11], v[8:9]
	s_delay_alu instid0(VALU_DEP_4) | instskip(NEXT) | instid1(VALU_DEP_2)
	v_fma_f64 v[2:3], v[10:11], v[6:7], -v[2:3]
	v_fmac_f64_e32 v[4:5], v[12:13], v[6:7]
	s_delay_alu instid0(VALU_DEP_2) | instskip(NEXT) | instid1(VALU_DEP_2)
	v_add_f64_e32 v[52:53], v[52:53], v[2:3]
	v_add_f64_e32 v[54:55], v[4:5], v[54:55]
	ds_load_b128 v[2:5], v67 offset:416
	ds_load_b128 v[6:9], v68 offset:13312
	s_wait_dscnt 0x0
	v_mul_f64_e32 v[10:11], v[4:5], v[8:9]
	v_mul_f64_e32 v[12:13], v[2:3], v[8:9]
	s_delay_alu instid0(VALU_DEP_2) | instskip(NEXT) | instid1(VALU_DEP_2)
	v_fma_f64 v[10:11], v[2:3], v[6:7], -v[10:11]
	v_fmac_f64_e32 v[12:13], v[4:5], v[6:7]
	s_delay_alu instid0(VALU_DEP_2) | instskip(NEXT) | instid1(VALU_DEP_2)
	v_add_f64_e32 v[60:61], v[60:61], v[10:11]
	v_add_f64_e32 v[62:63], v[12:13], v[62:63]
	ds_load_b128 v[10:13], v68 offset:13568
	s_wait_dscnt 0x0
	v_mul_f64_e32 v[64:65], v[4:5], v[12:13]
	s_delay_alu instid0(VALU_DEP_1) | instskip(SKIP_1) | instid1(VALU_DEP_2)
	v_fma_f64 v[64:65], v[2:3], v[10:11], -v[64:65]
	v_mul_f64_e32 v[2:3], v[2:3], v[12:13]
	v_add_f64_e32 v[64:65], v[56:57], v[64:65]
	s_delay_alu instid0(VALU_DEP_2) | instskip(NEXT) | instid1(VALU_DEP_1)
	v_fmac_f64_e32 v[2:3], v[4:5], v[10:11]
	v_add_f64_e32 v[80:81], v[2:3], v[58:59]
	ds_load_b128 v[2:5], v67 offset:8608
	s_wait_dscnt 0x0
	v_mul_f64_e32 v[56:57], v[4:5], v[8:9]
	v_mul_f64_e32 v[8:9], v[2:3], v[8:9]
	s_delay_alu instid0(VALU_DEP_2) | instskip(NEXT) | instid1(VALU_DEP_2)
	v_fma_f64 v[56:57], v[2:3], v[6:7], -v[56:57]
	v_fmac_f64_e32 v[8:9], v[4:5], v[6:7]
	s_delay_alu instid0(VALU_DEP_2) | instskip(SKIP_2) | instid1(VALU_DEP_4)
	v_add_f64_e32 v[6:7], v[48:49], v[56:57]
	v_mul_f64_e32 v[48:49], v[4:5], v[12:13]
	v_mul_f64_e32 v[12:13], v[2:3], v[12:13]
	v_add_f64_e32 v[8:9], v[8:9], v[50:51]
	s_delay_alu instid0(VALU_DEP_3) | instskip(NEXT) | instid1(VALU_DEP_3)
	v_fma_f64 v[48:49], v[2:3], v[10:11], -v[48:49]
	v_fmac_f64_e32 v[12:13], v[4:5], v[10:11]
	s_delay_alu instid0(VALU_DEP_2) | instskip(NEXT) | instid1(VALU_DEP_2)
	v_add_f64_e32 v[2:3], v[52:53], v[48:49]
	v_add_f64_e32 v[4:5], v[12:13], v[54:55]
	ds_load_b128 v[10:13], v67 offset:432
	ds_load_b128 v[52:55], v68 offset:13824
	;; [unrolled: 1-line block ×3, first 2 shown]
	s_wait_dscnt 0x1
	v_mul_f64_e32 v[48:49], v[12:13], v[54:55]
	v_mul_f64_e32 v[50:51], v[10:11], v[54:55]
	s_delay_alu instid0(VALU_DEP_2) | instskip(NEXT) | instid1(VALU_DEP_2)
	v_fma_f64 v[48:49], v[10:11], v[52:53], -v[48:49]
	v_fmac_f64_e32 v[50:51], v[12:13], v[52:53]
	s_delay_alu instid0(VALU_DEP_2) | instskip(NEXT) | instid1(VALU_DEP_2)
	v_add_f64_e32 v[48:49], v[60:61], v[48:49]
	v_add_f64_e32 v[50:51], v[50:51], v[62:63]
	s_wait_dscnt 0x0
	v_mul_f64_e32 v[60:61], v[12:13], v[58:59]
	v_mul_f64_e32 v[62:63], v[10:11], v[58:59]
	s_delay_alu instid0(VALU_DEP_2) | instskip(NEXT) | instid1(VALU_DEP_2)
	v_fma_f64 v[60:61], v[10:11], v[56:57], -v[60:61]
	v_fmac_f64_e32 v[62:63], v[12:13], v[56:57]
	s_delay_alu instid0(VALU_DEP_2) | instskip(NEXT) | instid1(VALU_DEP_2)
	v_add_f64_e32 v[10:11], v[64:65], v[60:61]
	v_add_f64_e32 v[12:13], v[62:63], v[80:81]
	ds_load_b128 v[60:63], v67 offset:8624
	s_wait_dscnt 0x0
	v_mul_f64_e32 v[64:65], v[62:63], v[54:55]
	v_mul_f64_e32 v[54:55], v[60:61], v[54:55]
	s_delay_alu instid0(VALU_DEP_2) | instskip(NEXT) | instid1(VALU_DEP_2)
	v_fma_f64 v[64:65], v[60:61], v[52:53], -v[64:65]
	v_fmac_f64_e32 v[54:55], v[62:63], v[52:53]
	s_delay_alu instid0(VALU_DEP_2) | instskip(NEXT) | instid1(VALU_DEP_2)
	v_add_f64_e32 v[64:65], v[6:7], v[64:65]
	v_add_f64_e32 v[80:81], v[54:55], v[8:9]
	v_mul_f64_e32 v[6:7], v[62:63], v[58:59]
	v_mul_f64_e32 v[8:9], v[60:61], v[58:59]
	s_delay_alu instid0(VALU_DEP_2) | instskip(NEXT) | instid1(VALU_DEP_2)
	v_fma_f64 v[6:7], v[60:61], v[56:57], -v[6:7]
	v_fmac_f64_e32 v[8:9], v[62:63], v[56:57]
	s_delay_alu instid0(VALU_DEP_2) | instskip(NEXT) | instid1(VALU_DEP_2)
	v_add_f64_e32 v[56:57], v[2:3], v[6:7]
	v_add_f64_e32 v[58:59], v[8:9], v[4:5]
	ds_load_b128 v[2:5], v67 offset:448
	ds_load_b128 v[6:9], v68 offset:14336
	s_wait_dscnt 0x0
	v_mul_f64_e32 v[52:53], v[4:5], v[8:9]
	v_mul_f64_e32 v[54:55], v[2:3], v[8:9]
	s_delay_alu instid0(VALU_DEP_2) | instskip(NEXT) | instid1(VALU_DEP_2)
	v_fma_f64 v[52:53], v[2:3], v[6:7], -v[52:53]
	v_fmac_f64_e32 v[54:55], v[4:5], v[6:7]
	s_delay_alu instid0(VALU_DEP_2) | instskip(NEXT) | instid1(VALU_DEP_2)
	v_add_f64_e32 v[60:61], v[48:49], v[52:53]
	v_add_f64_e32 v[62:63], v[54:55], v[50:51]
	ds_load_b128 v[52:55], v68 offset:14592
	s_wait_dscnt 0x0
	v_mul_f64_e32 v[48:49], v[4:5], v[54:55]
	s_delay_alu instid0(VALU_DEP_1) | instskip(SKIP_1) | instid1(VALU_DEP_2)
	v_fma_f64 v[48:49], v[2:3], v[52:53], -v[48:49]
	v_mul_f64_e32 v[2:3], v[2:3], v[54:55]
	v_add_f64_e32 v[82:83], v[10:11], v[48:49]
	s_delay_alu instid0(VALU_DEP_2) | instskip(NEXT) | instid1(VALU_DEP_1)
	v_fmac_f64_e32 v[2:3], v[4:5], v[52:53]
	v_add_f64_e32 v[84:85], v[2:3], v[12:13]
	ds_load_b128 v[2:5], v67 offset:8640
	s_wait_dscnt 0x0
	v_mul_f64_e32 v[10:11], v[4:5], v[8:9]
	v_mul_f64_e32 v[8:9], v[2:3], v[8:9]
	s_delay_alu instid0(VALU_DEP_2) | instskip(NEXT) | instid1(VALU_DEP_2)
	v_fma_f64 v[10:11], v[2:3], v[6:7], -v[10:11]
	v_fmac_f64_e32 v[8:9], v[4:5], v[6:7]
	v_mul_f64_e32 v[6:7], v[4:5], v[54:55]
	s_delay_alu instid0(VALU_DEP_3) | instskip(NEXT) | instid1(VALU_DEP_3)
	v_add_f64_e32 v[48:49], v[64:65], v[10:11]
	v_add_f64_e32 v[50:51], v[8:9], v[80:81]
	s_delay_alu instid0(VALU_DEP_3) | instskip(SKIP_1) | instid1(VALU_DEP_2)
	v_fma_f64 v[6:7], v[2:3], v[52:53], -v[6:7]
	v_mul_f64_e32 v[2:3], v[2:3], v[54:55]
	v_add_f64_e32 v[10:11], v[56:57], v[6:7]
	s_delay_alu instid0(VALU_DEP_2)
	v_fmac_f64_e32 v[2:3], v[4:5], v[52:53]
	ds_load_b128 v[52:55], v67 offset:464
	ds_load_b128 v[6:9], v68 offset:14848
	s_wait_dscnt 0x0
	v_mul_f64_e32 v[4:5], v[52:53], v[8:9]
	v_add_f64_e32 v[12:13], v[2:3], v[58:59]
	v_mul_f64_e32 v[2:3], v[54:55], v[8:9]
	s_delay_alu instid0(VALU_DEP_3) | instskip(NEXT) | instid1(VALU_DEP_2)
	v_fmac_f64_e32 v[4:5], v[54:55], v[6:7]
	v_fma_f64 v[2:3], v[52:53], v[6:7], -v[2:3]
	s_delay_alu instid0(VALU_DEP_2) | instskip(NEXT) | instid1(VALU_DEP_2)
	v_add_f64_e32 v[58:59], v[4:5], v[62:63]
	v_add_f64_e32 v[56:57], v[60:61], v[2:3]
	ds_load_b128 v[2:5], v68 offset:15104
	s_wait_dscnt 0x0
	v_mul_f64_e32 v[60:61], v[54:55], v[4:5]
	v_mul_f64_e32 v[62:63], v[52:53], v[4:5]
	s_delay_alu instid0(VALU_DEP_2) | instskip(NEXT) | instid1(VALU_DEP_2)
	v_fma_f64 v[60:61], v[52:53], v[2:3], -v[60:61]
	v_fmac_f64_e32 v[62:63], v[54:55], v[2:3]
	s_delay_alu instid0(VALU_DEP_2) | instskip(NEXT) | instid1(VALU_DEP_2)
	v_add_f64_e32 v[52:53], v[82:83], v[60:61]
	v_add_f64_e32 v[54:55], v[62:63], v[84:85]
	ds_load_b128 v[60:63], v67 offset:8656
	s_wait_dscnt 0x0
	v_mul_f64_e32 v[64:65], v[62:63], v[8:9]
	v_mul_f64_e32 v[8:9], v[60:61], v[8:9]
	s_delay_alu instid0(VALU_DEP_2) | instskip(NEXT) | instid1(VALU_DEP_2)
	v_fma_f64 v[64:65], v[60:61], v[6:7], -v[64:65]
	v_fmac_f64_e32 v[8:9], v[62:63], v[6:7]
	v_mul_f64_e32 v[6:7], v[62:63], v[4:5]
	v_mul_f64_e32 v[4:5], v[60:61], v[4:5]
	s_delay_alu instid0(VALU_DEP_4) | instskip(NEXT) | instid1(VALU_DEP_4)
	v_add_f64_e32 v[48:49], v[48:49], v[64:65]
	v_add_f64_e32 v[50:51], v[8:9], v[50:51]
	s_delay_alu instid0(VALU_DEP_4) | instskip(NEXT) | instid1(VALU_DEP_4)
	v_fma_f64 v[6:7], v[60:61], v[2:3], -v[6:7]
	v_fmac_f64_e32 v[4:5], v[62:63], v[2:3]
	s_delay_alu instid0(VALU_DEP_2) | instskip(NEXT) | instid1(VALU_DEP_2)
	v_add_f64_e32 v[62:63], v[10:11], v[6:7]
	v_add_f64_e32 v[80:81], v[4:5], v[12:13]
	ds_load_b128 v[2:5], v67 offset:480
	ds_load_b128 v[6:9], v68 offset:15360
	s_wait_dscnt 0x0
	v_mul_f64_e32 v[10:11], v[4:5], v[8:9]
	v_mul_f64_e32 v[12:13], v[2:3], v[8:9]
	s_delay_alu instid0(VALU_DEP_2) | instskip(NEXT) | instid1(VALU_DEP_2)
	v_fma_f64 v[10:11], v[2:3], v[6:7], -v[10:11]
	v_fmac_f64_e32 v[12:13], v[4:5], v[6:7]
	s_delay_alu instid0(VALU_DEP_2) | instskip(NEXT) | instid1(VALU_DEP_2)
	v_add_f64_e32 v[82:83], v[56:57], v[10:11]
	v_add_f64_e32 v[84:85], v[12:13], v[58:59]
	ds_load_b128 v[10:13], v68 offset:15616
	s_wait_dscnt 0x0
	v_mul_f64_e32 v[56:57], v[4:5], v[12:13]
	s_delay_alu instid0(VALU_DEP_1) | instskip(SKIP_1) | instid1(VALU_DEP_2)
	v_fma_f64 v[56:57], v[2:3], v[10:11], -v[56:57]
	v_mul_f64_e32 v[2:3], v[2:3], v[12:13]
	v_add_f64_e32 v[86:87], v[52:53], v[56:57]
	s_delay_alu instid0(VALU_DEP_2) | instskip(NEXT) | instid1(VALU_DEP_1)
	v_fmac_f64_e32 v[2:3], v[4:5], v[10:11]
	v_add_f64_e32 v[88:89], v[2:3], v[54:55]
	ds_load_b128 v[2:5], v67 offset:8672
	s_wait_dscnt 0x0
	v_mul_f64_e32 v[52:53], v[4:5], v[8:9]
	v_mul_f64_e32 v[8:9], v[2:3], v[8:9]
	s_delay_alu instid0(VALU_DEP_2) | instskip(NEXT) | instid1(VALU_DEP_2)
	v_fma_f64 v[52:53], v[2:3], v[6:7], -v[52:53]
	v_fmac_f64_e32 v[8:9], v[4:5], v[6:7]
	v_mul_f64_e32 v[6:7], v[4:5], v[12:13]
	s_delay_alu instid0(VALU_DEP_3) | instskip(NEXT) | instid1(VALU_DEP_3)
	v_add_f64_e32 v[60:61], v[48:49], v[52:53]
	v_add_f64_e32 v[64:65], v[8:9], v[50:51]
	s_delay_alu instid0(VALU_DEP_3) | instskip(SKIP_1) | instid1(VALU_DEP_2)
	v_fma_f64 v[6:7], v[2:3], v[10:11], -v[6:7]
	v_mul_f64_e32 v[2:3], v[2:3], v[12:13]
	v_add_f64_e32 v[56:57], v[62:63], v[6:7]
	s_delay_alu instid0(VALU_DEP_2)
	v_fmac_f64_e32 v[2:3], v[4:5], v[10:11]
	ds_load_b128 v[10:13], v67 offset:496
	ds_load_b128 v[6:9], v68 offset:15872
	s_wait_dscnt 0x0
	v_mul_f64_e32 v[4:5], v[10:11], v[8:9]
	v_add_f64_e32 v[58:59], v[2:3], v[80:81]
	v_mul_f64_e32 v[2:3], v[12:13], v[8:9]
	s_delay_alu instid0(VALU_DEP_3) | instskip(NEXT) | instid1(VALU_DEP_2)
	v_fmac_f64_e32 v[4:5], v[12:13], v[6:7]
	v_fma_f64 v[2:3], v[10:11], v[6:7], -v[2:3]
	s_delay_alu instid0(VALU_DEP_2) | instskip(NEXT) | instid1(VALU_DEP_2)
	v_add_f64_e32 v[54:55], v[4:5], v[84:85]
	v_add_f64_e32 v[52:53], v[82:83], v[2:3]
	ds_load_b128 v[2:5], v68 offset:16128
	s_wait_dscnt 0x0
	v_mul_f64_e32 v[48:49], v[12:13], v[4:5]
	s_delay_alu instid0(VALU_DEP_1) | instskip(SKIP_1) | instid1(VALU_DEP_2)
	v_fma_f64 v[48:49], v[10:11], v[2:3], -v[48:49]
	v_mul_f64_e32 v[10:11], v[10:11], v[4:5]
	v_add_f64_e32 v[48:49], v[86:87], v[48:49]
	s_delay_alu instid0(VALU_DEP_2) | instskip(NEXT) | instid1(VALU_DEP_1)
	v_fmac_f64_e32 v[10:11], v[12:13], v[2:3]
	v_add_f64_e32 v[50:51], v[10:11], v[88:89]
	ds_load_b128 v[10:13], v67 offset:8688
	s_wait_dscnt 0x0
	s_barrier_signal -1
	s_barrier_wait -1
	v_mul_f64_e32 v[62:63], v[12:13], v[8:9]
	v_mul_f64_e32 v[8:9], v[10:11], v[8:9]
	s_delay_alu instid0(VALU_DEP_2) | instskip(NEXT) | instid1(VALU_DEP_2)
	v_fma_f64 v[62:63], v[10:11], v[6:7], -v[62:63]
	v_fmac_f64_e32 v[8:9], v[12:13], v[6:7]
	v_mul_f64_e32 v[6:7], v[12:13], v[4:5]
	v_mul_f64_e32 v[4:5], v[10:11], v[4:5]
	s_delay_alu instid0(VALU_DEP_4) | instskip(NEXT) | instid1(VALU_DEP_4)
	v_add_f64_e32 v[62:63], v[60:61], v[62:63]
	v_add_f64_e32 v[60:61], v[8:9], v[64:65]
	s_delay_alu instid0(VALU_DEP_4) | instskip(NEXT) | instid1(VALU_DEP_4)
	v_fma_f64 v[6:7], v[10:11], v[2:3], -v[6:7]
	v_fmac_f64_e32 v[4:5], v[12:13], v[2:3]
	s_delay_alu instid0(VALU_DEP_2) | instskip(NEXT) | instid1(VALU_DEP_2)
	v_add_f64_e32 v[64:65], v[56:57], v[6:7]
	v_add_f64_e32 v[56:57], v[4:5], v[58:59]
	s_cbranch_scc1 .LBB121_59
.LBB121_10:                             ;   Parent Loop BB121_4 Depth=1
                                        ;     Parent Loop BB121_7 Depth=2
                                        ; =>    This Inner Loop Header: Depth=3
	v_add_nc_u64_e32 v[4:5], s[52:53], v[24:25]
	v_cmp_eq_u64_e64 s7, s[52:53], v[36:37]
	v_add_nc_u64_e32 v[6:7], v[30:31], v[40:41]
	s_delay_alu instid0(VALU_DEP_3) | instskip(SKIP_3) | instid1(SALU_CYCLE_1)
	v_cmp_lt_i64_e64 s5, v[4:5], v[26:27]
	v_cmp_le_i64_e64 s6, s[46:47], v[4:5]
	s_and_b32 s62, s56, s7
	s_or_b32 s8, s4, s5
	s_or_b32 s7, s6, s8
	s_delay_alu instid0(SALU_CYCLE_1) | instskip(NEXT) | instid1(SALU_CYCLE_1)
	s_nor_b32 s7, s7, s62
	s_and_saveexec_b32 s8, s7
	s_delay_alu instid0(SALU_CYCLE_1)
	s_xor_b32 s7, exec_lo, s8
	s_cbranch_execz .LBB121_12
; %bb.11:                               ;   in Loop: Header=BB121_10 Depth=3
	global_load_b128 v[8:11], v[6:7], off offset:-256
	s_wait_loadcnt 0x0
	ds_store_2addr_b64 v69, v[8:9], v[10:11] offset1:1
.LBB121_12:                             ;   in Loop: Header=BB121_10 Depth=3
	s_wait_xcnt 0x0
	s_or_saveexec_b32 s7, s7
	s_xor_b32 s61, s62, -1
	s_xor_b32 exec_lo, exec_lo, s7
	s_cbranch_execz .LBB121_18
; %bb.13:                               ;   in Loop: Header=BB121_10 Depth=3
	s_and_saveexec_b32 s8, s61
	s_delay_alu instid0(SALU_CYCLE_1)
	s_xor_b32 s8, exec_lo, s8
; %bb.14:                               ;   in Loop: Header=BB121_10 Depth=3
	v_dual_mov_b32 v8, v0 :: v_dual_mov_b32 v9, v0
	v_dual_mov_b32 v10, v0 :: v_dual_mov_b32 v11, v0
	ds_store_b128 v69, v[8:11]
; %bb.15:                               ;   in Loop: Header=BB121_10 Depth=3
	s_and_not1_saveexec_b32 s8, s8
; %bb.16:                               ;   in Loop: Header=BB121_10 Depth=3
	v_dual_mov_b32 v2, v0 :: v_dual_mov_b32 v3, v0
	ds_store_b128 v69, v[0:3]
; %bb.17:                               ;   in Loop: Header=BB121_10 Depth=3
	s_or_b32 exec_lo, exec_lo, s8
.LBB121_18:                             ;   in Loop: Header=BB121_10 Depth=3
	s_delay_alu instid0(SALU_CYCLE_1) | instskip(SKIP_2) | instid1(VALU_DEP_2)
	s_or_b32 exec_lo, exec_lo, s7
	v_add_nc_u64_e32 v[2:3], 16, v[4:5]
	v_cmp_eq_u64_e64 s9, s[52:53], v[44:45]
	v_cmp_lt_i64_e64 s8, v[2:3], v[26:27]
	v_cmp_le_i64_e64 s7, s[46:47], v[2:3]
	s_and_b32 s9, s56, s9
	s_or_b32 s8, s4, s8
	s_delay_alu instid0(SALU_CYCLE_1) | instskip(NEXT) | instid1(SALU_CYCLE_1)
	s_or_b32 s8, s7, s8
	s_nor_b32 s8, s8, s9
	s_delay_alu instid0(SALU_CYCLE_1) | instskip(NEXT) | instid1(SALU_CYCLE_1)
	s_and_saveexec_b32 s63, s8
	s_xor_b32 s8, exec_lo, s63
	s_cbranch_execz .LBB121_20
; %bb.19:                               ;   in Loop: Header=BB121_10 Depth=3
	global_load_b128 v[6:9], v[6:7], off
	s_wait_loadcnt 0x0
	ds_store_2addr_b64 v71, v[6:7], v[8:9] offset1:1
.LBB121_20:                             ;   in Loop: Header=BB121_10 Depth=3
	s_wait_xcnt 0x0
	s_and_not1_saveexec_b32 s8, s8
	s_cbranch_execz .LBB121_26
; %bb.21:                               ;   in Loop: Header=BB121_10 Depth=3
	s_xor_b32 s9, s9, -1
	s_delay_alu instid0(SALU_CYCLE_1) | instskip(NEXT) | instid1(SALU_CYCLE_1)
	s_and_saveexec_b32 s63, s9
	s_xor_b32 s9, exec_lo, s63
; %bb.22:                               ;   in Loop: Header=BB121_10 Depth=3
	v_dual_mov_b32 v6, v0 :: v_dual_mov_b32 v7, v0
	v_dual_mov_b32 v8, v0 :: v_dual_mov_b32 v9, v0
	ds_store_b128 v69, v[6:9] offset:256
; %bb.23:                               ;   in Loop: Header=BB121_10 Depth=3
	s_and_not1_saveexec_b32 s9, s9
; %bb.24:                               ;   in Loop: Header=BB121_10 Depth=3
	v_dual_mov_b32 v2, v0 :: v_dual_mov_b32 v3, v0
	ds_store_b128 v69, v[0:3] offset:256
; %bb.25:                               ;   in Loop: Header=BB121_10 Depth=3
	s_or_b32 exec_lo, exec_lo, s9
.LBB121_26:                             ;   in Loop: Header=BB121_10 Depth=3
	s_delay_alu instid0(SALU_CYCLE_1)
	s_or_b32 exec_lo, exec_lo, s8
	v_cmp_eq_u64_e64 s8, s[52:53], v[42:43]
	v_cmp_lt_i64_e64 s9, v[4:5], v[38:39]
	v_add_nc_u64_e32 v[4:5], v[34:35], v[40:41]
	s_and_b32 s8, s56, s8
	s_or_b32 s9, vcc_lo, s9
	s_delay_alu instid0(SALU_CYCLE_1) | instskip(NEXT) | instid1(SALU_CYCLE_1)
	s_or_b32 s9, s9, s8
	s_nor_b32 s6, s6, s9
	s_delay_alu instid0(SALU_CYCLE_1) | instskip(NEXT) | instid1(SALU_CYCLE_1)
	s_and_saveexec_b32 s9, s6
	s_xor_b32 s6, exec_lo, s9
	s_cbranch_execz .LBB121_28
; %bb.27:                               ;   in Loop: Header=BB121_10 Depth=3
	global_load_b128 v[6:9], v[4:5], off offset:-256
	s_wait_loadcnt 0x0
	ds_store_2addr_b64 v72, v[6:7], v[8:9] offset1:1
.LBB121_28:                             ;   in Loop: Header=BB121_10 Depth=3
	s_wait_xcnt 0x0
	s_and_not1_saveexec_b32 s6, s6
	s_cbranch_execz .LBB121_34
; %bb.29:                               ;   in Loop: Header=BB121_10 Depth=3
	s_xor_b32 s8, s8, -1
	s_delay_alu instid0(SALU_CYCLE_1) | instskip(NEXT) | instid1(SALU_CYCLE_1)
	s_and_saveexec_b32 s9, s8
	s_xor_b32 s8, exec_lo, s9
; %bb.30:                               ;   in Loop: Header=BB121_10 Depth=3
	v_dual_mov_b32 v6, v0 :: v_dual_mov_b32 v7, v0
	v_dual_mov_b32 v8, v0 :: v_dual_mov_b32 v9, v0
	ds_store_b128 v69, v[6:9] offset:8192
; %bb.31:                               ;   in Loop: Header=BB121_10 Depth=3
	s_and_not1_saveexec_b32 s8, s8
; %bb.32:                               ;   in Loop: Header=BB121_10 Depth=3
	v_dual_mov_b32 v2, v0 :: v_dual_mov_b32 v3, v0
	ds_store_b128 v69, v[0:3] offset:8192
; %bb.33:                               ;   in Loop: Header=BB121_10 Depth=3
	s_or_b32 exec_lo, exec_lo, s8
.LBB121_34:                             ;   in Loop: Header=BB121_10 Depth=3
	s_delay_alu instid0(SALU_CYCLE_1) | instskip(SKIP_1) | instid1(SALU_CYCLE_1)
	s_or_b32 exec_lo, exec_lo, s6
	s_or_b32 s5, vcc_lo, s5
	s_or_b32 s5, s7, s5
	s_delay_alu instid0(SALU_CYCLE_1) | instskip(NEXT) | instid1(SALU_CYCLE_1)
	s_nor_b32 s5, s5, s62
	s_and_saveexec_b32 s6, s5
	s_delay_alu instid0(SALU_CYCLE_1)
	s_xor_b32 s5, exec_lo, s6
	s_cbranch_execz .LBB121_36
; %bb.35:                               ;   in Loop: Header=BB121_10 Depth=3
	global_load_b128 v[2:5], v[4:5], off
	s_wait_loadcnt 0x0
	ds_store_2addr_b64 v73, v[2:3], v[4:5] offset1:1
.LBB121_36:                             ;   in Loop: Header=BB121_10 Depth=3
	s_wait_xcnt 0x0
	s_and_not1_saveexec_b32 s5, s5
	s_cbranch_execz .LBB121_42
; %bb.37:                               ;   in Loop: Header=BB121_10 Depth=3
	s_and_saveexec_b32 s6, s61
	s_delay_alu instid0(SALU_CYCLE_1)
	s_xor_b32 s6, exec_lo, s6
; %bb.38:                               ;   in Loop: Header=BB121_10 Depth=3
	v_dual_mov_b32 v2, v0 :: v_dual_mov_b32 v3, v0
	v_dual_mov_b32 v4, v0 :: v_dual_mov_b32 v5, v0
	ds_store_b128 v69, v[2:5] offset:8448
; %bb.39:                               ;   in Loop: Header=BB121_10 Depth=3
	s_and_not1_saveexec_b32 s6, s6
; %bb.40:                               ;   in Loop: Header=BB121_10 Depth=3
	v_dual_mov_b32 v2, v0 :: v_dual_mov_b32 v3, v0
	ds_store_b128 v69, v[0:3] offset:8448
; %bb.41:                               ;   in Loop: Header=BB121_10 Depth=3
	s_or_b32 exec_lo, exec_lo, s6
.LBB121_42:                             ;   in Loop: Header=BB121_10 Depth=3
	s_delay_alu instid0(SALU_CYCLE_1) | instskip(SKIP_2) | instid1(VALU_DEP_2)
	s_or_b32 exec_lo, exec_lo, s5
	v_add_nc_u64_e32 v[2:3], s[52:53], v[22:23]
	v_add_nc_u64_e32 v[4:5], v[46:47], v[28:29]
	v_cmp_le_i64_e64 s5, s[46:47], v[2:3]
	s_nor_b32 s6, s5, s0
	s_delay_alu instid0(SALU_CYCLE_1) | instskip(NEXT) | instid1(SALU_CYCLE_1)
	s_and_saveexec_b32 s7, s6
	s_xor_b32 s6, exec_lo, s7
	s_cbranch_execz .LBB121_44
; %bb.43:                               ;   in Loop: Header=BB121_10 Depth=3
	global_load_b128 v[6:9], v[4:5], off offset:-256
	s_wait_loadcnt 0x0
	ds_store_2addr_b64 v70, v[6:7], v[8:9] offset1:1
.LBB121_44:                             ;   in Loop: Header=BB121_10 Depth=3
	s_wait_xcnt 0x0
	s_and_not1_saveexec_b32 s6, s6
; %bb.45:                               ;   in Loop: Header=BB121_10 Depth=3
	v_dual_mov_b32 v6, v0 :: v_dual_mov_b32 v7, v0
	v_dual_mov_b32 v8, v0 :: v_dual_mov_b32 v9, v0
	ds_store_b128 v70, v[6:9]
; %bb.46:                               ;   in Loop: Header=BB121_10 Depth=3
	s_or_b32 exec_lo, exec_lo, s6
	s_nor_b32 s5, s5, s1
	s_delay_alu instid0(SALU_CYCLE_1) | instskip(NEXT) | instid1(SALU_CYCLE_1)
	s_and_saveexec_b32 s6, s5
	s_xor_b32 s5, exec_lo, s6
	s_cbranch_execz .LBB121_48
; %bb.47:                               ;   in Loop: Header=BB121_10 Depth=3
	global_load_b128 v[4:7], v[4:5], off
	s_wait_loadcnt 0x0
	ds_store_2addr_b64 v74, v[4:5], v[6:7] offset1:1
.LBB121_48:                             ;   in Loop: Header=BB121_10 Depth=3
	s_wait_xcnt 0x0
	s_and_not1_saveexec_b32 s5, s5
; %bb.49:                               ;   in Loop: Header=BB121_10 Depth=3
	v_dual_mov_b32 v4, v0 :: v_dual_mov_b32 v5, v0
	v_dual_mov_b32 v6, v0 :: v_dual_mov_b32 v7, v0
	ds_store_b128 v70, v[4:7] offset:256
; %bb.50:                               ;   in Loop: Header=BB121_10 Depth=3
	s_or_b32 exec_lo, exec_lo, s5
	v_cmp_le_i64_e64 s5, s[48:49], v[2:3]
	v_add_nc_u64_e32 v[2:3], v[46:47], v[32:33]
	s_nor_b32 s6, s5, s0
	s_delay_alu instid0(SALU_CYCLE_1) | instskip(NEXT) | instid1(SALU_CYCLE_1)
	s_and_saveexec_b32 s7, s6
	s_xor_b32 s6, exec_lo, s7
	s_cbranch_execz .LBB121_52
; %bb.51:                               ;   in Loop: Header=BB121_10 Depth=3
	global_load_b128 v[4:7], v[2:3], off offset:-256
	s_wait_loadcnt 0x0
	ds_store_2addr_b64 v75, v[4:5], v[6:7] offset1:1
.LBB121_52:                             ;   in Loop: Header=BB121_10 Depth=3
	s_wait_xcnt 0x0
	s_and_not1_saveexec_b32 s6, s6
; %bb.53:                               ;   in Loop: Header=BB121_10 Depth=3
	v_dual_mov_b32 v4, v0 :: v_dual_mov_b32 v5, v0
	v_dual_mov_b32 v6, v0 :: v_dual_mov_b32 v7, v0
	ds_store_b128 v70, v[4:7] offset:8192
; %bb.54:                               ;   in Loop: Header=BB121_10 Depth=3
	s_or_b32 exec_lo, exec_lo, s6
	s_nor_b32 s5, s5, s1
	s_delay_alu instid0(SALU_CYCLE_1) | instskip(NEXT) | instid1(SALU_CYCLE_1)
	s_and_saveexec_b32 s6, s5
	s_xor_b32 s5, exec_lo, s6
	s_cbranch_execz .LBB121_56
; %bb.55:                               ;   in Loop: Header=BB121_10 Depth=3
	global_load_b128 v[2:5], v[2:3], off
	s_wait_loadcnt 0x0
	ds_store_2addr_b64 v76, v[2:3], v[4:5] offset1:1
.LBB121_56:                             ;   in Loop: Header=BB121_10 Depth=3
	s_wait_xcnt 0x0
	s_and_not1_saveexec_b32 s5, s5
	s_cbranch_execz .LBB121_9
; %bb.57:                               ;   in Loop: Header=BB121_10 Depth=3
	v_dual_mov_b32 v2, v0 :: v_dual_mov_b32 v3, v0
	v_dual_mov_b32 v4, v0 :: v_dual_mov_b32 v5, v0
	ds_store_b128 v70, v[2:5] offset:8448
	s_branch .LBB121_9
.LBB121_58:                             ;   in Loop: Header=BB121_7 Depth=2
	v_mov_b64_e32 v[52:53], 0
	v_mov_b64_e32 v[54:55], 0
	;; [unrolled: 1-line block ×8, first 2 shown]
.LBB121_59:                             ;   in Loop: Header=BB121_7 Depth=2
	v_mul_u64_e32 v[2:3], s[28:29], v[26:27]
	v_cmp_gt_i32_e32 vcc_lo, s42, v26
	s_and_b32 s5, s2, vcc_lo
	s_delay_alu instid0(VALU_DEP_2)
	v_lshl_add_u64 v[2:3], v[2:3], 4, s[50:51]
	s_and_saveexec_b32 s4, s5
	s_cbranch_execz .LBB121_61
; %bb.60:                               ;   in Loop: Header=BB121_7 Depth=2
	s_delay_alu instid0(VALU_DEP_1)
	v_lshl_add_u64 v[8:9], v[14:15], 4, v[2:3]
	v_mul_f64_e32 v[10:11], s[38:39], v[54:55]
	v_mul_f64_e32 v[12:13], s[36:37], v[54:55]
	global_load_b128 v[4:7], v[8:9], off
	v_fma_f64 v[10:11], s[36:37], v[52:53], -v[10:11]
	v_fmac_f64_e32 v[12:13], s[38:39], v[52:53]
	s_wait_loadcnt 0x0
	s_delay_alu instid0(VALU_DEP_2) | instskip(NEXT) | instid1(VALU_DEP_2)
	v_add_f64_e32 v[4:5], v[4:5], v[10:11]
	v_add_f64_e32 v[6:7], v[12:13], v[6:7]
	global_store_b128 v[8:9], v[4:7], off
.LBB121_61:                             ;   in Loop: Header=BB121_7 Depth=2
	s_wait_xcnt 0x0
	s_or_b32 exec_lo, exec_lo, s4
	s_and_b32 s5, s3, vcc_lo
	s_delay_alu instid0(SALU_CYCLE_1)
	s_and_saveexec_b32 s4, s5
	s_cbranch_execz .LBB121_63
; %bb.62:                               ;   in Loop: Header=BB121_7 Depth=2
	v_lshl_add_u64 v[6:7], v[16:17], 4, v[2:3]
	v_mul_f64_e32 v[8:9], s[38:39], v[50:51]
	v_mul_f64_e32 v[10:11], s[36:37], v[50:51]
	global_load_b128 v[2:5], v[6:7], off
	v_fma_f64 v[8:9], s[36:37], v[48:49], -v[8:9]
	v_fmac_f64_e32 v[10:11], s[38:39], v[48:49]
	s_wait_loadcnt 0x0
	s_delay_alu instid0(VALU_DEP_2) | instskip(NEXT) | instid1(VALU_DEP_2)
	v_add_f64_e32 v[2:3], v[2:3], v[8:9]
	v_add_f64_e32 v[4:5], v[10:11], v[4:5]
	global_store_b128 v[6:7], v[2:5], off
.LBB121_63:                             ;   in Loop: Header=BB121_7 Depth=2
	s_wait_xcnt 0x0
	s_or_b32 exec_lo, exec_lo, s4
	v_add_nc_u32_e32 v2, 16, v26
	s_delay_alu instid0(VALU_DEP_1) | instskip(SKIP_1) | instid1(VALU_DEP_2)
	v_ashrrev_i32_e32 v3, 31, v2
	v_cmp_gt_i32_e32 vcc_lo, s42, v2
	v_mul_u64_e32 v[4:5], s[28:29], v[2:3]
	s_and_b32 s5, s2, vcc_lo
	s_delay_alu instid0(VALU_DEP_1)
	v_lshl_add_u64 v[2:3], v[4:5], 4, s[50:51]
	s_and_saveexec_b32 s4, s5
	s_cbranch_execz .LBB121_65
; %bb.64:                               ;   in Loop: Header=BB121_7 Depth=2
	s_delay_alu instid0(VALU_DEP_1)
	v_lshl_add_u64 v[8:9], v[14:15], 4, v[2:3]
	v_mul_f64_e32 v[10:11], s[38:39], v[60:61]
	v_mul_f64_e32 v[12:13], s[36:37], v[60:61]
	global_load_b128 v[4:7], v[8:9], off
	v_fma_f64 v[10:11], s[36:37], v[62:63], -v[10:11]
	v_fmac_f64_e32 v[12:13], s[38:39], v[62:63]
	s_wait_loadcnt 0x0
	s_delay_alu instid0(VALU_DEP_2) | instskip(NEXT) | instid1(VALU_DEP_2)
	v_add_f64_e32 v[4:5], v[4:5], v[10:11]
	v_add_f64_e32 v[6:7], v[12:13], v[6:7]
	global_store_b128 v[8:9], v[4:7], off
.LBB121_65:                             ;   in Loop: Header=BB121_7 Depth=2
	s_wait_xcnt 0x0
	s_or_b32 exec_lo, exec_lo, s4
	s_and_b32 s5, s3, vcc_lo
	s_delay_alu instid0(SALU_CYCLE_1)
	s_and_saveexec_b32 s4, s5
	s_cbranch_execz .LBB121_6
; %bb.66:                               ;   in Loop: Header=BB121_7 Depth=2
	v_lshl_add_u64 v[6:7], v[16:17], 4, v[2:3]
	v_mul_f64_e32 v[8:9], s[38:39], v[56:57]
	v_mul_f64_e32 v[10:11], s[36:37], v[56:57]
	global_load_b128 v[2:5], v[6:7], off
	v_fma_f64 v[8:9], s[36:37], v[64:65], -v[8:9]
	v_fmac_f64_e32 v[10:11], s[38:39], v[64:65]
	s_wait_loadcnt 0x0
	s_delay_alu instid0(VALU_DEP_2) | instskip(NEXT) | instid1(VALU_DEP_2)
	v_add_f64_e32 v[2:3], v[2:3], v[8:9]
	v_add_f64_e32 v[4:5], v[10:11], v[4:5]
	global_store_b128 v[6:7], v[2:5], off
	s_branch .LBB121_6
.LBB121_67:
	s_sendmsg sendmsg(MSG_DEALLOC_VGPRS)
	s_endpgm
	.section	.rodata,"a",@progbits
	.p2align	6, 0x0
	.amdhsa_kernel _ZL30rocblas_trmm_outofplace_kernelI19rocblas_complex_numIdELi32ELi2ELb0ELb0ELb0ELb0ES1_KS1_S1_Ev17rocblas_diagonal_iiT6_lPT7_lllS6_lllPT8_llli
		.amdhsa_group_segment_fixed_size 32768
		.amdhsa_private_segment_fixed_size 0
		.amdhsa_kernarg_size 400
		.amdhsa_user_sgpr_count 2
		.amdhsa_user_sgpr_dispatch_ptr 0
		.amdhsa_user_sgpr_queue_ptr 0
		.amdhsa_user_sgpr_kernarg_segment_ptr 1
		.amdhsa_user_sgpr_dispatch_id 0
		.amdhsa_user_sgpr_kernarg_preload_length 0
		.amdhsa_user_sgpr_kernarg_preload_offset 0
		.amdhsa_user_sgpr_private_segment_size 0
		.amdhsa_wavefront_size32 1
		.amdhsa_uses_dynamic_stack 0
		.amdhsa_enable_private_segment 0
		.amdhsa_system_sgpr_workgroup_id_x 1
		.amdhsa_system_sgpr_workgroup_id_y 1
		.amdhsa_system_sgpr_workgroup_id_z 1
		.amdhsa_system_sgpr_workgroup_info 0
		.amdhsa_system_vgpr_workitem_id 1
		.amdhsa_next_free_vgpr 94
		.amdhsa_next_free_sgpr 64
		.amdhsa_named_barrier_count 0
		.amdhsa_reserve_vcc 1
		.amdhsa_float_round_mode_32 0
		.amdhsa_float_round_mode_16_64 0
		.amdhsa_float_denorm_mode_32 3
		.amdhsa_float_denorm_mode_16_64 3
		.amdhsa_fp16_overflow 0
		.amdhsa_memory_ordered 1
		.amdhsa_forward_progress 1
		.amdhsa_inst_pref_size 66
		.amdhsa_round_robin_scheduling 0
		.amdhsa_exception_fp_ieee_invalid_op 0
		.amdhsa_exception_fp_denorm_src 0
		.amdhsa_exception_fp_ieee_div_zero 0
		.amdhsa_exception_fp_ieee_overflow 0
		.amdhsa_exception_fp_ieee_underflow 0
		.amdhsa_exception_fp_ieee_inexact 0
		.amdhsa_exception_int_div_zero 0
	.end_amdhsa_kernel
	.section	.text._ZL30rocblas_trmm_outofplace_kernelI19rocblas_complex_numIdELi32ELi2ELb0ELb0ELb0ELb0ES1_KS1_S1_Ev17rocblas_diagonal_iiT6_lPT7_lllS6_lllPT8_llli,"axG",@progbits,_ZL30rocblas_trmm_outofplace_kernelI19rocblas_complex_numIdELi32ELi2ELb0ELb0ELb0ELb0ES1_KS1_S1_Ev17rocblas_diagonal_iiT6_lPT7_lllS6_lllPT8_llli,comdat
.Lfunc_end121:
	.size	_ZL30rocblas_trmm_outofplace_kernelI19rocblas_complex_numIdELi32ELi2ELb0ELb0ELb0ELb0ES1_KS1_S1_Ev17rocblas_diagonal_iiT6_lPT7_lllS6_lllPT8_llli, .Lfunc_end121-_ZL30rocblas_trmm_outofplace_kernelI19rocblas_complex_numIdELi32ELi2ELb0ELb0ELb0ELb0ES1_KS1_S1_Ev17rocblas_diagonal_iiT6_lPT7_lllS6_lllPT8_llli
                                        ; -- End function
	.set _ZL30rocblas_trmm_outofplace_kernelI19rocblas_complex_numIdELi32ELi2ELb0ELb0ELb0ELb0ES1_KS1_S1_Ev17rocblas_diagonal_iiT6_lPT7_lllS6_lllPT8_llli.num_vgpr, 94
	.set _ZL30rocblas_trmm_outofplace_kernelI19rocblas_complex_numIdELi32ELi2ELb0ELb0ELb0ELb0ES1_KS1_S1_Ev17rocblas_diagonal_iiT6_lPT7_lllS6_lllPT8_llli.num_agpr, 0
	.set _ZL30rocblas_trmm_outofplace_kernelI19rocblas_complex_numIdELi32ELi2ELb0ELb0ELb0ELb0ES1_KS1_S1_Ev17rocblas_diagonal_iiT6_lPT7_lllS6_lllPT8_llli.numbered_sgpr, 64
	.set _ZL30rocblas_trmm_outofplace_kernelI19rocblas_complex_numIdELi32ELi2ELb0ELb0ELb0ELb0ES1_KS1_S1_Ev17rocblas_diagonal_iiT6_lPT7_lllS6_lllPT8_llli.num_named_barrier, 0
	.set _ZL30rocblas_trmm_outofplace_kernelI19rocblas_complex_numIdELi32ELi2ELb0ELb0ELb0ELb0ES1_KS1_S1_Ev17rocblas_diagonal_iiT6_lPT7_lllS6_lllPT8_llli.private_seg_size, 0
	.set _ZL30rocblas_trmm_outofplace_kernelI19rocblas_complex_numIdELi32ELi2ELb0ELb0ELb0ELb0ES1_KS1_S1_Ev17rocblas_diagonal_iiT6_lPT7_lllS6_lllPT8_llli.uses_vcc, 1
	.set _ZL30rocblas_trmm_outofplace_kernelI19rocblas_complex_numIdELi32ELi2ELb0ELb0ELb0ELb0ES1_KS1_S1_Ev17rocblas_diagonal_iiT6_lPT7_lllS6_lllPT8_llli.uses_flat_scratch, 0
	.set _ZL30rocblas_trmm_outofplace_kernelI19rocblas_complex_numIdELi32ELi2ELb0ELb0ELb0ELb0ES1_KS1_S1_Ev17rocblas_diagonal_iiT6_lPT7_lllS6_lllPT8_llli.has_dyn_sized_stack, 0
	.set _ZL30rocblas_trmm_outofplace_kernelI19rocblas_complex_numIdELi32ELi2ELb0ELb0ELb0ELb0ES1_KS1_S1_Ev17rocblas_diagonal_iiT6_lPT7_lllS6_lllPT8_llli.has_recursion, 0
	.set _ZL30rocblas_trmm_outofplace_kernelI19rocblas_complex_numIdELi32ELi2ELb0ELb0ELb0ELb0ES1_KS1_S1_Ev17rocblas_diagonal_iiT6_lPT7_lllS6_lllPT8_llli.has_indirect_call, 0
	.section	.AMDGPU.csdata,"",@progbits
; Kernel info:
; codeLenInByte = 8440
; TotalNumSgprs: 66
; NumVgprs: 94
; ScratchSize: 0
; MemoryBound: 0
; FloatMode: 240
; IeeeMode: 1
; LDSByteSize: 32768 bytes/workgroup (compile time only)
; SGPRBlocks: 0
; VGPRBlocks: 5
; NumSGPRsForWavesPerEU: 66
; NumVGPRsForWavesPerEU: 94
; NamedBarCnt: 0
; Occupancy: 10
; WaveLimiterHint : 0
; COMPUTE_PGM_RSRC2:SCRATCH_EN: 0
; COMPUTE_PGM_RSRC2:USER_SGPR: 2
; COMPUTE_PGM_RSRC2:TRAP_HANDLER: 0
; COMPUTE_PGM_RSRC2:TGID_X_EN: 1
; COMPUTE_PGM_RSRC2:TGID_Y_EN: 1
; COMPUTE_PGM_RSRC2:TGID_Z_EN: 1
; COMPUTE_PGM_RSRC2:TIDIG_COMP_CNT: 1
	.section	.text._ZL30rocblas_trmm_outofplace_kernelI19rocblas_complex_numIdELi32ELi2ELb0ELb1ELb0ELb0EPKS1_S2_S1_Ev17rocblas_diagonal_iiT6_lPT7_lllS7_lllPT8_llli,"axG",@progbits,_ZL30rocblas_trmm_outofplace_kernelI19rocblas_complex_numIdELi32ELi2ELb0ELb1ELb0ELb0EPKS1_S2_S1_Ev17rocblas_diagonal_iiT6_lPT7_lllS7_lllPT8_llli,comdat
	.globl	_ZL30rocblas_trmm_outofplace_kernelI19rocblas_complex_numIdELi32ELi2ELb0ELb1ELb0ELb0EPKS1_S2_S1_Ev17rocblas_diagonal_iiT6_lPT7_lllS7_lllPT8_llli ; -- Begin function _ZL30rocblas_trmm_outofplace_kernelI19rocblas_complex_numIdELi32ELi2ELb0ELb1ELb0ELb0EPKS1_S2_S1_Ev17rocblas_diagonal_iiT6_lPT7_lllS7_lllPT8_llli
	.p2align	8
	.type	_ZL30rocblas_trmm_outofplace_kernelI19rocblas_complex_numIdELi32ELi2ELb0ELb1ELb0ELb0EPKS1_S2_S1_Ev17rocblas_diagonal_iiT6_lPT7_lllS7_lllPT8_llli,@function
_ZL30rocblas_trmm_outofplace_kernelI19rocblas_complex_numIdELi32ELi2ELb0ELb1ELb0ELb0EPKS1_S2_S1_Ev17rocblas_diagonal_iiT6_lPT7_lllS7_lllPT8_llli: ; @_ZL30rocblas_trmm_outofplace_kernelI19rocblas_complex_numIdELi32ELi2ELb0ELb1ELb0ELb0EPKS1_S2_S1_Ev17rocblas_diagonal_iiT6_lPT7_lllS7_lllPT8_llli
; %bb.0:
	s_load_b32 s33, s[0:1], 0x80
	s_bfe_u32 s2, ttmp6, 0x40014
	s_lshr_b32 s3, ttmp7, 16
	s_add_co_i32 s2, s2, 1
	s_bfe_u32 s5, ttmp6, 0x40008
	s_mul_i32 s4, s3, s2
	s_getreg_b32 s2, hwreg(HW_REG_IB_STS2, 6, 4)
	s_add_co_i32 s5, s5, s4
	s_cmp_eq_u32 s2, 0
	s_mov_b32 s35, 0
	s_cselect_b32 s34, s3, s5
	s_wait_kmcnt 0x0
	s_cmp_ge_u32 s34, s33
	s_cbranch_scc1 .LBB122_67
; %bb.1:
	s_clause 0x3
	s_load_b96 s[36:38], s[0:1], 0x0
	s_load_b512 s[12:27], s[0:1], 0x10
	s_load_b128 s[28:31], s[0:1], 0x70
	s_load_b256 s[4:11], s[0:1], 0x50
	v_and_b32_e32 v26, 0x3ff, v0
	v_mov_b32_e32 v2, 0
	v_bfe_u32 v0, v0, 10, 10
	s_bfe_u32 s39, ttmp6, 0x4000c
	s_and_b32 s3, ttmp6, 15
	s_delay_alu instid0(VALU_DEP_2) | instskip(NEXT) | instid1(VALU_DEP_2)
	v_dual_mov_b32 v27, v2 :: v_dual_lshlrev_b32 v28, 4, v26
	v_dual_mov_b32 v1, v2 :: v_dual_lshlrev_b32 v4, 4, v0
	v_mov_b32_e32 v5, v2
	s_add_co_i32 s39, s39, 1
	s_bfe_u32 s41, ttmp6, 0x40010
	s_mul_i32 s39, ttmp9, s39
	s_and_b32 s40, ttmp7, 0xffff
	v_add_nc_u64_e32 v[4:5], 0x100, v[4:5]
	s_add_co_i32 s41, s41, 1
	s_wait_kmcnt 0x0
	s_add_co_i32 s43, s38, -1
	s_add_co_i32 s3, s3, s39
	s_ashr_i32 s44, s43, 31
	v_mul_u64_e32 v[6:7], s[4:5], v[0:1]
	s_lshr_b32 s39, s44, 27
	v_mul_u64_e32 v[32:33], s[4:5], v[4:5]
	s_bfe_u32 s42, ttmp6, 0x40004
	s_mul_i32 s41, s40, s41
	s_add_co_i32 s43, s43, s39
	s_add_co_i32 s42, s42, s41
	s_lshl_b64 s[10:11], s[10:11], 4
	s_ashr_i32 s39, s43, 5
	s_cmp_eq_u32 s2, 0
	v_or_b32_e32 v83, 0x4000, v28
	s_cselect_b32 s2, ttmp9, s3
	s_cselect_b32 s50, s40, s42
	v_lshl_add_u32 v30, s2, 5, v26
	s_cmp_le_i32 s50, s39
	s_mov_b32 s2, s37
	s_cselect_b32 s51, -1, 0
	s_cmp_eq_u32 s36, 0x84
	v_dual_ashrrev_i32 v31, 31, v30 :: v_dual_lshlrev_b32 v82, 9, v0
	s_cselect_b32 s52, -1, 0
	s_ashr_i32 s3, s37, 31
	s_lshl_b64 s[42:43], s[4:5], 9
	s_lshl_b64 s[4:5], s[26:27], 4
	v_sub_nc_u64_e32 v[8:9], s[2:3], v[30:31]
	s_add_nc_u64 s[4:5], s[24:25], s[4:5]
	v_dual_add_nc_u32 v84, v82, v28 :: v_dual_add_nc_u32 v85, v83, v82
	v_lshl_add_u64 v[4:5], v[30:31], 4, s[4:5]
	v_dual_mov_b32 v3, 0x3ff00000 :: v_dual_add_nc_u32 v34, 16, v30
	s_add_nc_u64 s[44:45], s[0:1], 0x88
	s_delay_alu instid0(VALU_DEP_4)
	v_cmp_gt_i64_e64 s0, 1, v[8:9]
	v_cmp_gt_i64_e64 s1, 17, v[8:9]
	v_sub_nc_u64_e32 v[36:37], 0, v[26:27]
	v_lshlrev_b64_e32 v[38:39], 4, v[6:7]
	v_add_nc_u64_e32 v[40:41], 0x100, v[4:5]
	s_lshl_b64 s[4:5], s[18:19], 4
	v_dual_mov_b32 v29, v2 :: v_dual_add_nc_u32 v86, 0x100, v85
	v_add_nc_u32_e32 v87, 0x2000, v85
	v_add_nc_u32_e32 v88, 0x2100, v85
	v_cmp_gt_i32_e64 s2, s37, v30
	v_cmp_gt_i32_e64 s3, s37, v34
	v_ashrrev_i32_e32 v35, 31, v34
	v_lshl_add_u32 v89, s50, 5, v0
	s_ashr_i32 s41, s38, 31
	s_mov_b32 s40, s38
	s_add_nc_u64 s[4:5], s[16:17], s[4:5]
	s_add_nc_u64 s[10:11], s[8:9], s[10:11]
	s_add_nc_u64 s[46:47], s[40:41], -16
	s_lshl_b64 s[24:25], s[6:7], 4
	s_add_nc_u64 s[16:17], s[4:5], 0x100
	s_lshl_b64 s[18:19], s[22:23], 4
	s_lshl_b64 s[22:23], s[20:21], 4
	s_branch .LBB122_4
.LBB122_2:                              ;   in Loop: Header=BB122_4 Depth=1
	s_add_co_i32 s34, s34, 0x10000
	s_delay_alu instid0(SALU_CYCLE_1)
	s_cmp_ge_u32 s34, s33
	s_cselect_b32 s4, -1, 0
.LBB122_3:                              ;   in Loop: Header=BB122_4 Depth=1
	s_delay_alu instid0(SALU_CYCLE_1)
	s_and_b32 vcc_lo, exec_lo, s4
	s_cbranch_vccnz .LBB122_67
.LBB122_4:                              ; =>This Loop Header: Depth=1
                                        ;     Child Loop BB122_8 Depth 2
                                        ;       Child Loop BB122_11 Depth 3
	s_mul_u64 s[4:5], s[14:15], s[34:35]
	s_delay_alu instid0(SALU_CYCLE_1) | instskip(NEXT) | instid1(SALU_CYCLE_1)
	s_lshl_b64 s[4:5], s[4:5], 4
	s_add_nc_u64 s[4:5], s[12:13], s[4:5]
	global_load_b128 v[6:9], v2, s[4:5]
	s_wait_loadcnt 0x0
	v_cmp_eq_f64_e32 vcc_lo, 0, v[6:7]
	s_wait_xcnt 0x0
	v_cmp_eq_f64_e64 s4, 0, v[8:9]
	s_and_b32 s4, vcc_lo, s4
	s_delay_alu instid0(SALU_CYCLE_1)
	s_and_b32 vcc_lo, exec_lo, s4
	s_mov_b32 s4, -1
	s_cbranch_vccnz .LBB122_3
; %bb.5:                                ;   in Loop: Header=BB122_4 Depth=1
	s_and_not1_b32 vcc_lo, exec_lo, s51
	s_cbranch_vccnz .LBB122_2
; %bb.6:                                ;   in Loop: Header=BB122_4 Depth=1
	s_load_b32 s53, s[44:45], 0x4
	v_mad_nc_u64_u32 v[42:43], s24, s34, v[40:41]
	s_mul_u64 s[6:7], s[30:31], s[34:35]
	v_mov_b32_e32 v44, v89
	s_mul_u64 s[4:5], s[18:19], s[34:35]
	s_lshl_b64 s[6:7], s[6:7], 4
	s_add_nc_u64 s[26:27], s[16:17], s[4:5]
	s_add_nc_u64 s[36:37], s[10:11], s[6:7]
	s_mov_b32 s55, s50
	s_delay_alu instid0(VALU_DEP_2)
	v_mad_u32 v43, s25, s34, v43
	s_wait_kmcnt 0x0
	s_lshl_b32 s54, s53, 5
	s_branch .LBB122_8
.LBB122_7:                              ;   in Loop: Header=BB122_8 Depth=2
	s_wait_xcnt 0x0
	s_or_b32 exec_lo, exec_lo, s4
	v_add_nc_u32_e32 v44, s54, v44
	s_add_co_i32 s55, s53, s55
	s_delay_alu instid0(SALU_CYCLE_1)
	s_cmp_gt_i32 s55, s39
	s_cbranch_scc1 .LBB122_2
.LBB122_8:                              ;   Parent Loop BB122_4 Depth=1
                                        ; =>  This Loop Header: Depth=2
                                        ;       Child Loop BB122_11 Depth 3
	s_lshl_b32 s56, s55, 5
	v_mov_b64_e32 v[62:63], 0
	v_add_nc_u32_e32 v46, s56, v0
	v_mov_b64_e32 v[64:65], 0
	v_mov_b64_e32 v[22:23], 0
	v_mov_b64_e32 v[24:25], 0
	v_mov_b64_e32 v[72:73], 0
	v_mov_b64_e32 v[68:69], 0
	v_mov_b64_e32 v[70:71], 0
	v_mov_b64_e32 v[66:67], 0
	v_ashrrev_i32_e32 v47, 31, v46
	s_cmp_lt_i32 s55, 0
	s_cbranch_scc1 .LBB122_59
; %bb.9:                                ;   in Loop: Header=BB122_8 Depth=2
	v_ashrrev_i32_e32 v45, 31, v44
	v_mad_nc_u64_u32 v[48:49], s22, v44, s[26:27]
	v_add_nc_u64_e32 v[52:53], 16, v[46:47]
	v_mov_b64_e32 v[66:67], 0
	v_mov_b64_e32 v[70:71], 0
	v_lshl_add_u64 v[4:5], v[44:45], 4, 0x100
	v_add_nc_u64_e32 v[54:55], v[36:37], v[44:45]
	v_mov_b64_e32 v[68:69], 0
	v_mov_b64_e32 v[72:73], 0
	;; [unrolled: 1-line block ×3, first 2 shown]
	v_mad_nc_u64_u32 v[50:51], s20, v4, s[26:27]
	v_mov_b64_e32 v[22:23], 0
	v_mad_u32 v10, s23, v44, v49
	v_add_nc_u64_e32 v[56:57], 16, v[54:55]
	v_add_nc_u64_e32 v[58:59], -16, v[54:55]
	v_mov_b64_e32 v[64:65], 0
	v_mov_b64_e32 v[62:63], 0
	v_mov_b64_e32 v[60:61], v[42:43]
	v_cmp_le_i32_e64 s4, s38, v46
	s_mov_b64 s[48:49], 0
	v_cmp_le_i64_e32 vcc_lo, s[40:41], v[52:53]
	v_mad_u32 v4, s21, v4, v51
	v_mad_u32 v49, s22, v45, v10
	s_delay_alu instid0(VALU_DEP_2)
	v_mad_u32 v51, s20, v5, v4
	s_branch .LBB122_11
.LBB122_10:                             ;   in Loop: Header=BB122_11 Depth=3
	s_or_b32 exec_lo, exec_lo, s5
	s_wait_dscnt 0x0
	s_barrier_signal -1
	s_barrier_wait -1
	ds_load_b128 v[74:77], v82
	ds_load_b128 v[18:21], v82 offset:16
	ds_load_b128 v[14:17], v82 offset:32
	;; [unrolled: 1-line block ×3, first 2 shown]
	ds_load_b128 v[90:93], v83
	ds_load_b128 v[94:97], v83 offset:256
	v_add_nc_u64_e32 v[60:61], s[42:43], v[60:61]
	v_add_nc_u64_e32 v[50:51], 0x200, v[50:51]
	;; [unrolled: 1-line block ×3, first 2 shown]
	s_add_nc_u64 s[48:49], s[48:49], 32
	s_delay_alu instid0(SALU_CYCLE_1) | instskip(NEXT) | instid1(SALU_CYCLE_1)
	s_sub_co_i32 s5, s48, 32
	s_cmp_ge_i32 s5, s56
	s_wait_dscnt 0x1
	v_mul_f64_e32 v[4:5], v[76:77], v[92:93]
	v_mul_f64_e32 v[80:81], v[74:75], v[92:93]
	s_delay_alu instid0(VALU_DEP_2) | instskip(NEXT) | instid1(VALU_DEP_2)
	v_fma_f64 v[4:5], v[74:75], v[90:91], -v[4:5]
	v_fmac_f64_e32 v[80:81], v[76:77], v[90:91]
	s_delay_alu instid0(VALU_DEP_2) | instskip(SKIP_3) | instid1(VALU_DEP_4)
	v_add_f64_e32 v[78:79], v[62:63], v[4:5]
	s_wait_dscnt 0x0
	v_mul_f64_e32 v[4:5], v[76:77], v[96:97]
	v_mul_f64_e32 v[62:63], v[74:75], v[96:97]
	v_add_f64_e32 v[80:81], v[80:81], v[64:65]
	s_delay_alu instid0(VALU_DEP_3) | instskip(NEXT) | instid1(VALU_DEP_3)
	v_fma_f64 v[4:5], v[74:75], v[94:95], -v[4:5]
	v_fmac_f64_e32 v[62:63], v[76:77], v[94:95]
	s_delay_alu instid0(VALU_DEP_2) | instskip(NEXT) | instid1(VALU_DEP_2)
	v_add_f64_e32 v[74:75], v[22:23], v[4:5]
	v_add_f64_e32 v[76:77], v[62:63], v[24:25]
	ds_load_b128 v[22:25], v82 offset:8192
	s_wait_dscnt 0x0
	v_mul_f64_e32 v[4:5], v[24:25], v[92:93]
	v_mul_f64_e32 v[62:63], v[22:23], v[92:93]
	s_delay_alu instid0(VALU_DEP_2) | instskip(NEXT) | instid1(VALU_DEP_2)
	v_fma_f64 v[4:5], v[22:23], v[90:91], -v[4:5]
	v_fmac_f64_e32 v[62:63], v[24:25], v[90:91]
	s_delay_alu instid0(VALU_DEP_2) | instskip(SKIP_1) | instid1(VALU_DEP_3)
	v_add_f64_e32 v[64:65], v[72:73], v[4:5]
	v_mul_f64_e32 v[4:5], v[24:25], v[96:97]
	v_add_f64_e32 v[68:69], v[62:63], v[68:69]
	s_delay_alu instid0(VALU_DEP_2) | instskip(SKIP_1) | instid1(VALU_DEP_2)
	v_fma_f64 v[4:5], v[22:23], v[94:95], -v[4:5]
	v_mul_f64_e32 v[22:23], v[22:23], v[96:97]
	v_add_f64_e32 v[4:5], v[70:71], v[4:5]
	s_delay_alu instid0(VALU_DEP_2) | instskip(NEXT) | instid1(VALU_DEP_1)
	v_fmac_f64_e32 v[22:23], v[24:25], v[94:95]
	v_add_f64_e32 v[62:63], v[22:23], v[66:67]
	ds_load_b128 v[22:25], v83 offset:512
	s_wait_dscnt 0x0
	v_mul_f64_e32 v[66:67], v[20:21], v[24:25]
	v_mul_f64_e32 v[70:71], v[18:19], v[24:25]
	s_delay_alu instid0(VALU_DEP_2) | instskip(NEXT) | instid1(VALU_DEP_2)
	v_fma_f64 v[66:67], v[18:19], v[22:23], -v[66:67]
	v_fmac_f64_e32 v[70:71], v[20:21], v[22:23]
	s_delay_alu instid0(VALU_DEP_2) | instskip(NEXT) | instid1(VALU_DEP_2)
	v_add_f64_e32 v[66:67], v[78:79], v[66:67]
	v_add_f64_e32 v[70:71], v[70:71], v[80:81]
	ds_load_b128 v[78:81], v83 offset:768
	s_wait_dscnt 0x0
	v_mul_f64_e32 v[72:73], v[20:21], v[80:81]
	v_mul_f64_e32 v[90:91], v[18:19], v[80:81]
	s_delay_alu instid0(VALU_DEP_2) | instskip(NEXT) | instid1(VALU_DEP_2)
	v_fma_f64 v[72:73], v[18:19], v[78:79], -v[72:73]
	v_fmac_f64_e32 v[90:91], v[20:21], v[78:79]
	s_delay_alu instid0(VALU_DEP_2)
	v_add_f64_e32 v[18:19], v[74:75], v[72:73]
	ds_load_b128 v[72:75], v82 offset:8208
	v_add_f64_e32 v[20:21], v[90:91], v[76:77]
	s_wait_dscnt 0x0
	v_mul_f64_e32 v[76:77], v[74:75], v[24:25]
	v_mul_f64_e32 v[24:25], v[72:73], v[24:25]
	s_delay_alu instid0(VALU_DEP_2) | instskip(NEXT) | instid1(VALU_DEP_2)
	v_fma_f64 v[76:77], v[72:73], v[22:23], -v[76:77]
	v_fmac_f64_e32 v[24:25], v[74:75], v[22:23]
	s_delay_alu instid0(VALU_DEP_2) | instskip(NEXT) | instid1(VALU_DEP_2)
	v_add_f64_e32 v[22:23], v[64:65], v[76:77]
	v_add_f64_e32 v[24:25], v[24:25], v[68:69]
	v_mul_f64_e32 v[64:65], v[74:75], v[80:81]
	v_mul_f64_e32 v[68:69], v[72:73], v[80:81]
	s_delay_alu instid0(VALU_DEP_2) | instskip(NEXT) | instid1(VALU_DEP_2)
	v_fma_f64 v[64:65], v[72:73], v[78:79], -v[64:65]
	v_fmac_f64_e32 v[68:69], v[74:75], v[78:79]
	ds_load_b128 v[72:75], v83 offset:1024
	ds_load_b128 v[76:79], v83 offset:1280
	v_add_f64_e32 v[4:5], v[4:5], v[64:65]
	v_add_f64_e32 v[64:65], v[68:69], v[62:63]
	s_wait_dscnt 0x1
	v_mul_f64_e32 v[62:63], v[16:17], v[74:75]
	v_mul_f64_e32 v[68:69], v[14:15], v[74:75]
	s_delay_alu instid0(VALU_DEP_2) | instskip(NEXT) | instid1(VALU_DEP_2)
	v_fma_f64 v[62:63], v[14:15], v[72:73], -v[62:63]
	v_fmac_f64_e32 v[68:69], v[16:17], v[72:73]
	s_delay_alu instid0(VALU_DEP_2) | instskip(SKIP_2) | instid1(VALU_DEP_3)
	v_add_f64_e32 v[80:81], v[66:67], v[62:63]
	s_wait_dscnt 0x0
	v_mul_f64_e32 v[62:63], v[16:17], v[78:79]
	v_add_f64_e32 v[70:71], v[68:69], v[70:71]
	s_delay_alu instid0(VALU_DEP_2) | instskip(SKIP_1) | instid1(VALU_DEP_2)
	v_fma_f64 v[62:63], v[14:15], v[76:77], -v[62:63]
	v_mul_f64_e32 v[14:15], v[14:15], v[78:79]
	v_add_f64_e32 v[90:91], v[18:19], v[62:63]
	s_delay_alu instid0(VALU_DEP_2) | instskip(NEXT) | instid1(VALU_DEP_1)
	v_fmac_f64_e32 v[14:15], v[16:17], v[76:77]
	v_add_f64_e32 v[92:93], v[14:15], v[20:21]
	ds_load_b128 v[14:17], v82 offset:8224
	s_wait_dscnt 0x0
	v_mul_f64_e32 v[18:19], v[16:17], v[74:75]
	v_mul_f64_e32 v[20:21], v[14:15], v[74:75]
	s_delay_alu instid0(VALU_DEP_2) | instskip(NEXT) | instid1(VALU_DEP_2)
	v_fma_f64 v[18:19], v[14:15], v[72:73], -v[18:19]
	v_fmac_f64_e32 v[20:21], v[16:17], v[72:73]
	s_delay_alu instid0(VALU_DEP_2) | instskip(SKIP_1) | instid1(VALU_DEP_3)
	v_add_f64_e32 v[66:67], v[22:23], v[18:19]
	v_mul_f64_e32 v[18:19], v[16:17], v[78:79]
	v_add_f64_e32 v[68:69], v[20:21], v[24:25]
	s_delay_alu instid0(VALU_DEP_2) | instskip(SKIP_1) | instid1(VALU_DEP_2)
	v_fma_f64 v[18:19], v[14:15], v[76:77], -v[18:19]
	v_mul_f64_e32 v[14:15], v[14:15], v[78:79]
	v_add_f64_e32 v[62:63], v[4:5], v[18:19]
	s_delay_alu instid0(VALU_DEP_2)
	v_fmac_f64_e32 v[14:15], v[16:17], v[76:77]
	ds_load_b128 v[18:21], v83 offset:1536
	s_wait_dscnt 0x0
	v_mul_f64_e32 v[4:5], v[12:13], v[20:21]
	v_add_f64_e32 v[64:65], v[14:15], v[64:65]
	v_mul_f64_e32 v[14:15], v[10:11], v[20:21]
	s_delay_alu instid0(VALU_DEP_3) | instskip(NEXT) | instid1(VALU_DEP_2)
	v_fma_f64 v[4:5], v[10:11], v[18:19], -v[4:5]
	v_fmac_f64_e32 v[14:15], v[12:13], v[18:19]
	s_delay_alu instid0(VALU_DEP_2) | instskip(NEXT) | instid1(VALU_DEP_2)
	v_add_f64_e32 v[22:23], v[80:81], v[4:5]
	v_add_f64_e32 v[24:25], v[14:15], v[70:71]
	ds_load_b128 v[14:17], v83 offset:1792
	ds_load_b128 v[70:73], v82 offset:8240
	s_wait_dscnt 0x1
	v_mul_f64_e32 v[4:5], v[12:13], v[16:17]
	s_delay_alu instid0(VALU_DEP_1) | instskip(SKIP_1) | instid1(VALU_DEP_2)
	v_fma_f64 v[4:5], v[10:11], v[14:15], -v[4:5]
	v_mul_f64_e32 v[10:11], v[10:11], v[16:17]
	v_add_f64_e32 v[4:5], v[90:91], v[4:5]
	s_delay_alu instid0(VALU_DEP_2) | instskip(SKIP_3) | instid1(VALU_DEP_3)
	v_fmac_f64_e32 v[10:11], v[12:13], v[14:15]
	s_wait_dscnt 0x0
	v_mul_f64_e32 v[12:13], v[72:73], v[20:21]
	v_mul_f64_e32 v[20:21], v[70:71], v[20:21]
	v_add_f64_e32 v[10:11], v[10:11], v[92:93]
	s_delay_alu instid0(VALU_DEP_3) | instskip(NEXT) | instid1(VALU_DEP_3)
	v_fma_f64 v[12:13], v[70:71], v[18:19], -v[12:13]
	v_fmac_f64_e32 v[20:21], v[72:73], v[18:19]
	s_delay_alu instid0(VALU_DEP_2) | instskip(NEXT) | instid1(VALU_DEP_2)
	v_add_f64_e32 v[12:13], v[66:67], v[12:13]
	v_add_f64_e32 v[18:19], v[20:21], v[68:69]
	v_mul_f64_e32 v[20:21], v[72:73], v[16:17]
	v_mul_f64_e32 v[16:17], v[70:71], v[16:17]
	s_delay_alu instid0(VALU_DEP_2) | instskip(NEXT) | instid1(VALU_DEP_2)
	v_fma_f64 v[20:21], v[70:71], v[14:15], -v[20:21]
	v_fmac_f64_e32 v[16:17], v[72:73], v[14:15]
	s_delay_alu instid0(VALU_DEP_2) | instskip(NEXT) | instid1(VALU_DEP_2)
	v_add_f64_e32 v[74:75], v[62:63], v[20:21]
	v_add_f64_e32 v[76:77], v[16:17], v[64:65]
	ds_load_b128 v[14:17], v82 offset:64
	ds_load_b128 v[62:65], v83 offset:2048
	;; [unrolled: 1-line block ×3, first 2 shown]
	s_wait_dscnt 0x1
	v_mul_f64_e32 v[20:21], v[16:17], v[64:65]
	v_mul_f64_e32 v[66:67], v[14:15], v[64:65]
	s_delay_alu instid0(VALU_DEP_2) | instskip(NEXT) | instid1(VALU_DEP_2)
	v_fma_f64 v[20:21], v[14:15], v[62:63], -v[20:21]
	v_fmac_f64_e32 v[66:67], v[16:17], v[62:63]
	s_delay_alu instid0(VALU_DEP_2) | instskip(NEXT) | instid1(VALU_DEP_2)
	v_add_f64_e32 v[20:21], v[22:23], v[20:21]
	v_add_f64_e32 v[22:23], v[66:67], v[24:25]
	ds_load_b128 v[66:69], v83 offset:2304
	s_wait_dscnt 0x0
	v_mul_f64_e32 v[24:25], v[16:17], v[68:69]
	s_delay_alu instid0(VALU_DEP_1) | instskip(SKIP_1) | instid1(VALU_DEP_2)
	v_fma_f64 v[24:25], v[14:15], v[66:67], -v[24:25]
	v_mul_f64_e32 v[14:15], v[14:15], v[68:69]
	v_add_f64_e32 v[4:5], v[4:5], v[24:25]
	s_delay_alu instid0(VALU_DEP_2) | instskip(SKIP_1) | instid1(VALU_DEP_2)
	v_fmac_f64_e32 v[14:15], v[16:17], v[66:67]
	v_mul_f64_e32 v[24:25], v[70:71], v[64:65]
	v_add_f64_e32 v[10:11], v[14:15], v[10:11]
	v_mul_f64_e32 v[14:15], v[72:73], v[64:65]
	s_delay_alu instid0(VALU_DEP_3) | instskip(NEXT) | instid1(VALU_DEP_2)
	v_fmac_f64_e32 v[24:25], v[72:73], v[62:63]
	v_fma_f64 v[14:15], v[70:71], v[62:63], -v[14:15]
	s_delay_alu instid0(VALU_DEP_2) | instskip(NEXT) | instid1(VALU_DEP_2)
	v_add_f64_e32 v[18:19], v[24:25], v[18:19]
	v_add_f64_e32 v[16:17], v[12:13], v[14:15]
	v_mul_f64_e32 v[12:13], v[72:73], v[68:69]
	v_mul_f64_e32 v[14:15], v[70:71], v[68:69]
	s_delay_alu instid0(VALU_DEP_2) | instskip(NEXT) | instid1(VALU_DEP_2)
	v_fma_f64 v[12:13], v[70:71], v[66:67], -v[12:13]
	v_fmac_f64_e32 v[14:15], v[72:73], v[66:67]
	ds_load_b128 v[62:65], v82 offset:80
	ds_load_b128 v[66:69], v83 offset:2560
	s_wait_dscnt 0x0
	v_mul_f64_e32 v[70:71], v[62:63], v[68:69]
	v_mul_f64_e32 v[24:25], v[64:65], v[68:69]
	v_add_f64_e32 v[12:13], v[74:75], v[12:13]
	v_add_f64_e32 v[14:15], v[14:15], v[76:77]
	s_delay_alu instid0(VALU_DEP_4) | instskip(NEXT) | instid1(VALU_DEP_4)
	v_fmac_f64_e32 v[70:71], v[64:65], v[66:67]
	v_fma_f64 v[24:25], v[62:63], v[66:67], -v[24:25]
	s_delay_alu instid0(VALU_DEP_2) | instskip(SKIP_4) | instid1(VALU_DEP_1)
	v_add_f64_e32 v[22:23], v[70:71], v[22:23]
	ds_load_b128 v[70:73], v83 offset:2816
	v_add_f64_e32 v[20:21], v[20:21], v[24:25]
	s_wait_dscnt 0x0
	v_mul_f64_e32 v[24:25], v[64:65], v[72:73]
	v_fma_f64 v[24:25], v[62:63], v[70:71], -v[24:25]
	v_mul_f64_e32 v[62:63], v[62:63], v[72:73]
	s_delay_alu instid0(VALU_DEP_2) | instskip(NEXT) | instid1(VALU_DEP_2)
	v_add_f64_e32 v[4:5], v[4:5], v[24:25]
	v_fmac_f64_e32 v[62:63], v[64:65], v[70:71]
	s_delay_alu instid0(VALU_DEP_1) | instskip(SKIP_4) | instid1(VALU_DEP_2)
	v_add_f64_e32 v[10:11], v[62:63], v[10:11]
	ds_load_b128 v[62:65], v82 offset:8272
	s_wait_dscnt 0x0
	v_mul_f64_e32 v[24:25], v[64:65], v[68:69]
	v_mul_f64_e32 v[68:69], v[62:63], v[68:69]
	v_fma_f64 v[24:25], v[62:63], v[66:67], -v[24:25]
	s_delay_alu instid0(VALU_DEP_2) | instskip(NEXT) | instid1(VALU_DEP_2)
	v_fmac_f64_e32 v[68:69], v[64:65], v[66:67]
	v_add_f64_e32 v[16:17], v[16:17], v[24:25]
	v_mul_f64_e32 v[24:25], v[64:65], v[72:73]
	s_delay_alu instid0(VALU_DEP_3) | instskip(NEXT) | instid1(VALU_DEP_2)
	v_add_f64_e32 v[18:19], v[68:69], v[18:19]
	v_fma_f64 v[24:25], v[62:63], v[70:71], -v[24:25]
	v_mul_f64_e32 v[62:63], v[62:63], v[72:73]
	s_delay_alu instid0(VALU_DEP_2) | instskip(NEXT) | instid1(VALU_DEP_2)
	v_add_f64_e32 v[24:25], v[12:13], v[24:25]
	v_fmac_f64_e32 v[62:63], v[64:65], v[70:71]
	s_delay_alu instid0(VALU_DEP_1)
	v_add_f64_e32 v[70:71], v[62:63], v[14:15]
	ds_load_b128 v[12:15], v82 offset:96
	ds_load_b128 v[62:65], v83 offset:3072
	s_wait_dscnt 0x0
	v_mul_f64_e32 v[66:67], v[14:15], v[64:65]
	v_mul_f64_e32 v[68:69], v[12:13], v[64:65]
	s_delay_alu instid0(VALU_DEP_2) | instskip(NEXT) | instid1(VALU_DEP_2)
	v_fma_f64 v[66:67], v[12:13], v[62:63], -v[66:67]
	v_fmac_f64_e32 v[68:69], v[14:15], v[62:63]
	s_delay_alu instid0(VALU_DEP_2) | instskip(NEXT) | instid1(VALU_DEP_2)
	v_add_f64_e32 v[20:21], v[20:21], v[66:67]
	v_add_f64_e32 v[22:23], v[68:69], v[22:23]
	ds_load_b128 v[66:69], v83 offset:3328
	s_wait_dscnt 0x0
	v_mul_f64_e32 v[72:73], v[14:15], v[68:69]
	s_delay_alu instid0(VALU_DEP_1) | instskip(SKIP_1) | instid1(VALU_DEP_2)
	v_fma_f64 v[72:73], v[12:13], v[66:67], -v[72:73]
	v_mul_f64_e32 v[12:13], v[12:13], v[68:69]
	v_add_f64_e32 v[4:5], v[4:5], v[72:73]
	s_delay_alu instid0(VALU_DEP_2) | instskip(NEXT) | instid1(VALU_DEP_1)
	v_fmac_f64_e32 v[12:13], v[14:15], v[66:67]
	v_add_f64_e32 v[74:75], v[12:13], v[10:11]
	ds_load_b128 v[10:13], v82 offset:8288
	s_wait_dscnt 0x0
	v_mul_f64_e32 v[14:15], v[12:13], v[64:65]
	v_mul_f64_e32 v[64:65], v[10:11], v[64:65]
	s_delay_alu instid0(VALU_DEP_2) | instskip(NEXT) | instid1(VALU_DEP_2)
	v_fma_f64 v[14:15], v[10:11], v[62:63], -v[14:15]
	v_fmac_f64_e32 v[64:65], v[12:13], v[62:63]
	s_delay_alu instid0(VALU_DEP_2) | instskip(SKIP_1) | instid1(VALU_DEP_3)
	v_add_f64_e32 v[16:17], v[16:17], v[14:15]
	v_mul_f64_e32 v[14:15], v[12:13], v[68:69]
	v_add_f64_e32 v[18:19], v[64:65], v[18:19]
	s_delay_alu instid0(VALU_DEP_2) | instskip(SKIP_1) | instid1(VALU_DEP_1)
	v_fma_f64 v[14:15], v[10:11], v[66:67], -v[14:15]
	v_mul_f64_e32 v[10:11], v[10:11], v[68:69]
	v_fmac_f64_e32 v[10:11], v[12:13], v[66:67]
	ds_load_b128 v[62:65], v82 offset:112
	ds_load_b128 v[66:69], v83 offset:3584
	v_add_f64_e32 v[12:13], v[24:25], v[14:15]
	s_wait_dscnt 0x0
	v_mul_f64_e32 v[24:25], v[62:63], v[68:69]
	v_add_f64_e32 v[14:15], v[10:11], v[70:71]
	v_mul_f64_e32 v[10:11], v[64:65], v[68:69]
	ds_load_b128 v[70:73], v83 offset:3840
	v_fmac_f64_e32 v[24:25], v[64:65], v[66:67]
	v_fma_f64 v[10:11], v[62:63], v[66:67], -v[10:11]
	s_delay_alu instid0(VALU_DEP_2) | instskip(SKIP_2) | instid1(VALU_DEP_3)
	v_add_f64_e32 v[22:23], v[24:25], v[22:23]
	s_wait_dscnt 0x0
	v_mul_f64_e32 v[24:25], v[62:63], v[72:73]
	v_add_f64_e32 v[20:21], v[20:21], v[10:11]
	v_mul_f64_e32 v[10:11], v[64:65], v[72:73]
	s_delay_alu instid0(VALU_DEP_3) | instskip(NEXT) | instid1(VALU_DEP_2)
	v_fmac_f64_e32 v[24:25], v[64:65], v[70:71]
	v_fma_f64 v[10:11], v[62:63], v[70:71], -v[10:11]
	ds_load_b128 v[62:65], v82 offset:8304
	v_add_f64_e32 v[4:5], v[4:5], v[10:11]
	v_add_f64_e32 v[10:11], v[24:25], v[74:75]
	s_wait_dscnt 0x0
	v_mul_f64_e32 v[24:25], v[64:65], v[68:69]
	v_mul_f64_e32 v[68:69], v[62:63], v[68:69]
	s_delay_alu instid0(VALU_DEP_2) | instskip(NEXT) | instid1(VALU_DEP_2)
	v_fma_f64 v[24:25], v[62:63], v[66:67], -v[24:25]
	v_fmac_f64_e32 v[68:69], v[64:65], v[66:67]
	s_delay_alu instid0(VALU_DEP_2) | instskip(SKIP_1) | instid1(VALU_DEP_3)
	v_add_f64_e32 v[16:17], v[16:17], v[24:25]
	v_mul_f64_e32 v[24:25], v[64:65], v[72:73]
	v_add_f64_e32 v[18:19], v[68:69], v[18:19]
	s_delay_alu instid0(VALU_DEP_2) | instskip(SKIP_1) | instid1(VALU_DEP_2)
	v_fma_f64 v[24:25], v[62:63], v[70:71], -v[24:25]
	v_mul_f64_e32 v[62:63], v[62:63], v[72:73]
	v_add_f64_e32 v[24:25], v[12:13], v[24:25]
	s_delay_alu instid0(VALU_DEP_2) | instskip(NEXT) | instid1(VALU_DEP_1)
	v_fmac_f64_e32 v[62:63], v[64:65], v[70:71]
	v_add_f64_e32 v[70:71], v[62:63], v[14:15]
	ds_load_b128 v[12:15], v82 offset:128
	ds_load_b128 v[62:65], v83 offset:4096
	s_wait_dscnt 0x0
	v_mul_f64_e32 v[66:67], v[14:15], v[64:65]
	v_mul_f64_e32 v[68:69], v[12:13], v[64:65]
	s_delay_alu instid0(VALU_DEP_2) | instskip(NEXT) | instid1(VALU_DEP_2)
	v_fma_f64 v[66:67], v[12:13], v[62:63], -v[66:67]
	v_fmac_f64_e32 v[68:69], v[14:15], v[62:63]
	s_delay_alu instid0(VALU_DEP_2) | instskip(NEXT) | instid1(VALU_DEP_2)
	v_add_f64_e32 v[20:21], v[20:21], v[66:67]
	v_add_f64_e32 v[22:23], v[68:69], v[22:23]
	ds_load_b128 v[66:69], v83 offset:4352
	s_wait_dscnt 0x0
	v_mul_f64_e32 v[72:73], v[14:15], v[68:69]
	s_delay_alu instid0(VALU_DEP_1) | instskip(SKIP_1) | instid1(VALU_DEP_2)
	v_fma_f64 v[72:73], v[12:13], v[66:67], -v[72:73]
	v_mul_f64_e32 v[12:13], v[12:13], v[68:69]
	v_add_f64_e32 v[4:5], v[4:5], v[72:73]
	s_delay_alu instid0(VALU_DEP_2) | instskip(NEXT) | instid1(VALU_DEP_1)
	v_fmac_f64_e32 v[12:13], v[14:15], v[66:67]
	v_add_f64_e32 v[74:75], v[12:13], v[10:11]
	ds_load_b128 v[10:13], v82 offset:8320
	s_wait_dscnt 0x0
	v_mul_f64_e32 v[14:15], v[12:13], v[64:65]
	v_mul_f64_e32 v[64:65], v[10:11], v[64:65]
	s_delay_alu instid0(VALU_DEP_2) | instskip(NEXT) | instid1(VALU_DEP_2)
	v_fma_f64 v[14:15], v[10:11], v[62:63], -v[14:15]
	v_fmac_f64_e32 v[64:65], v[12:13], v[62:63]
	s_delay_alu instid0(VALU_DEP_2) | instskip(SKIP_1) | instid1(VALU_DEP_3)
	v_add_f64_e32 v[16:17], v[16:17], v[14:15]
	v_mul_f64_e32 v[14:15], v[12:13], v[68:69]
	v_add_f64_e32 v[18:19], v[64:65], v[18:19]
	s_delay_alu instid0(VALU_DEP_2) | instskip(SKIP_1) | instid1(VALU_DEP_1)
	v_fma_f64 v[14:15], v[10:11], v[66:67], -v[14:15]
	v_mul_f64_e32 v[10:11], v[10:11], v[68:69]
	v_fmac_f64_e32 v[10:11], v[12:13], v[66:67]
	ds_load_b128 v[62:65], v82 offset:144
	ds_load_b128 v[66:69], v83 offset:4608
	v_add_f64_e32 v[12:13], v[24:25], v[14:15]
	s_wait_dscnt 0x0
	v_mul_f64_e32 v[24:25], v[62:63], v[68:69]
	v_add_f64_e32 v[14:15], v[10:11], v[70:71]
	v_mul_f64_e32 v[10:11], v[64:65], v[68:69]
	ds_load_b128 v[70:73], v83 offset:4864
	v_fmac_f64_e32 v[24:25], v[64:65], v[66:67]
	v_fma_f64 v[10:11], v[62:63], v[66:67], -v[10:11]
	s_delay_alu instid0(VALU_DEP_2) | instskip(SKIP_2) | instid1(VALU_DEP_3)
	v_add_f64_e32 v[22:23], v[24:25], v[22:23]
	s_wait_dscnt 0x0
	v_mul_f64_e32 v[24:25], v[62:63], v[72:73]
	v_add_f64_e32 v[20:21], v[20:21], v[10:11]
	v_mul_f64_e32 v[10:11], v[64:65], v[72:73]
	s_delay_alu instid0(VALU_DEP_3) | instskip(NEXT) | instid1(VALU_DEP_2)
	v_fmac_f64_e32 v[24:25], v[64:65], v[70:71]
	v_fma_f64 v[10:11], v[62:63], v[70:71], -v[10:11]
	ds_load_b128 v[62:65], v82 offset:8336
	v_add_f64_e32 v[4:5], v[4:5], v[10:11]
	v_add_f64_e32 v[10:11], v[24:25], v[74:75]
	s_wait_dscnt 0x0
	v_mul_f64_e32 v[24:25], v[64:65], v[68:69]
	v_mul_f64_e32 v[68:69], v[62:63], v[68:69]
	s_delay_alu instid0(VALU_DEP_2) | instskip(NEXT) | instid1(VALU_DEP_2)
	v_fma_f64 v[24:25], v[62:63], v[66:67], -v[24:25]
	v_fmac_f64_e32 v[68:69], v[64:65], v[66:67]
	s_delay_alu instid0(VALU_DEP_2) | instskip(SKIP_1) | instid1(VALU_DEP_3)
	v_add_f64_e32 v[16:17], v[16:17], v[24:25]
	v_mul_f64_e32 v[24:25], v[64:65], v[72:73]
	v_add_f64_e32 v[18:19], v[68:69], v[18:19]
	s_delay_alu instid0(VALU_DEP_2) | instskip(SKIP_1) | instid1(VALU_DEP_2)
	v_fma_f64 v[24:25], v[62:63], v[70:71], -v[24:25]
	v_mul_f64_e32 v[62:63], v[62:63], v[72:73]
	v_add_f64_e32 v[24:25], v[12:13], v[24:25]
	s_delay_alu instid0(VALU_DEP_2) | instskip(NEXT) | instid1(VALU_DEP_1)
	v_fmac_f64_e32 v[62:63], v[64:65], v[70:71]
	v_add_f64_e32 v[70:71], v[62:63], v[14:15]
	ds_load_b128 v[12:15], v82 offset:160
	ds_load_b128 v[62:65], v83 offset:5120
	s_wait_dscnt 0x0
	v_mul_f64_e32 v[66:67], v[14:15], v[64:65]
	v_mul_f64_e32 v[68:69], v[12:13], v[64:65]
	s_delay_alu instid0(VALU_DEP_2) | instskip(NEXT) | instid1(VALU_DEP_2)
	v_fma_f64 v[66:67], v[12:13], v[62:63], -v[66:67]
	v_fmac_f64_e32 v[68:69], v[14:15], v[62:63]
	s_delay_alu instid0(VALU_DEP_2) | instskip(NEXT) | instid1(VALU_DEP_2)
	v_add_f64_e32 v[20:21], v[20:21], v[66:67]
	v_add_f64_e32 v[22:23], v[68:69], v[22:23]
	ds_load_b128 v[66:69], v83 offset:5376
	s_wait_dscnt 0x0
	v_mul_f64_e32 v[72:73], v[14:15], v[68:69]
	s_delay_alu instid0(VALU_DEP_1) | instskip(SKIP_1) | instid1(VALU_DEP_2)
	v_fma_f64 v[72:73], v[12:13], v[66:67], -v[72:73]
	v_mul_f64_e32 v[12:13], v[12:13], v[68:69]
	v_add_f64_e32 v[4:5], v[4:5], v[72:73]
	s_delay_alu instid0(VALU_DEP_2) | instskip(NEXT) | instid1(VALU_DEP_1)
	v_fmac_f64_e32 v[12:13], v[14:15], v[66:67]
	v_add_f64_e32 v[74:75], v[12:13], v[10:11]
	ds_load_b128 v[10:13], v82 offset:8352
	s_wait_dscnt 0x0
	v_mul_f64_e32 v[14:15], v[12:13], v[64:65]
	v_mul_f64_e32 v[64:65], v[10:11], v[64:65]
	s_delay_alu instid0(VALU_DEP_2) | instskip(NEXT) | instid1(VALU_DEP_2)
	v_fma_f64 v[14:15], v[10:11], v[62:63], -v[14:15]
	v_fmac_f64_e32 v[64:65], v[12:13], v[62:63]
	s_delay_alu instid0(VALU_DEP_2) | instskip(SKIP_1) | instid1(VALU_DEP_3)
	v_add_f64_e32 v[16:17], v[16:17], v[14:15]
	v_mul_f64_e32 v[14:15], v[12:13], v[68:69]
	v_add_f64_e32 v[18:19], v[64:65], v[18:19]
	s_delay_alu instid0(VALU_DEP_2) | instskip(SKIP_1) | instid1(VALU_DEP_1)
	v_fma_f64 v[14:15], v[10:11], v[66:67], -v[14:15]
	v_mul_f64_e32 v[10:11], v[10:11], v[68:69]
	v_fmac_f64_e32 v[10:11], v[12:13], v[66:67]
	ds_load_b128 v[62:65], v82 offset:176
	ds_load_b128 v[66:69], v83 offset:5632
	v_add_f64_e32 v[12:13], v[24:25], v[14:15]
	s_wait_dscnt 0x0
	v_mul_f64_e32 v[24:25], v[62:63], v[68:69]
	v_add_f64_e32 v[14:15], v[10:11], v[70:71]
	v_mul_f64_e32 v[10:11], v[64:65], v[68:69]
	ds_load_b128 v[70:73], v83 offset:5888
	v_fmac_f64_e32 v[24:25], v[64:65], v[66:67]
	v_fma_f64 v[10:11], v[62:63], v[66:67], -v[10:11]
	s_delay_alu instid0(VALU_DEP_2) | instskip(SKIP_2) | instid1(VALU_DEP_3)
	v_add_f64_e32 v[22:23], v[24:25], v[22:23]
	s_wait_dscnt 0x0
	v_mul_f64_e32 v[24:25], v[62:63], v[72:73]
	v_add_f64_e32 v[20:21], v[20:21], v[10:11]
	v_mul_f64_e32 v[10:11], v[64:65], v[72:73]
	s_delay_alu instid0(VALU_DEP_3) | instskip(NEXT) | instid1(VALU_DEP_2)
	v_fmac_f64_e32 v[24:25], v[64:65], v[70:71]
	v_fma_f64 v[10:11], v[62:63], v[70:71], -v[10:11]
	ds_load_b128 v[62:65], v82 offset:8368
	v_add_f64_e32 v[4:5], v[4:5], v[10:11]
	v_add_f64_e32 v[10:11], v[24:25], v[74:75]
	s_wait_dscnt 0x0
	v_mul_f64_e32 v[24:25], v[64:65], v[68:69]
	v_mul_f64_e32 v[68:69], v[62:63], v[68:69]
	s_delay_alu instid0(VALU_DEP_2) | instskip(NEXT) | instid1(VALU_DEP_2)
	v_fma_f64 v[24:25], v[62:63], v[66:67], -v[24:25]
	v_fmac_f64_e32 v[68:69], v[64:65], v[66:67]
	s_delay_alu instid0(VALU_DEP_2) | instskip(SKIP_1) | instid1(VALU_DEP_3)
	v_add_f64_e32 v[16:17], v[16:17], v[24:25]
	v_mul_f64_e32 v[24:25], v[64:65], v[72:73]
	v_add_f64_e32 v[18:19], v[68:69], v[18:19]
	s_delay_alu instid0(VALU_DEP_2) | instskip(SKIP_1) | instid1(VALU_DEP_2)
	v_fma_f64 v[24:25], v[62:63], v[70:71], -v[24:25]
	v_mul_f64_e32 v[62:63], v[62:63], v[72:73]
	v_add_f64_e32 v[24:25], v[12:13], v[24:25]
	s_delay_alu instid0(VALU_DEP_2) | instskip(NEXT) | instid1(VALU_DEP_1)
	v_fmac_f64_e32 v[62:63], v[64:65], v[70:71]
	v_add_f64_e32 v[70:71], v[62:63], v[14:15]
	ds_load_b128 v[12:15], v82 offset:192
	ds_load_b128 v[62:65], v83 offset:6144
	s_wait_dscnt 0x0
	v_mul_f64_e32 v[66:67], v[14:15], v[64:65]
	v_mul_f64_e32 v[68:69], v[12:13], v[64:65]
	s_delay_alu instid0(VALU_DEP_2) | instskip(NEXT) | instid1(VALU_DEP_2)
	v_fma_f64 v[66:67], v[12:13], v[62:63], -v[66:67]
	v_fmac_f64_e32 v[68:69], v[14:15], v[62:63]
	s_delay_alu instid0(VALU_DEP_2) | instskip(NEXT) | instid1(VALU_DEP_2)
	v_add_f64_e32 v[20:21], v[20:21], v[66:67]
	v_add_f64_e32 v[22:23], v[68:69], v[22:23]
	ds_load_b128 v[66:69], v83 offset:6400
	s_wait_dscnt 0x0
	v_mul_f64_e32 v[72:73], v[14:15], v[68:69]
	s_delay_alu instid0(VALU_DEP_1) | instskip(SKIP_1) | instid1(VALU_DEP_2)
	v_fma_f64 v[72:73], v[12:13], v[66:67], -v[72:73]
	v_mul_f64_e32 v[12:13], v[12:13], v[68:69]
	v_add_f64_e32 v[4:5], v[4:5], v[72:73]
	s_delay_alu instid0(VALU_DEP_2) | instskip(NEXT) | instid1(VALU_DEP_1)
	v_fmac_f64_e32 v[12:13], v[14:15], v[66:67]
	v_add_f64_e32 v[74:75], v[12:13], v[10:11]
	ds_load_b128 v[10:13], v82 offset:8384
	s_wait_dscnt 0x0
	v_mul_f64_e32 v[14:15], v[12:13], v[64:65]
	v_mul_f64_e32 v[64:65], v[10:11], v[64:65]
	s_delay_alu instid0(VALU_DEP_2) | instskip(NEXT) | instid1(VALU_DEP_2)
	v_fma_f64 v[14:15], v[10:11], v[62:63], -v[14:15]
	v_fmac_f64_e32 v[64:65], v[12:13], v[62:63]
	s_delay_alu instid0(VALU_DEP_2) | instskip(SKIP_1) | instid1(VALU_DEP_3)
	v_add_f64_e32 v[16:17], v[16:17], v[14:15]
	v_mul_f64_e32 v[14:15], v[12:13], v[68:69]
	v_add_f64_e32 v[18:19], v[64:65], v[18:19]
	s_delay_alu instid0(VALU_DEP_2) | instskip(SKIP_1) | instid1(VALU_DEP_1)
	v_fma_f64 v[14:15], v[10:11], v[66:67], -v[14:15]
	v_mul_f64_e32 v[10:11], v[10:11], v[68:69]
	v_fmac_f64_e32 v[10:11], v[12:13], v[66:67]
	ds_load_b128 v[62:65], v82 offset:208
	ds_load_b128 v[66:69], v83 offset:6656
	v_add_f64_e32 v[12:13], v[24:25], v[14:15]
	s_wait_dscnt 0x0
	v_mul_f64_e32 v[24:25], v[62:63], v[68:69]
	v_add_f64_e32 v[14:15], v[10:11], v[70:71]
	v_mul_f64_e32 v[10:11], v[64:65], v[68:69]
	ds_load_b128 v[70:73], v83 offset:6912
	v_fmac_f64_e32 v[24:25], v[64:65], v[66:67]
	v_fma_f64 v[10:11], v[62:63], v[66:67], -v[10:11]
	s_delay_alu instid0(VALU_DEP_2) | instskip(SKIP_2) | instid1(VALU_DEP_3)
	v_add_f64_e32 v[22:23], v[24:25], v[22:23]
	s_wait_dscnt 0x0
	v_mul_f64_e32 v[24:25], v[62:63], v[72:73]
	v_add_f64_e32 v[20:21], v[20:21], v[10:11]
	v_mul_f64_e32 v[10:11], v[64:65], v[72:73]
	s_delay_alu instid0(VALU_DEP_3) | instskip(NEXT) | instid1(VALU_DEP_2)
	v_fmac_f64_e32 v[24:25], v[64:65], v[70:71]
	v_fma_f64 v[10:11], v[62:63], v[70:71], -v[10:11]
	ds_load_b128 v[62:65], v82 offset:8400
	v_add_f64_e32 v[4:5], v[4:5], v[10:11]
	v_add_f64_e32 v[10:11], v[24:25], v[74:75]
	s_wait_dscnt 0x0
	v_mul_f64_e32 v[24:25], v[64:65], v[68:69]
	v_mul_f64_e32 v[68:69], v[62:63], v[68:69]
	s_delay_alu instid0(VALU_DEP_2) | instskip(NEXT) | instid1(VALU_DEP_2)
	v_fma_f64 v[24:25], v[62:63], v[66:67], -v[24:25]
	v_fmac_f64_e32 v[68:69], v[64:65], v[66:67]
	s_delay_alu instid0(VALU_DEP_2) | instskip(SKIP_1) | instid1(VALU_DEP_3)
	v_add_f64_e32 v[16:17], v[16:17], v[24:25]
	v_mul_f64_e32 v[24:25], v[64:65], v[72:73]
	v_add_f64_e32 v[18:19], v[68:69], v[18:19]
	s_delay_alu instid0(VALU_DEP_2) | instskip(SKIP_1) | instid1(VALU_DEP_2)
	v_fma_f64 v[24:25], v[62:63], v[70:71], -v[24:25]
	v_mul_f64_e32 v[62:63], v[62:63], v[72:73]
	v_add_f64_e32 v[24:25], v[12:13], v[24:25]
	s_delay_alu instid0(VALU_DEP_2) | instskip(NEXT) | instid1(VALU_DEP_1)
	v_fmac_f64_e32 v[62:63], v[64:65], v[70:71]
	v_add_f64_e32 v[70:71], v[62:63], v[14:15]
	ds_load_b128 v[12:15], v82 offset:224
	ds_load_b128 v[62:65], v83 offset:7168
	s_wait_dscnt 0x0
	v_mul_f64_e32 v[66:67], v[14:15], v[64:65]
	v_mul_f64_e32 v[68:69], v[12:13], v[64:65]
	s_delay_alu instid0(VALU_DEP_2) | instskip(NEXT) | instid1(VALU_DEP_2)
	v_fma_f64 v[66:67], v[12:13], v[62:63], -v[66:67]
	v_fmac_f64_e32 v[68:69], v[14:15], v[62:63]
	s_delay_alu instid0(VALU_DEP_2) | instskip(NEXT) | instid1(VALU_DEP_2)
	v_add_f64_e32 v[20:21], v[20:21], v[66:67]
	v_add_f64_e32 v[22:23], v[68:69], v[22:23]
	ds_load_b128 v[66:69], v83 offset:7424
	s_wait_dscnt 0x0
	v_mul_f64_e32 v[72:73], v[14:15], v[68:69]
	s_delay_alu instid0(VALU_DEP_1) | instskip(SKIP_1) | instid1(VALU_DEP_2)
	v_fma_f64 v[72:73], v[12:13], v[66:67], -v[72:73]
	v_mul_f64_e32 v[12:13], v[12:13], v[68:69]
	v_add_f64_e32 v[4:5], v[4:5], v[72:73]
	s_delay_alu instid0(VALU_DEP_2) | instskip(NEXT) | instid1(VALU_DEP_1)
	v_fmac_f64_e32 v[12:13], v[14:15], v[66:67]
	v_add_f64_e32 v[74:75], v[12:13], v[10:11]
	ds_load_b128 v[10:13], v82 offset:8416
	s_wait_dscnt 0x0
	v_mul_f64_e32 v[14:15], v[12:13], v[64:65]
	v_mul_f64_e32 v[64:65], v[10:11], v[64:65]
	s_delay_alu instid0(VALU_DEP_2) | instskip(NEXT) | instid1(VALU_DEP_2)
	v_fma_f64 v[14:15], v[10:11], v[62:63], -v[14:15]
	v_fmac_f64_e32 v[64:65], v[12:13], v[62:63]
	s_delay_alu instid0(VALU_DEP_2) | instskip(SKIP_1) | instid1(VALU_DEP_3)
	v_add_f64_e32 v[16:17], v[16:17], v[14:15]
	v_mul_f64_e32 v[14:15], v[12:13], v[68:69]
	v_add_f64_e32 v[18:19], v[64:65], v[18:19]
	s_delay_alu instid0(VALU_DEP_2) | instskip(SKIP_1) | instid1(VALU_DEP_1)
	v_fma_f64 v[14:15], v[10:11], v[66:67], -v[14:15]
	v_mul_f64_e32 v[10:11], v[10:11], v[68:69]
	v_fmac_f64_e32 v[10:11], v[12:13], v[66:67]
	ds_load_b128 v[62:65], v82 offset:240
	ds_load_b128 v[66:69], v83 offset:7680
	v_add_f64_e32 v[12:13], v[24:25], v[14:15]
	s_wait_dscnt 0x0
	v_mul_f64_e32 v[24:25], v[62:63], v[68:69]
	v_add_f64_e32 v[14:15], v[10:11], v[70:71]
	v_mul_f64_e32 v[10:11], v[64:65], v[68:69]
	ds_load_b128 v[70:73], v83 offset:7936
	v_fmac_f64_e32 v[24:25], v[64:65], v[66:67]
	v_fma_f64 v[10:11], v[62:63], v[66:67], -v[10:11]
	s_delay_alu instid0(VALU_DEP_2) | instskip(SKIP_2) | instid1(VALU_DEP_3)
	v_add_f64_e32 v[22:23], v[24:25], v[22:23]
	s_wait_dscnt 0x0
	v_mul_f64_e32 v[24:25], v[62:63], v[72:73]
	v_add_f64_e32 v[20:21], v[20:21], v[10:11]
	v_mul_f64_e32 v[10:11], v[64:65], v[72:73]
	s_delay_alu instid0(VALU_DEP_3) | instskip(NEXT) | instid1(VALU_DEP_2)
	v_fmac_f64_e32 v[24:25], v[64:65], v[70:71]
	v_fma_f64 v[10:11], v[62:63], v[70:71], -v[10:11]
	ds_load_b128 v[62:65], v82 offset:8432
	v_add_f64_e32 v[4:5], v[4:5], v[10:11]
	v_add_f64_e32 v[10:11], v[24:25], v[74:75]
	s_wait_dscnt 0x0
	v_mul_f64_e32 v[24:25], v[64:65], v[68:69]
	v_mul_f64_e32 v[68:69], v[62:63], v[68:69]
	s_delay_alu instid0(VALU_DEP_2) | instskip(NEXT) | instid1(VALU_DEP_2)
	v_fma_f64 v[24:25], v[62:63], v[66:67], -v[24:25]
	v_fmac_f64_e32 v[68:69], v[64:65], v[66:67]
	s_delay_alu instid0(VALU_DEP_2) | instskip(SKIP_1) | instid1(VALU_DEP_3)
	v_add_f64_e32 v[16:17], v[16:17], v[24:25]
	v_mul_f64_e32 v[24:25], v[64:65], v[72:73]
	v_add_f64_e32 v[18:19], v[68:69], v[18:19]
	s_delay_alu instid0(VALU_DEP_2) | instskip(SKIP_1) | instid1(VALU_DEP_2)
	v_fma_f64 v[24:25], v[62:63], v[70:71], -v[24:25]
	v_mul_f64_e32 v[62:63], v[62:63], v[72:73]
	v_add_f64_e32 v[24:25], v[12:13], v[24:25]
	s_delay_alu instid0(VALU_DEP_2) | instskip(NEXT) | instid1(VALU_DEP_1)
	v_fmac_f64_e32 v[62:63], v[64:65], v[70:71]
	v_add_f64_e32 v[70:71], v[62:63], v[14:15]
	ds_load_b128 v[12:15], v82 offset:256
	ds_load_b128 v[62:65], v83 offset:8192
	s_wait_dscnt 0x0
	v_mul_f64_e32 v[66:67], v[14:15], v[64:65]
	v_mul_f64_e32 v[68:69], v[12:13], v[64:65]
	s_delay_alu instid0(VALU_DEP_2) | instskip(NEXT) | instid1(VALU_DEP_2)
	v_fma_f64 v[66:67], v[12:13], v[62:63], -v[66:67]
	v_fmac_f64_e32 v[68:69], v[14:15], v[62:63]
	s_delay_alu instid0(VALU_DEP_2) | instskip(NEXT) | instid1(VALU_DEP_2)
	v_add_f64_e32 v[20:21], v[20:21], v[66:67]
	v_add_f64_e32 v[22:23], v[68:69], v[22:23]
	ds_load_b128 v[66:69], v83 offset:8448
	s_wait_dscnt 0x0
	v_mul_f64_e32 v[72:73], v[14:15], v[68:69]
	s_delay_alu instid0(VALU_DEP_1) | instskip(SKIP_1) | instid1(VALU_DEP_2)
	v_fma_f64 v[72:73], v[12:13], v[66:67], -v[72:73]
	v_mul_f64_e32 v[12:13], v[12:13], v[68:69]
	v_add_f64_e32 v[4:5], v[4:5], v[72:73]
	s_delay_alu instid0(VALU_DEP_2) | instskip(NEXT) | instid1(VALU_DEP_1)
	v_fmac_f64_e32 v[12:13], v[14:15], v[66:67]
	v_add_f64_e32 v[74:75], v[12:13], v[10:11]
	ds_load_b128 v[10:13], v82 offset:8448
	s_wait_dscnt 0x0
	v_mul_f64_e32 v[14:15], v[12:13], v[64:65]
	v_mul_f64_e32 v[64:65], v[10:11], v[64:65]
	s_delay_alu instid0(VALU_DEP_2) | instskip(NEXT) | instid1(VALU_DEP_2)
	v_fma_f64 v[14:15], v[10:11], v[62:63], -v[14:15]
	v_fmac_f64_e32 v[64:65], v[12:13], v[62:63]
	s_delay_alu instid0(VALU_DEP_2) | instskip(SKIP_1) | instid1(VALU_DEP_3)
	v_add_f64_e32 v[16:17], v[16:17], v[14:15]
	v_mul_f64_e32 v[14:15], v[12:13], v[68:69]
	v_add_f64_e32 v[18:19], v[64:65], v[18:19]
	s_delay_alu instid0(VALU_DEP_2) | instskip(SKIP_1) | instid1(VALU_DEP_1)
	v_fma_f64 v[14:15], v[10:11], v[66:67], -v[14:15]
	v_mul_f64_e32 v[10:11], v[10:11], v[68:69]
	v_fmac_f64_e32 v[10:11], v[12:13], v[66:67]
	ds_load_b128 v[62:65], v82 offset:272
	ds_load_b128 v[66:69], v83 offset:8704
	v_add_f64_e32 v[12:13], v[24:25], v[14:15]
	s_wait_dscnt 0x0
	v_mul_f64_e32 v[24:25], v[62:63], v[68:69]
	v_add_f64_e32 v[14:15], v[10:11], v[70:71]
	v_mul_f64_e32 v[10:11], v[64:65], v[68:69]
	ds_load_b128 v[70:73], v83 offset:8960
	v_fmac_f64_e32 v[24:25], v[64:65], v[66:67]
	v_fma_f64 v[10:11], v[62:63], v[66:67], -v[10:11]
	s_delay_alu instid0(VALU_DEP_2) | instskip(SKIP_2) | instid1(VALU_DEP_3)
	v_add_f64_e32 v[22:23], v[24:25], v[22:23]
	s_wait_dscnt 0x0
	v_mul_f64_e32 v[24:25], v[62:63], v[72:73]
	v_add_f64_e32 v[20:21], v[20:21], v[10:11]
	v_mul_f64_e32 v[10:11], v[64:65], v[72:73]
	s_delay_alu instid0(VALU_DEP_3) | instskip(NEXT) | instid1(VALU_DEP_2)
	v_fmac_f64_e32 v[24:25], v[64:65], v[70:71]
	v_fma_f64 v[10:11], v[62:63], v[70:71], -v[10:11]
	ds_load_b128 v[62:65], v82 offset:8464
	v_add_f64_e32 v[4:5], v[4:5], v[10:11]
	v_add_f64_e32 v[10:11], v[24:25], v[74:75]
	s_wait_dscnt 0x0
	v_mul_f64_e32 v[24:25], v[64:65], v[68:69]
	v_mul_f64_e32 v[68:69], v[62:63], v[68:69]
	s_delay_alu instid0(VALU_DEP_2) | instskip(NEXT) | instid1(VALU_DEP_2)
	v_fma_f64 v[24:25], v[62:63], v[66:67], -v[24:25]
	v_fmac_f64_e32 v[68:69], v[64:65], v[66:67]
	s_delay_alu instid0(VALU_DEP_2) | instskip(SKIP_1) | instid1(VALU_DEP_3)
	v_add_f64_e32 v[16:17], v[16:17], v[24:25]
	v_mul_f64_e32 v[24:25], v[64:65], v[72:73]
	v_add_f64_e32 v[18:19], v[68:69], v[18:19]
	s_delay_alu instid0(VALU_DEP_2) | instskip(SKIP_1) | instid1(VALU_DEP_2)
	v_fma_f64 v[24:25], v[62:63], v[70:71], -v[24:25]
	v_mul_f64_e32 v[62:63], v[62:63], v[72:73]
	v_add_f64_e32 v[24:25], v[12:13], v[24:25]
	s_delay_alu instid0(VALU_DEP_2) | instskip(NEXT) | instid1(VALU_DEP_1)
	v_fmac_f64_e32 v[62:63], v[64:65], v[70:71]
	v_add_f64_e32 v[70:71], v[62:63], v[14:15]
	ds_load_b128 v[12:15], v82 offset:288
	ds_load_b128 v[62:65], v83 offset:9216
	s_wait_dscnt 0x0
	v_mul_f64_e32 v[66:67], v[14:15], v[64:65]
	v_mul_f64_e32 v[68:69], v[12:13], v[64:65]
	s_delay_alu instid0(VALU_DEP_2) | instskip(NEXT) | instid1(VALU_DEP_2)
	v_fma_f64 v[66:67], v[12:13], v[62:63], -v[66:67]
	v_fmac_f64_e32 v[68:69], v[14:15], v[62:63]
	s_delay_alu instid0(VALU_DEP_2) | instskip(NEXT) | instid1(VALU_DEP_2)
	v_add_f64_e32 v[20:21], v[20:21], v[66:67]
	v_add_f64_e32 v[22:23], v[68:69], v[22:23]
	ds_load_b128 v[66:69], v83 offset:9472
	s_wait_dscnt 0x0
	v_mul_f64_e32 v[72:73], v[14:15], v[68:69]
	s_delay_alu instid0(VALU_DEP_1) | instskip(SKIP_1) | instid1(VALU_DEP_2)
	v_fma_f64 v[72:73], v[12:13], v[66:67], -v[72:73]
	v_mul_f64_e32 v[12:13], v[12:13], v[68:69]
	v_add_f64_e32 v[4:5], v[4:5], v[72:73]
	s_delay_alu instid0(VALU_DEP_2) | instskip(NEXT) | instid1(VALU_DEP_1)
	v_fmac_f64_e32 v[12:13], v[14:15], v[66:67]
	v_add_f64_e32 v[74:75], v[12:13], v[10:11]
	ds_load_b128 v[10:13], v82 offset:8480
	s_wait_dscnt 0x0
	v_mul_f64_e32 v[14:15], v[12:13], v[64:65]
	v_mul_f64_e32 v[64:65], v[10:11], v[64:65]
	s_delay_alu instid0(VALU_DEP_2) | instskip(NEXT) | instid1(VALU_DEP_2)
	v_fma_f64 v[14:15], v[10:11], v[62:63], -v[14:15]
	v_fmac_f64_e32 v[64:65], v[12:13], v[62:63]
	s_delay_alu instid0(VALU_DEP_2) | instskip(SKIP_1) | instid1(VALU_DEP_3)
	v_add_f64_e32 v[16:17], v[16:17], v[14:15]
	v_mul_f64_e32 v[14:15], v[12:13], v[68:69]
	v_add_f64_e32 v[18:19], v[64:65], v[18:19]
	s_delay_alu instid0(VALU_DEP_2) | instskip(SKIP_1) | instid1(VALU_DEP_1)
	v_fma_f64 v[14:15], v[10:11], v[66:67], -v[14:15]
	v_mul_f64_e32 v[10:11], v[10:11], v[68:69]
	v_fmac_f64_e32 v[10:11], v[12:13], v[66:67]
	ds_load_b128 v[62:65], v82 offset:304
	ds_load_b128 v[66:69], v83 offset:9728
	v_add_f64_e32 v[12:13], v[24:25], v[14:15]
	s_wait_dscnt 0x0
	v_mul_f64_e32 v[24:25], v[62:63], v[68:69]
	v_add_f64_e32 v[14:15], v[10:11], v[70:71]
	v_mul_f64_e32 v[10:11], v[64:65], v[68:69]
	ds_load_b128 v[70:73], v83 offset:9984
	v_fmac_f64_e32 v[24:25], v[64:65], v[66:67]
	v_fma_f64 v[10:11], v[62:63], v[66:67], -v[10:11]
	s_delay_alu instid0(VALU_DEP_2) | instskip(SKIP_2) | instid1(VALU_DEP_3)
	v_add_f64_e32 v[22:23], v[24:25], v[22:23]
	s_wait_dscnt 0x0
	v_mul_f64_e32 v[24:25], v[62:63], v[72:73]
	v_add_f64_e32 v[20:21], v[20:21], v[10:11]
	v_mul_f64_e32 v[10:11], v[64:65], v[72:73]
	s_delay_alu instid0(VALU_DEP_3) | instskip(NEXT) | instid1(VALU_DEP_2)
	v_fmac_f64_e32 v[24:25], v[64:65], v[70:71]
	v_fma_f64 v[10:11], v[62:63], v[70:71], -v[10:11]
	ds_load_b128 v[62:65], v82 offset:8496
	v_add_f64_e32 v[4:5], v[4:5], v[10:11]
	v_add_f64_e32 v[10:11], v[24:25], v[74:75]
	s_wait_dscnt 0x0
	v_mul_f64_e32 v[24:25], v[64:65], v[68:69]
	v_mul_f64_e32 v[68:69], v[62:63], v[68:69]
	s_delay_alu instid0(VALU_DEP_2) | instskip(NEXT) | instid1(VALU_DEP_2)
	v_fma_f64 v[24:25], v[62:63], v[66:67], -v[24:25]
	v_fmac_f64_e32 v[68:69], v[64:65], v[66:67]
	s_delay_alu instid0(VALU_DEP_2) | instskip(SKIP_1) | instid1(VALU_DEP_3)
	v_add_f64_e32 v[16:17], v[16:17], v[24:25]
	v_mul_f64_e32 v[24:25], v[64:65], v[72:73]
	v_add_f64_e32 v[18:19], v[68:69], v[18:19]
	s_delay_alu instid0(VALU_DEP_2) | instskip(SKIP_1) | instid1(VALU_DEP_2)
	v_fma_f64 v[24:25], v[62:63], v[70:71], -v[24:25]
	v_mul_f64_e32 v[62:63], v[62:63], v[72:73]
	v_add_f64_e32 v[24:25], v[12:13], v[24:25]
	s_delay_alu instid0(VALU_DEP_2) | instskip(NEXT) | instid1(VALU_DEP_1)
	v_fmac_f64_e32 v[62:63], v[64:65], v[70:71]
	v_add_f64_e32 v[70:71], v[62:63], v[14:15]
	ds_load_b128 v[12:15], v82 offset:320
	ds_load_b128 v[62:65], v83 offset:10240
	s_wait_dscnt 0x0
	v_mul_f64_e32 v[66:67], v[14:15], v[64:65]
	v_mul_f64_e32 v[68:69], v[12:13], v[64:65]
	s_delay_alu instid0(VALU_DEP_2) | instskip(NEXT) | instid1(VALU_DEP_2)
	v_fma_f64 v[66:67], v[12:13], v[62:63], -v[66:67]
	v_fmac_f64_e32 v[68:69], v[14:15], v[62:63]
	s_delay_alu instid0(VALU_DEP_2) | instskip(NEXT) | instid1(VALU_DEP_2)
	v_add_f64_e32 v[20:21], v[20:21], v[66:67]
	v_add_f64_e32 v[22:23], v[68:69], v[22:23]
	ds_load_b128 v[66:69], v83 offset:10496
	s_wait_dscnt 0x0
	v_mul_f64_e32 v[72:73], v[14:15], v[68:69]
	s_delay_alu instid0(VALU_DEP_1) | instskip(SKIP_1) | instid1(VALU_DEP_2)
	v_fma_f64 v[72:73], v[12:13], v[66:67], -v[72:73]
	v_mul_f64_e32 v[12:13], v[12:13], v[68:69]
	v_add_f64_e32 v[4:5], v[4:5], v[72:73]
	s_delay_alu instid0(VALU_DEP_2) | instskip(NEXT) | instid1(VALU_DEP_1)
	v_fmac_f64_e32 v[12:13], v[14:15], v[66:67]
	v_add_f64_e32 v[74:75], v[12:13], v[10:11]
	ds_load_b128 v[10:13], v82 offset:8512
	s_wait_dscnt 0x0
	v_mul_f64_e32 v[14:15], v[12:13], v[64:65]
	v_mul_f64_e32 v[64:65], v[10:11], v[64:65]
	s_delay_alu instid0(VALU_DEP_2) | instskip(NEXT) | instid1(VALU_DEP_2)
	v_fma_f64 v[14:15], v[10:11], v[62:63], -v[14:15]
	v_fmac_f64_e32 v[64:65], v[12:13], v[62:63]
	s_delay_alu instid0(VALU_DEP_2) | instskip(SKIP_1) | instid1(VALU_DEP_3)
	v_add_f64_e32 v[16:17], v[16:17], v[14:15]
	v_mul_f64_e32 v[14:15], v[12:13], v[68:69]
	v_add_f64_e32 v[18:19], v[64:65], v[18:19]
	s_delay_alu instid0(VALU_DEP_2) | instskip(SKIP_1) | instid1(VALU_DEP_1)
	v_fma_f64 v[14:15], v[10:11], v[66:67], -v[14:15]
	v_mul_f64_e32 v[10:11], v[10:11], v[68:69]
	v_fmac_f64_e32 v[10:11], v[12:13], v[66:67]
	ds_load_b128 v[62:65], v82 offset:336
	ds_load_b128 v[66:69], v83 offset:10752
	v_add_f64_e32 v[12:13], v[24:25], v[14:15]
	s_wait_dscnt 0x0
	v_mul_f64_e32 v[24:25], v[62:63], v[68:69]
	v_add_f64_e32 v[14:15], v[10:11], v[70:71]
	v_mul_f64_e32 v[10:11], v[64:65], v[68:69]
	ds_load_b128 v[70:73], v83 offset:11008
	v_fmac_f64_e32 v[24:25], v[64:65], v[66:67]
	v_fma_f64 v[10:11], v[62:63], v[66:67], -v[10:11]
	s_delay_alu instid0(VALU_DEP_2) | instskip(SKIP_2) | instid1(VALU_DEP_3)
	v_add_f64_e32 v[22:23], v[24:25], v[22:23]
	s_wait_dscnt 0x0
	v_mul_f64_e32 v[24:25], v[62:63], v[72:73]
	v_add_f64_e32 v[20:21], v[20:21], v[10:11]
	v_mul_f64_e32 v[10:11], v[64:65], v[72:73]
	s_delay_alu instid0(VALU_DEP_3) | instskip(NEXT) | instid1(VALU_DEP_2)
	v_fmac_f64_e32 v[24:25], v[64:65], v[70:71]
	v_fma_f64 v[10:11], v[62:63], v[70:71], -v[10:11]
	ds_load_b128 v[62:65], v82 offset:8528
	v_add_f64_e32 v[4:5], v[4:5], v[10:11]
	v_add_f64_e32 v[10:11], v[24:25], v[74:75]
	s_wait_dscnt 0x0
	v_mul_f64_e32 v[24:25], v[64:65], v[68:69]
	v_mul_f64_e32 v[68:69], v[62:63], v[68:69]
	s_delay_alu instid0(VALU_DEP_2) | instskip(NEXT) | instid1(VALU_DEP_2)
	v_fma_f64 v[24:25], v[62:63], v[66:67], -v[24:25]
	v_fmac_f64_e32 v[68:69], v[64:65], v[66:67]
	s_delay_alu instid0(VALU_DEP_2) | instskip(SKIP_1) | instid1(VALU_DEP_3)
	v_add_f64_e32 v[16:17], v[16:17], v[24:25]
	v_mul_f64_e32 v[24:25], v[64:65], v[72:73]
	v_add_f64_e32 v[18:19], v[68:69], v[18:19]
	s_delay_alu instid0(VALU_DEP_2) | instskip(SKIP_1) | instid1(VALU_DEP_2)
	v_fma_f64 v[24:25], v[62:63], v[70:71], -v[24:25]
	v_mul_f64_e32 v[62:63], v[62:63], v[72:73]
	v_add_f64_e32 v[24:25], v[12:13], v[24:25]
	s_delay_alu instid0(VALU_DEP_2) | instskip(NEXT) | instid1(VALU_DEP_1)
	v_fmac_f64_e32 v[62:63], v[64:65], v[70:71]
	v_add_f64_e32 v[70:71], v[62:63], v[14:15]
	ds_load_b128 v[12:15], v82 offset:352
	ds_load_b128 v[62:65], v83 offset:11264
	s_wait_dscnt 0x0
	v_mul_f64_e32 v[66:67], v[14:15], v[64:65]
	v_mul_f64_e32 v[68:69], v[12:13], v[64:65]
	s_delay_alu instid0(VALU_DEP_2) | instskip(NEXT) | instid1(VALU_DEP_2)
	v_fma_f64 v[66:67], v[12:13], v[62:63], -v[66:67]
	v_fmac_f64_e32 v[68:69], v[14:15], v[62:63]
	s_delay_alu instid0(VALU_DEP_2) | instskip(NEXT) | instid1(VALU_DEP_2)
	v_add_f64_e32 v[20:21], v[20:21], v[66:67]
	v_add_f64_e32 v[22:23], v[68:69], v[22:23]
	ds_load_b128 v[66:69], v83 offset:11520
	s_wait_dscnt 0x0
	v_mul_f64_e32 v[72:73], v[14:15], v[68:69]
	s_delay_alu instid0(VALU_DEP_1) | instskip(SKIP_1) | instid1(VALU_DEP_2)
	v_fma_f64 v[72:73], v[12:13], v[66:67], -v[72:73]
	v_mul_f64_e32 v[12:13], v[12:13], v[68:69]
	v_add_f64_e32 v[4:5], v[4:5], v[72:73]
	s_delay_alu instid0(VALU_DEP_2) | instskip(NEXT) | instid1(VALU_DEP_1)
	v_fmac_f64_e32 v[12:13], v[14:15], v[66:67]
	v_add_f64_e32 v[74:75], v[12:13], v[10:11]
	ds_load_b128 v[10:13], v82 offset:8544
	s_wait_dscnt 0x0
	v_mul_f64_e32 v[14:15], v[12:13], v[64:65]
	v_mul_f64_e32 v[64:65], v[10:11], v[64:65]
	s_delay_alu instid0(VALU_DEP_2) | instskip(NEXT) | instid1(VALU_DEP_2)
	v_fma_f64 v[14:15], v[10:11], v[62:63], -v[14:15]
	v_fmac_f64_e32 v[64:65], v[12:13], v[62:63]
	s_delay_alu instid0(VALU_DEP_2) | instskip(SKIP_1) | instid1(VALU_DEP_3)
	v_add_f64_e32 v[16:17], v[16:17], v[14:15]
	v_mul_f64_e32 v[14:15], v[12:13], v[68:69]
	v_add_f64_e32 v[18:19], v[64:65], v[18:19]
	s_delay_alu instid0(VALU_DEP_2) | instskip(SKIP_1) | instid1(VALU_DEP_1)
	v_fma_f64 v[14:15], v[10:11], v[66:67], -v[14:15]
	v_mul_f64_e32 v[10:11], v[10:11], v[68:69]
	v_fmac_f64_e32 v[10:11], v[12:13], v[66:67]
	ds_load_b128 v[62:65], v82 offset:368
	ds_load_b128 v[66:69], v83 offset:11776
	v_add_f64_e32 v[12:13], v[24:25], v[14:15]
	s_wait_dscnt 0x0
	v_mul_f64_e32 v[24:25], v[62:63], v[68:69]
	v_add_f64_e32 v[14:15], v[10:11], v[70:71]
	v_mul_f64_e32 v[10:11], v[64:65], v[68:69]
	ds_load_b128 v[70:73], v83 offset:12032
	v_fmac_f64_e32 v[24:25], v[64:65], v[66:67]
	v_fma_f64 v[10:11], v[62:63], v[66:67], -v[10:11]
	s_delay_alu instid0(VALU_DEP_2) | instskip(SKIP_2) | instid1(VALU_DEP_3)
	v_add_f64_e32 v[22:23], v[24:25], v[22:23]
	s_wait_dscnt 0x0
	v_mul_f64_e32 v[24:25], v[62:63], v[72:73]
	v_add_f64_e32 v[20:21], v[20:21], v[10:11]
	v_mul_f64_e32 v[10:11], v[64:65], v[72:73]
	s_delay_alu instid0(VALU_DEP_3) | instskip(NEXT) | instid1(VALU_DEP_2)
	v_fmac_f64_e32 v[24:25], v[64:65], v[70:71]
	v_fma_f64 v[10:11], v[62:63], v[70:71], -v[10:11]
	ds_load_b128 v[62:65], v82 offset:8560
	v_add_f64_e32 v[4:5], v[4:5], v[10:11]
	v_add_f64_e32 v[10:11], v[24:25], v[74:75]
	s_wait_dscnt 0x0
	v_mul_f64_e32 v[24:25], v[64:65], v[68:69]
	v_mul_f64_e32 v[68:69], v[62:63], v[68:69]
	s_delay_alu instid0(VALU_DEP_2) | instskip(NEXT) | instid1(VALU_DEP_2)
	v_fma_f64 v[24:25], v[62:63], v[66:67], -v[24:25]
	v_fmac_f64_e32 v[68:69], v[64:65], v[66:67]
	s_delay_alu instid0(VALU_DEP_2) | instskip(SKIP_1) | instid1(VALU_DEP_3)
	v_add_f64_e32 v[16:17], v[16:17], v[24:25]
	v_mul_f64_e32 v[24:25], v[64:65], v[72:73]
	v_add_f64_e32 v[18:19], v[68:69], v[18:19]
	s_delay_alu instid0(VALU_DEP_2) | instskip(SKIP_1) | instid1(VALU_DEP_2)
	v_fma_f64 v[24:25], v[62:63], v[70:71], -v[24:25]
	v_mul_f64_e32 v[62:63], v[62:63], v[72:73]
	v_add_f64_e32 v[24:25], v[12:13], v[24:25]
	s_delay_alu instid0(VALU_DEP_2) | instskip(NEXT) | instid1(VALU_DEP_1)
	v_fmac_f64_e32 v[62:63], v[64:65], v[70:71]
	v_add_f64_e32 v[70:71], v[62:63], v[14:15]
	ds_load_b128 v[12:15], v82 offset:384
	ds_load_b128 v[62:65], v83 offset:12288
	s_wait_dscnt 0x0
	v_mul_f64_e32 v[66:67], v[14:15], v[64:65]
	v_mul_f64_e32 v[68:69], v[12:13], v[64:65]
	s_delay_alu instid0(VALU_DEP_2) | instskip(NEXT) | instid1(VALU_DEP_2)
	v_fma_f64 v[66:67], v[12:13], v[62:63], -v[66:67]
	v_fmac_f64_e32 v[68:69], v[14:15], v[62:63]
	s_delay_alu instid0(VALU_DEP_2) | instskip(NEXT) | instid1(VALU_DEP_2)
	v_add_f64_e32 v[20:21], v[20:21], v[66:67]
	v_add_f64_e32 v[22:23], v[68:69], v[22:23]
	ds_load_b128 v[66:69], v83 offset:12544
	s_wait_dscnt 0x0
	v_mul_f64_e32 v[72:73], v[14:15], v[68:69]
	s_delay_alu instid0(VALU_DEP_1) | instskip(SKIP_1) | instid1(VALU_DEP_2)
	v_fma_f64 v[72:73], v[12:13], v[66:67], -v[72:73]
	v_mul_f64_e32 v[12:13], v[12:13], v[68:69]
	v_add_f64_e32 v[4:5], v[4:5], v[72:73]
	s_delay_alu instid0(VALU_DEP_2) | instskip(NEXT) | instid1(VALU_DEP_1)
	v_fmac_f64_e32 v[12:13], v[14:15], v[66:67]
	v_add_f64_e32 v[74:75], v[12:13], v[10:11]
	ds_load_b128 v[10:13], v82 offset:8576
	s_wait_dscnt 0x0
	v_mul_f64_e32 v[14:15], v[12:13], v[64:65]
	v_mul_f64_e32 v[64:65], v[10:11], v[64:65]
	s_delay_alu instid0(VALU_DEP_2) | instskip(NEXT) | instid1(VALU_DEP_2)
	v_fma_f64 v[14:15], v[10:11], v[62:63], -v[14:15]
	v_fmac_f64_e32 v[64:65], v[12:13], v[62:63]
	s_delay_alu instid0(VALU_DEP_2) | instskip(SKIP_1) | instid1(VALU_DEP_3)
	v_add_f64_e32 v[16:17], v[16:17], v[14:15]
	v_mul_f64_e32 v[14:15], v[12:13], v[68:69]
	v_add_f64_e32 v[18:19], v[64:65], v[18:19]
	s_delay_alu instid0(VALU_DEP_2) | instskip(SKIP_1) | instid1(VALU_DEP_1)
	v_fma_f64 v[14:15], v[10:11], v[66:67], -v[14:15]
	v_mul_f64_e32 v[10:11], v[10:11], v[68:69]
	v_fmac_f64_e32 v[10:11], v[12:13], v[66:67]
	ds_load_b128 v[62:65], v82 offset:400
	ds_load_b128 v[66:69], v83 offset:12800
	v_add_f64_e32 v[12:13], v[24:25], v[14:15]
	s_wait_dscnt 0x0
	v_mul_f64_e32 v[24:25], v[62:63], v[68:69]
	v_add_f64_e32 v[14:15], v[10:11], v[70:71]
	v_mul_f64_e32 v[10:11], v[64:65], v[68:69]
	ds_load_b128 v[70:73], v83 offset:13056
	v_fmac_f64_e32 v[24:25], v[64:65], v[66:67]
	v_fma_f64 v[10:11], v[62:63], v[66:67], -v[10:11]
	s_delay_alu instid0(VALU_DEP_2) | instskip(SKIP_2) | instid1(VALU_DEP_3)
	v_add_f64_e32 v[22:23], v[24:25], v[22:23]
	s_wait_dscnt 0x0
	v_mul_f64_e32 v[24:25], v[62:63], v[72:73]
	v_add_f64_e32 v[20:21], v[20:21], v[10:11]
	v_mul_f64_e32 v[10:11], v[64:65], v[72:73]
	s_delay_alu instid0(VALU_DEP_3) | instskip(NEXT) | instid1(VALU_DEP_2)
	v_fmac_f64_e32 v[24:25], v[64:65], v[70:71]
	v_fma_f64 v[10:11], v[62:63], v[70:71], -v[10:11]
	ds_load_b128 v[62:65], v82 offset:8592
	v_add_f64_e32 v[4:5], v[4:5], v[10:11]
	v_add_f64_e32 v[10:11], v[24:25], v[74:75]
	s_wait_dscnt 0x0
	v_mul_f64_e32 v[24:25], v[64:65], v[68:69]
	v_mul_f64_e32 v[68:69], v[62:63], v[68:69]
	s_delay_alu instid0(VALU_DEP_2) | instskip(NEXT) | instid1(VALU_DEP_2)
	v_fma_f64 v[24:25], v[62:63], v[66:67], -v[24:25]
	v_fmac_f64_e32 v[68:69], v[64:65], v[66:67]
	s_delay_alu instid0(VALU_DEP_2) | instskip(SKIP_1) | instid1(VALU_DEP_3)
	v_add_f64_e32 v[16:17], v[16:17], v[24:25]
	v_mul_f64_e32 v[24:25], v[64:65], v[72:73]
	v_add_f64_e32 v[18:19], v[68:69], v[18:19]
	s_delay_alu instid0(VALU_DEP_2) | instskip(SKIP_1) | instid1(VALU_DEP_2)
	v_fma_f64 v[24:25], v[62:63], v[70:71], -v[24:25]
	v_mul_f64_e32 v[62:63], v[62:63], v[72:73]
	v_add_f64_e32 v[24:25], v[12:13], v[24:25]
	s_delay_alu instid0(VALU_DEP_2) | instskip(NEXT) | instid1(VALU_DEP_1)
	v_fmac_f64_e32 v[62:63], v[64:65], v[70:71]
	v_add_f64_e32 v[70:71], v[62:63], v[14:15]
	ds_load_b128 v[12:15], v82 offset:416
	ds_load_b128 v[62:65], v83 offset:13312
	s_wait_dscnt 0x0
	v_mul_f64_e32 v[66:67], v[14:15], v[64:65]
	v_mul_f64_e32 v[68:69], v[12:13], v[64:65]
	s_delay_alu instid0(VALU_DEP_2) | instskip(NEXT) | instid1(VALU_DEP_2)
	v_fma_f64 v[66:67], v[12:13], v[62:63], -v[66:67]
	v_fmac_f64_e32 v[68:69], v[14:15], v[62:63]
	s_delay_alu instid0(VALU_DEP_2) | instskip(NEXT) | instid1(VALU_DEP_2)
	v_add_f64_e32 v[20:21], v[20:21], v[66:67]
	v_add_f64_e32 v[22:23], v[68:69], v[22:23]
	ds_load_b128 v[66:69], v83 offset:13568
	s_wait_dscnt 0x0
	v_mul_f64_e32 v[72:73], v[14:15], v[68:69]
	s_delay_alu instid0(VALU_DEP_1) | instskip(SKIP_1) | instid1(VALU_DEP_2)
	v_fma_f64 v[72:73], v[12:13], v[66:67], -v[72:73]
	v_mul_f64_e32 v[12:13], v[12:13], v[68:69]
	v_add_f64_e32 v[4:5], v[4:5], v[72:73]
	s_delay_alu instid0(VALU_DEP_2) | instskip(NEXT) | instid1(VALU_DEP_1)
	v_fmac_f64_e32 v[12:13], v[14:15], v[66:67]
	v_add_f64_e32 v[74:75], v[12:13], v[10:11]
	ds_load_b128 v[10:13], v82 offset:8608
	s_wait_dscnt 0x0
	v_mul_f64_e32 v[14:15], v[12:13], v[64:65]
	v_mul_f64_e32 v[64:65], v[10:11], v[64:65]
	s_delay_alu instid0(VALU_DEP_2) | instskip(NEXT) | instid1(VALU_DEP_2)
	v_fma_f64 v[14:15], v[10:11], v[62:63], -v[14:15]
	v_fmac_f64_e32 v[64:65], v[12:13], v[62:63]
	s_delay_alu instid0(VALU_DEP_2) | instskip(SKIP_1) | instid1(VALU_DEP_3)
	v_add_f64_e32 v[16:17], v[16:17], v[14:15]
	v_mul_f64_e32 v[14:15], v[12:13], v[68:69]
	v_add_f64_e32 v[18:19], v[64:65], v[18:19]
	s_delay_alu instid0(VALU_DEP_2) | instskip(SKIP_1) | instid1(VALU_DEP_1)
	v_fma_f64 v[14:15], v[10:11], v[66:67], -v[14:15]
	v_mul_f64_e32 v[10:11], v[10:11], v[68:69]
	v_fmac_f64_e32 v[10:11], v[12:13], v[66:67]
	ds_load_b128 v[62:65], v82 offset:432
	ds_load_b128 v[66:69], v83 offset:13824
	v_add_f64_e32 v[12:13], v[24:25], v[14:15]
	s_wait_dscnt 0x0
	v_mul_f64_e32 v[24:25], v[62:63], v[68:69]
	v_add_f64_e32 v[14:15], v[10:11], v[70:71]
	v_mul_f64_e32 v[10:11], v[64:65], v[68:69]
	ds_load_b128 v[70:73], v83 offset:14080
	v_fmac_f64_e32 v[24:25], v[64:65], v[66:67]
	v_fma_f64 v[10:11], v[62:63], v[66:67], -v[10:11]
	s_delay_alu instid0(VALU_DEP_2) | instskip(SKIP_2) | instid1(VALU_DEP_3)
	v_add_f64_e32 v[22:23], v[24:25], v[22:23]
	s_wait_dscnt 0x0
	v_mul_f64_e32 v[24:25], v[62:63], v[72:73]
	v_add_f64_e32 v[20:21], v[20:21], v[10:11]
	v_mul_f64_e32 v[10:11], v[64:65], v[72:73]
	s_delay_alu instid0(VALU_DEP_3) | instskip(NEXT) | instid1(VALU_DEP_2)
	v_fmac_f64_e32 v[24:25], v[64:65], v[70:71]
	v_fma_f64 v[10:11], v[62:63], v[70:71], -v[10:11]
	ds_load_b128 v[62:65], v82 offset:8624
	v_add_f64_e32 v[4:5], v[4:5], v[10:11]
	v_add_f64_e32 v[10:11], v[24:25], v[74:75]
	s_wait_dscnt 0x0
	v_mul_f64_e32 v[24:25], v[64:65], v[68:69]
	v_mul_f64_e32 v[68:69], v[62:63], v[68:69]
	s_delay_alu instid0(VALU_DEP_2) | instskip(NEXT) | instid1(VALU_DEP_2)
	v_fma_f64 v[24:25], v[62:63], v[66:67], -v[24:25]
	v_fmac_f64_e32 v[68:69], v[64:65], v[66:67]
	s_delay_alu instid0(VALU_DEP_2) | instskip(SKIP_1) | instid1(VALU_DEP_3)
	v_add_f64_e32 v[16:17], v[16:17], v[24:25]
	v_mul_f64_e32 v[24:25], v[64:65], v[72:73]
	v_add_f64_e32 v[18:19], v[68:69], v[18:19]
	s_delay_alu instid0(VALU_DEP_2) | instskip(SKIP_1) | instid1(VALU_DEP_2)
	v_fma_f64 v[24:25], v[62:63], v[70:71], -v[24:25]
	v_mul_f64_e32 v[62:63], v[62:63], v[72:73]
	v_add_f64_e32 v[24:25], v[12:13], v[24:25]
	s_delay_alu instid0(VALU_DEP_2) | instskip(NEXT) | instid1(VALU_DEP_1)
	v_fmac_f64_e32 v[62:63], v[64:65], v[70:71]
	v_add_f64_e32 v[70:71], v[62:63], v[14:15]
	ds_load_b128 v[62:65], v82 offset:448
	ds_load_b128 v[66:69], v83 offset:14336
	s_wait_dscnt 0x0
	v_mul_f64_e32 v[12:13], v[64:65], v[68:69]
	v_mul_f64_e32 v[14:15], v[62:63], v[68:69]
	s_delay_alu instid0(VALU_DEP_2) | instskip(NEXT) | instid1(VALU_DEP_2)
	v_fma_f64 v[12:13], v[62:63], v[66:67], -v[12:13]
	v_fmac_f64_e32 v[14:15], v[64:65], v[66:67]
	s_delay_alu instid0(VALU_DEP_2) | instskip(NEXT) | instid1(VALU_DEP_2)
	v_add_f64_e32 v[12:13], v[20:21], v[12:13]
	v_add_f64_e32 v[14:15], v[14:15], v[22:23]
	ds_load_b128 v[20:23], v83 offset:14592
	s_wait_dscnt 0x0
	v_mul_f64_e32 v[72:73], v[64:65], v[22:23]
	s_delay_alu instid0(VALU_DEP_1) | instskip(SKIP_1) | instid1(VALU_DEP_2)
	v_fma_f64 v[72:73], v[62:63], v[20:21], -v[72:73]
	v_mul_f64_e32 v[62:63], v[62:63], v[22:23]
	v_add_f64_e32 v[4:5], v[4:5], v[72:73]
	s_delay_alu instid0(VALU_DEP_2) | instskip(NEXT) | instid1(VALU_DEP_1)
	v_fmac_f64_e32 v[62:63], v[64:65], v[20:21]
	v_add_f64_e32 v[10:11], v[62:63], v[10:11]
	ds_load_b128 v[62:65], v82 offset:8640
	s_wait_dscnt 0x0
	v_mul_f64_e32 v[72:73], v[64:65], v[68:69]
	v_mul_f64_e32 v[68:69], v[62:63], v[68:69]
	s_delay_alu instid0(VALU_DEP_2) | instskip(NEXT) | instid1(VALU_DEP_2)
	v_fma_f64 v[72:73], v[62:63], v[66:67], -v[72:73]
	v_fmac_f64_e32 v[68:69], v[64:65], v[66:67]
	v_mul_f64_e32 v[66:67], v[64:65], v[22:23]
	v_mul_f64_e32 v[22:23], v[62:63], v[22:23]
	s_delay_alu instid0(VALU_DEP_4) | instskip(NEXT) | instid1(VALU_DEP_4)
	v_add_f64_e32 v[16:17], v[16:17], v[72:73]
	v_add_f64_e32 v[18:19], v[68:69], v[18:19]
	s_delay_alu instid0(VALU_DEP_4) | instskip(NEXT) | instid1(VALU_DEP_4)
	v_fma_f64 v[66:67], v[62:63], v[20:21], -v[66:67]
	v_fmac_f64_e32 v[22:23], v[64:65], v[20:21]
	s_delay_alu instid0(VALU_DEP_2)
	v_add_f64_e32 v[20:21], v[24:25], v[66:67]
	ds_load_b128 v[62:65], v82 offset:464
	ds_load_b128 v[66:69], v83 offset:14848
	v_add_f64_e32 v[22:23], v[22:23], v[70:71]
	s_wait_dscnt 0x0
	v_mul_f64_e32 v[70:71], v[62:63], v[68:69]
	v_mul_f64_e32 v[24:25], v[64:65], v[68:69]
	s_delay_alu instid0(VALU_DEP_2) | instskip(NEXT) | instid1(VALU_DEP_2)
	v_fmac_f64_e32 v[70:71], v[64:65], v[66:67]
	v_fma_f64 v[24:25], v[62:63], v[66:67], -v[24:25]
	s_delay_alu instid0(VALU_DEP_2) | instskip(SKIP_4) | instid1(VALU_DEP_1)
	v_add_f64_e32 v[14:15], v[70:71], v[14:15]
	ds_load_b128 v[70:73], v83 offset:15104
	v_add_f64_e32 v[12:13], v[12:13], v[24:25]
	s_wait_dscnt 0x0
	v_mul_f64_e32 v[24:25], v[64:65], v[72:73]
	v_fma_f64 v[24:25], v[62:63], v[70:71], -v[24:25]
	v_mul_f64_e32 v[62:63], v[62:63], v[72:73]
	s_delay_alu instid0(VALU_DEP_2) | instskip(NEXT) | instid1(VALU_DEP_2)
	v_add_f64_e32 v[4:5], v[4:5], v[24:25]
	v_fmac_f64_e32 v[62:63], v[64:65], v[70:71]
	s_delay_alu instid0(VALU_DEP_1) | instskip(SKIP_4) | instid1(VALU_DEP_2)
	v_add_f64_e32 v[10:11], v[62:63], v[10:11]
	ds_load_b128 v[62:65], v82 offset:8656
	s_wait_dscnt 0x0
	v_mul_f64_e32 v[24:25], v[64:65], v[68:69]
	v_mul_f64_e32 v[68:69], v[62:63], v[68:69]
	v_fma_f64 v[24:25], v[62:63], v[66:67], -v[24:25]
	s_delay_alu instid0(VALU_DEP_2) | instskip(NEXT) | instid1(VALU_DEP_2)
	v_fmac_f64_e32 v[68:69], v[64:65], v[66:67]
	v_add_f64_e32 v[16:17], v[16:17], v[24:25]
	v_mul_f64_e32 v[24:25], v[64:65], v[72:73]
	s_delay_alu instid0(VALU_DEP_3) | instskip(NEXT) | instid1(VALU_DEP_2)
	v_add_f64_e32 v[18:19], v[68:69], v[18:19]
	v_fma_f64 v[24:25], v[62:63], v[70:71], -v[24:25]
	v_mul_f64_e32 v[62:63], v[62:63], v[72:73]
	s_delay_alu instid0(VALU_DEP_2) | instskip(NEXT) | instid1(VALU_DEP_2)
	v_add_f64_e32 v[20:21], v[20:21], v[24:25]
	v_fmac_f64_e32 v[62:63], v[64:65], v[70:71]
	s_delay_alu instid0(VALU_DEP_1)
	v_add_f64_e32 v[22:23], v[62:63], v[22:23]
	ds_load_b128 v[62:65], v82 offset:480
	ds_load_b128 v[66:69], v83 offset:15360
	;; [unrolled: 1-line block ×3, first 2 shown]
	s_wait_dscnt 0x1
	v_mul_f64_e32 v[24:25], v[64:65], v[68:69]
	v_mul_f64_e32 v[70:71], v[62:63], v[68:69]
	s_delay_alu instid0(VALU_DEP_2) | instskip(NEXT) | instid1(VALU_DEP_2)
	v_fma_f64 v[24:25], v[62:63], v[66:67], -v[24:25]
	v_fmac_f64_e32 v[70:71], v[64:65], v[66:67]
	s_delay_alu instid0(VALU_DEP_2) | instskip(NEXT) | instid1(VALU_DEP_2)
	v_add_f64_e32 v[12:13], v[12:13], v[24:25]
	v_add_f64_e32 v[24:25], v[70:71], v[14:15]
	s_wait_dscnt 0x0
	v_mul_f64_e32 v[14:15], v[64:65], v[78:79]
	s_delay_alu instid0(VALU_DEP_1) | instskip(SKIP_1) | instid1(VALU_DEP_2)
	v_fma_f64 v[14:15], v[62:63], v[76:77], -v[14:15]
	v_mul_f64_e32 v[62:63], v[62:63], v[78:79]
	v_add_f64_e32 v[72:73], v[4:5], v[14:15]
	s_delay_alu instid0(VALU_DEP_2) | instskip(NEXT) | instid1(VALU_DEP_1)
	v_fmac_f64_e32 v[62:63], v[64:65], v[76:77]
	v_add_f64_e32 v[74:75], v[62:63], v[10:11]
	ds_load_b128 v[62:65], v82 offset:8672
	s_wait_dscnt 0x0
	v_mul_f64_e32 v[4:5], v[64:65], v[68:69]
	v_mul_f64_e32 v[10:11], v[62:63], v[68:69]
	s_delay_alu instid0(VALU_DEP_2) | instskip(NEXT) | instid1(VALU_DEP_2)
	v_fma_f64 v[4:5], v[62:63], v[66:67], -v[4:5]
	v_fmac_f64_e32 v[10:11], v[64:65], v[66:67]
	s_delay_alu instid0(VALU_DEP_2) | instskip(SKIP_1) | instid1(VALU_DEP_3)
	v_add_f64_e32 v[68:69], v[16:17], v[4:5]
	v_mul_f64_e32 v[4:5], v[64:65], v[78:79]
	v_add_f64_e32 v[70:71], v[10:11], v[18:19]
	v_mul_f64_e32 v[10:11], v[62:63], v[78:79]
	s_delay_alu instid0(VALU_DEP_3) | instskip(NEXT) | instid1(VALU_DEP_2)
	v_fma_f64 v[4:5], v[62:63], v[76:77], -v[4:5]
	v_fmac_f64_e32 v[10:11], v[64:65], v[76:77]
	s_delay_alu instid0(VALU_DEP_2)
	v_add_f64_e32 v[4:5], v[20:21], v[4:5]
	ds_load_b128 v[18:21], v82 offset:496
	ds_load_b128 v[14:17], v83 offset:15872
	v_add_f64_e32 v[66:67], v[10:11], v[22:23]
	s_wait_dscnt 0x0
	v_mul_f64_e32 v[10:11], v[20:21], v[16:17]
	v_mul_f64_e32 v[22:23], v[18:19], v[16:17]
	s_delay_alu instid0(VALU_DEP_2) | instskip(NEXT) | instid1(VALU_DEP_2)
	v_fma_f64 v[10:11], v[18:19], v[14:15], -v[10:11]
	v_fmac_f64_e32 v[22:23], v[20:21], v[14:15]
	s_delay_alu instid0(VALU_DEP_2) | instskip(SKIP_4) | instid1(VALU_DEP_1)
	v_add_f64_e32 v[62:63], v[12:13], v[10:11]
	ds_load_b128 v[10:13], v83 offset:16128
	v_add_f64_e32 v[64:65], v[22:23], v[24:25]
	s_wait_dscnt 0x0
	v_mul_f64_e32 v[22:23], v[20:21], v[12:13]
	v_fma_f64 v[22:23], v[18:19], v[10:11], -v[22:23]
	v_mul_f64_e32 v[18:19], v[18:19], v[12:13]
	s_delay_alu instid0(VALU_DEP_2) | instskip(NEXT) | instid1(VALU_DEP_2)
	v_add_f64_e32 v[22:23], v[72:73], v[22:23]
	v_fmac_f64_e32 v[18:19], v[20:21], v[10:11]
	s_delay_alu instid0(VALU_DEP_1)
	v_add_f64_e32 v[24:25], v[18:19], v[74:75]
	ds_load_b128 v[18:21], v82 offset:8688
	s_wait_dscnt 0x0
	s_barrier_signal -1
	s_barrier_wait -1
	v_mul_f64_e32 v[72:73], v[20:21], v[16:17]
	v_mul_f64_e32 v[16:17], v[18:19], v[16:17]
	s_delay_alu instid0(VALU_DEP_2) | instskip(NEXT) | instid1(VALU_DEP_2)
	v_fma_f64 v[72:73], v[18:19], v[14:15], -v[72:73]
	v_fmac_f64_e32 v[16:17], v[20:21], v[14:15]
	v_mul_f64_e32 v[14:15], v[20:21], v[12:13]
	v_mul_f64_e32 v[12:13], v[18:19], v[12:13]
	s_delay_alu instid0(VALU_DEP_4) | instskip(NEXT) | instid1(VALU_DEP_4)
	v_add_f64_e32 v[72:73], v[68:69], v[72:73]
	v_add_f64_e32 v[68:69], v[16:17], v[70:71]
	s_delay_alu instid0(VALU_DEP_4) | instskip(NEXT) | instid1(VALU_DEP_4)
	v_fma_f64 v[14:15], v[18:19], v[10:11], -v[14:15]
	v_fmac_f64_e32 v[12:13], v[20:21], v[10:11]
	s_delay_alu instid0(VALU_DEP_2) | instskip(NEXT) | instid1(VALU_DEP_2)
	v_add_f64_e32 v[70:71], v[4:5], v[14:15]
	v_add_f64_e32 v[66:67], v[12:13], v[66:67]
	s_cbranch_scc1 .LBB122_59
.LBB122_11:                             ;   Parent Loop BB122_4 Depth=1
                                        ;     Parent Loop BB122_8 Depth=2
                                        ; =>    This Inner Loop Header: Depth=3
	v_add_nc_u64_e32 v[10:11], s[48:49], v[26:27]
	v_cmp_eq_u64_e64 s7, s[48:49], v[54:55]
	s_delay_alu instid0(VALU_DEP_4) | instskip(NEXT) | instid1(VALU_DEP_3)
	v_add_nc_u64_e32 v[12:13], v[48:49], v[28:29]
	v_cmp_gt_i64_e64 s5, v[10:11], v[46:47]
	v_cmp_le_i64_e64 s6, s[40:41], v[10:11]
	s_and_b32 s58, s52, s7
	s_or_b32 s7, s4, s5
	s_delay_alu instid0(SALU_CYCLE_1) | instskip(NEXT) | instid1(SALU_CYCLE_1)
	s_or_b32 s7, s7, s58
	s_nor_b32 s7, s6, s7
	s_delay_alu instid0(SALU_CYCLE_1) | instskip(NEXT) | instid1(SALU_CYCLE_1)
	s_and_saveexec_b32 s8, s7
	s_xor_b32 s7, exec_lo, s8
	s_cbranch_execz .LBB122_13
; %bb.12:                               ;   in Loop: Header=BB122_11 Depth=3
	global_load_b128 v[14:17], v[12:13], off offset:-256
	s_wait_loadcnt 0x0
	ds_store_2addr_b64 v84, v[14:15], v[16:17] offset1:1
.LBB122_13:                             ;   in Loop: Header=BB122_11 Depth=3
	s_wait_xcnt 0x0
	s_or_saveexec_b32 s7, s7
	s_xor_b32 s57, s58, -1
	s_xor_b32 exec_lo, exec_lo, s7
	s_cbranch_execz .LBB122_19
; %bb.14:                               ;   in Loop: Header=BB122_11 Depth=3
	s_and_saveexec_b32 s8, s57
	s_delay_alu instid0(SALU_CYCLE_1)
	s_xor_b32 s8, exec_lo, s8
; %bb.15:                               ;   in Loop: Header=BB122_11 Depth=3
	v_dual_mov_b32 v14, v2 :: v_dual_mov_b32 v15, v2
	v_dual_mov_b32 v16, v2 :: v_dual_mov_b32 v17, v2
	ds_store_b128 v84, v[14:17]
; %bb.16:                               ;   in Loop: Header=BB122_11 Depth=3
	s_and_not1_saveexec_b32 s8, s8
; %bb.17:                               ;   in Loop: Header=BB122_11 Depth=3
	v_dual_mov_b32 v4, v2 :: v_dual_mov_b32 v5, v2
	ds_store_b128 v84, v[2:5]
; %bb.18:                               ;   in Loop: Header=BB122_11 Depth=3
	s_or_b32 exec_lo, exec_lo, s8
.LBB122_19:                             ;   in Loop: Header=BB122_11 Depth=3
	s_delay_alu instid0(SALU_CYCLE_1) | instskip(SKIP_2) | instid1(VALU_DEP_2)
	s_or_b32 exec_lo, exec_lo, s7
	v_add_nc_u64_e32 v[4:5], 16, v[10:11]
	v_cmp_eq_u64_e64 s8, s[48:49], v[58:59]
	v_cmp_gt_i64_e64 s9, v[4:5], v[46:47]
	v_cmp_le_i64_e64 s7, s[40:41], v[4:5]
	s_and_b32 s59, s52, s8
	s_or_b32 s8, s4, s9
	s_delay_alu instid0(SALU_CYCLE_1) | instskip(NEXT) | instid1(SALU_CYCLE_1)
	s_or_b32 s8, s8, s59
	s_nor_b32 s8, s7, s8
	s_delay_alu instid0(SALU_CYCLE_1) | instskip(NEXT) | instid1(SALU_CYCLE_1)
	s_and_saveexec_b32 s9, s8
	s_xor_b32 s8, exec_lo, s9
	s_cbranch_execz .LBB122_21
; %bb.20:                               ;   in Loop: Header=BB122_11 Depth=3
	global_load_b128 v[12:15], v[12:13], off
	v_add_nc_u32_e32 v4, 0x100, v84
	s_wait_loadcnt 0x0
	ds_store_2addr_b64 v4, v[12:13], v[14:15] offset1:1
.LBB122_21:                             ;   in Loop: Header=BB122_11 Depth=3
	s_wait_xcnt 0x0
	s_and_not1_saveexec_b32 s8, s8
	s_cbranch_execz .LBB122_27
; %bb.22:                               ;   in Loop: Header=BB122_11 Depth=3
	s_xor_b32 s9, s59, -1
	s_delay_alu instid0(SALU_CYCLE_1) | instskip(NEXT) | instid1(SALU_CYCLE_1)
	s_and_saveexec_b32 s59, s9
	s_xor_b32 s9, exec_lo, s59
; %bb.23:                               ;   in Loop: Header=BB122_11 Depth=3
	v_dual_mov_b32 v12, v2 :: v_dual_mov_b32 v13, v2
	v_dual_mov_b32 v14, v2 :: v_dual_mov_b32 v15, v2
	ds_store_b128 v84, v[12:15] offset:256
; %bb.24:                               ;   in Loop: Header=BB122_11 Depth=3
	s_and_not1_saveexec_b32 s9, s9
; %bb.25:                               ;   in Loop: Header=BB122_11 Depth=3
	v_dual_mov_b32 v4, v2 :: v_dual_mov_b32 v5, v2
	ds_store_b128 v84, v[2:5] offset:256
; %bb.26:                               ;   in Loop: Header=BB122_11 Depth=3
	s_or_b32 exec_lo, exec_lo, s9
.LBB122_27:                             ;   in Loop: Header=BB122_11 Depth=3
	s_delay_alu instid0(SALU_CYCLE_1)
	s_or_b32 exec_lo, exec_lo, s8
	v_cmp_eq_u64_e64 s8, s[48:49], v[56:57]
	v_cmp_gt_i64_e64 s9, v[10:11], v[52:53]
	v_add_nc_u64_e32 v[10:11], v[50:51], v[28:29]
	s_and_b32 s8, s52, s8
	s_or_b32 s9, vcc_lo, s9
	s_delay_alu instid0(SALU_CYCLE_1) | instskip(NEXT) | instid1(SALU_CYCLE_1)
	s_or_b32 s9, s9, s8
	s_nor_b32 s6, s6, s9
	s_delay_alu instid0(SALU_CYCLE_1) | instskip(NEXT) | instid1(SALU_CYCLE_1)
	s_and_saveexec_b32 s9, s6
	s_xor_b32 s6, exec_lo, s9
	s_cbranch_execz .LBB122_29
; %bb.28:                               ;   in Loop: Header=BB122_11 Depth=3
	global_load_b128 v[12:15], v[10:11], off offset:-256
	v_add_nc_u32_e32 v4, 0x2000, v84
	s_wait_loadcnt 0x0
	ds_store_2addr_b64 v4, v[12:13], v[14:15] offset1:1
.LBB122_29:                             ;   in Loop: Header=BB122_11 Depth=3
	s_wait_xcnt 0x0
	s_and_not1_saveexec_b32 s6, s6
	s_cbranch_execz .LBB122_35
; %bb.30:                               ;   in Loop: Header=BB122_11 Depth=3
	s_xor_b32 s8, s8, -1
	s_delay_alu instid0(SALU_CYCLE_1) | instskip(NEXT) | instid1(SALU_CYCLE_1)
	s_and_saveexec_b32 s9, s8
	s_xor_b32 s8, exec_lo, s9
; %bb.31:                               ;   in Loop: Header=BB122_11 Depth=3
	v_dual_mov_b32 v12, v2 :: v_dual_mov_b32 v13, v2
	v_dual_mov_b32 v14, v2 :: v_dual_mov_b32 v15, v2
	ds_store_b128 v84, v[12:15] offset:8192
; %bb.32:                               ;   in Loop: Header=BB122_11 Depth=3
	s_and_not1_saveexec_b32 s8, s8
; %bb.33:                               ;   in Loop: Header=BB122_11 Depth=3
	v_dual_mov_b32 v4, v2 :: v_dual_mov_b32 v5, v2
	ds_store_b128 v84, v[2:5] offset:8192
; %bb.34:                               ;   in Loop: Header=BB122_11 Depth=3
	s_or_b32 exec_lo, exec_lo, s8
.LBB122_35:                             ;   in Loop: Header=BB122_11 Depth=3
	s_delay_alu instid0(SALU_CYCLE_1) | instskip(SKIP_1) | instid1(SALU_CYCLE_1)
	s_or_b32 exec_lo, exec_lo, s6
	s_or_b32 s5, vcc_lo, s5
	s_or_b32 s5, s5, s58
	s_delay_alu instid0(SALU_CYCLE_1) | instskip(NEXT) | instid1(SALU_CYCLE_1)
	s_nor_b32 s5, s7, s5
	s_and_saveexec_b32 s6, s5
	s_delay_alu instid0(SALU_CYCLE_1)
	s_xor_b32 s5, exec_lo, s6
	s_cbranch_execz .LBB122_37
; %bb.36:                               ;   in Loop: Header=BB122_11 Depth=3
	global_load_b128 v[10:13], v[10:11], off
	v_add_nc_u32_e32 v4, 0x2100, v84
	s_wait_loadcnt 0x0
	ds_store_2addr_b64 v4, v[10:11], v[12:13] offset1:1
.LBB122_37:                             ;   in Loop: Header=BB122_11 Depth=3
	s_wait_xcnt 0x0
	s_and_not1_saveexec_b32 s5, s5
	s_cbranch_execz .LBB122_43
; %bb.38:                               ;   in Loop: Header=BB122_11 Depth=3
	s_and_saveexec_b32 s6, s57
	s_delay_alu instid0(SALU_CYCLE_1)
	s_xor_b32 s6, exec_lo, s6
; %bb.39:                               ;   in Loop: Header=BB122_11 Depth=3
	v_dual_mov_b32 v10, v2 :: v_dual_mov_b32 v11, v2
	v_dual_mov_b32 v12, v2 :: v_dual_mov_b32 v13, v2
	ds_store_b128 v84, v[10:13] offset:8448
; %bb.40:                               ;   in Loop: Header=BB122_11 Depth=3
	s_and_not1_saveexec_b32 s6, s6
; %bb.41:                               ;   in Loop: Header=BB122_11 Depth=3
	v_dual_mov_b32 v4, v2 :: v_dual_mov_b32 v5, v2
	ds_store_b128 v84, v[2:5] offset:8448
; %bb.42:                               ;   in Loop: Header=BB122_11 Depth=3
	s_or_b32 exec_lo, exec_lo, s6
.LBB122_43:                             ;   in Loop: Header=BB122_11 Depth=3
	s_delay_alu instid0(SALU_CYCLE_1) | instskip(SKIP_2) | instid1(VALU_DEP_2)
	s_or_b32 exec_lo, exec_lo, s5
	v_add_nc_u64_e32 v[4:5], s[48:49], v[0:1]
	v_add_nc_u64_e32 v[10:11], v[60:61], v[38:39]
	v_cmp_le_i64_e64 s5, s[40:41], v[4:5]
	s_nor_b32 s6, s5, s0
	s_delay_alu instid0(SALU_CYCLE_1) | instskip(NEXT) | instid1(SALU_CYCLE_1)
	s_and_saveexec_b32 s7, s6
	s_xor_b32 s6, exec_lo, s7
	s_cbranch_execz .LBB122_45
; %bb.44:                               ;   in Loop: Header=BB122_11 Depth=3
	global_load_b128 v[12:15], v[10:11], off offset:-256
	s_wait_loadcnt 0x0
	ds_store_2addr_b64 v85, v[12:13], v[14:15] offset1:1
.LBB122_45:                             ;   in Loop: Header=BB122_11 Depth=3
	s_wait_xcnt 0x0
	s_and_not1_saveexec_b32 s6, s6
; %bb.46:                               ;   in Loop: Header=BB122_11 Depth=3
	v_dual_mov_b32 v12, v2 :: v_dual_mov_b32 v13, v2
	v_dual_mov_b32 v14, v2 :: v_dual_mov_b32 v15, v2
	ds_store_b128 v85, v[12:15]
; %bb.47:                               ;   in Loop: Header=BB122_11 Depth=3
	s_or_b32 exec_lo, exec_lo, s6
	s_nor_b32 s5, s5, s1
	s_delay_alu instid0(SALU_CYCLE_1) | instskip(NEXT) | instid1(SALU_CYCLE_1)
	s_and_saveexec_b32 s6, s5
	s_xor_b32 s5, exec_lo, s6
	s_cbranch_execz .LBB122_49
; %bb.48:                               ;   in Loop: Header=BB122_11 Depth=3
	global_load_b128 v[10:13], v[10:11], off
	s_wait_loadcnt 0x0
	ds_store_2addr_b64 v86, v[10:11], v[12:13] offset1:1
.LBB122_49:                             ;   in Loop: Header=BB122_11 Depth=3
	s_wait_xcnt 0x0
	s_and_not1_saveexec_b32 s5, s5
; %bb.50:                               ;   in Loop: Header=BB122_11 Depth=3
	v_dual_mov_b32 v10, v2 :: v_dual_mov_b32 v11, v2
	v_dual_mov_b32 v12, v2 :: v_dual_mov_b32 v13, v2
	ds_store_b128 v85, v[10:13] offset:256
; %bb.51:                               ;   in Loop: Header=BB122_11 Depth=3
	s_or_b32 exec_lo, exec_lo, s5
	v_cmp_le_i64_e64 s5, s[46:47], v[4:5]
	v_add_nc_u64_e32 v[4:5], v[60:61], v[32:33]
	s_nor_b32 s6, s5, s0
	s_delay_alu instid0(SALU_CYCLE_1) | instskip(NEXT) | instid1(SALU_CYCLE_1)
	s_and_saveexec_b32 s7, s6
	s_xor_b32 s6, exec_lo, s7
	s_cbranch_execz .LBB122_53
; %bb.52:                               ;   in Loop: Header=BB122_11 Depth=3
	global_load_b128 v[10:13], v[4:5], off offset:-256
	s_wait_loadcnt 0x0
	ds_store_2addr_b64 v87, v[10:11], v[12:13] offset1:1
.LBB122_53:                             ;   in Loop: Header=BB122_11 Depth=3
	s_wait_xcnt 0x0
	s_and_not1_saveexec_b32 s6, s6
; %bb.54:                               ;   in Loop: Header=BB122_11 Depth=3
	v_dual_mov_b32 v10, v2 :: v_dual_mov_b32 v11, v2
	v_dual_mov_b32 v12, v2 :: v_dual_mov_b32 v13, v2
	ds_store_b128 v85, v[10:13] offset:8192
; %bb.55:                               ;   in Loop: Header=BB122_11 Depth=3
	s_or_b32 exec_lo, exec_lo, s6
	s_nor_b32 s5, s5, s1
	s_delay_alu instid0(SALU_CYCLE_1) | instskip(NEXT) | instid1(SALU_CYCLE_1)
	s_and_saveexec_b32 s6, s5
	s_xor_b32 s5, exec_lo, s6
	s_cbranch_execz .LBB122_57
; %bb.56:                               ;   in Loop: Header=BB122_11 Depth=3
	global_load_b128 v[10:13], v[4:5], off
	s_wait_loadcnt 0x0
	ds_store_2addr_b64 v88, v[10:11], v[12:13] offset1:1
.LBB122_57:                             ;   in Loop: Header=BB122_11 Depth=3
	s_wait_xcnt 0x0
	s_and_not1_saveexec_b32 s5, s5
	s_cbranch_execz .LBB122_10
; %bb.58:                               ;   in Loop: Header=BB122_11 Depth=3
	v_dual_mov_b32 v10, v2 :: v_dual_mov_b32 v11, v2
	v_dual_mov_b32 v12, v2 :: v_dual_mov_b32 v13, v2
	ds_store_b128 v85, v[10:13] offset:8448
	s_branch .LBB122_10
.LBB122_59:                             ;   in Loop: Header=BB122_8 Depth=2
	s_delay_alu instid0(VALU_DEP_1) | instskip(SKIP_2) | instid1(VALU_DEP_2)
	v_mul_u64_e32 v[4:5], s[28:29], v[46:47]
	v_cmp_gt_i32_e32 vcc_lo, s38, v46
	s_and_b32 s5, s2, vcc_lo
	v_lshl_add_u64 v[4:5], v[4:5], 4, s[36:37]
	s_and_saveexec_b32 s4, s5
	s_cbranch_execz .LBB122_61
; %bb.60:                               ;   in Loop: Header=BB122_8 Depth=2
	s_delay_alu instid0(VALU_DEP_1)
	v_lshl_add_u64 v[14:15], v[30:31], 4, v[4:5]
	v_mul_f64_e32 v[16:17], v[8:9], v[64:65]
	v_mul_f64_e32 v[18:19], v[6:7], v[64:65]
	global_load_b128 v[10:13], v[14:15], off
	v_fma_f64 v[16:17], v[6:7], v[62:63], -v[16:17]
	v_fmac_f64_e32 v[18:19], v[8:9], v[62:63]
	s_wait_loadcnt 0x0
	s_delay_alu instid0(VALU_DEP_2) | instskip(NEXT) | instid1(VALU_DEP_2)
	v_add_f64_e32 v[10:11], v[10:11], v[16:17]
	v_add_f64_e32 v[12:13], v[18:19], v[12:13]
	global_store_b128 v[14:15], v[10:13], off
.LBB122_61:                             ;   in Loop: Header=BB122_8 Depth=2
	s_wait_xcnt 0x0
	s_or_b32 exec_lo, exec_lo, s4
	s_and_b32 s5, s3, vcc_lo
	s_delay_alu instid0(SALU_CYCLE_1)
	s_and_saveexec_b32 s4, s5
	s_cbranch_execz .LBB122_63
; %bb.62:                               ;   in Loop: Header=BB122_8 Depth=2
	v_lshl_add_u64 v[4:5], v[34:35], 4, v[4:5]
	v_mul_f64_e32 v[14:15], v[8:9], v[24:25]
	v_mul_f64_e32 v[16:17], v[6:7], v[24:25]
	global_load_b128 v[10:13], v[4:5], off
	v_fma_f64 v[14:15], v[6:7], v[22:23], -v[14:15]
	v_fmac_f64_e32 v[16:17], v[8:9], v[22:23]
	s_wait_loadcnt 0x0
	s_delay_alu instid0(VALU_DEP_2) | instskip(NEXT) | instid1(VALU_DEP_2)
	v_add_f64_e32 v[10:11], v[10:11], v[14:15]
	v_add_f64_e32 v[12:13], v[16:17], v[12:13]
	global_store_b128 v[4:5], v[10:13], off
.LBB122_63:                             ;   in Loop: Header=BB122_8 Depth=2
	s_wait_xcnt 0x0
	s_or_b32 exec_lo, exec_lo, s4
	v_add_nc_u32_e32 v4, 16, v46
	s_delay_alu instid0(VALU_DEP_1) | instskip(SKIP_1) | instid1(VALU_DEP_2)
	v_ashrrev_i32_e32 v5, 31, v4
	v_cmp_gt_i32_e32 vcc_lo, s38, v4
	v_mul_u64_e32 v[10:11], s[28:29], v[4:5]
	s_and_b32 s5, s2, vcc_lo
	s_delay_alu instid0(VALU_DEP_1)
	v_lshl_add_u64 v[4:5], v[10:11], 4, s[36:37]
	s_and_saveexec_b32 s4, s5
	s_cbranch_execz .LBB122_65
; %bb.64:                               ;   in Loop: Header=BB122_8 Depth=2
	s_delay_alu instid0(VALU_DEP_1)
	v_lshl_add_u64 v[14:15], v[30:31], 4, v[4:5]
	v_mul_f64_e32 v[16:17], v[8:9], v[68:69]
	v_mul_f64_e32 v[18:19], v[6:7], v[68:69]
	global_load_b128 v[10:13], v[14:15], off
	v_fma_f64 v[16:17], v[6:7], v[72:73], -v[16:17]
	v_fmac_f64_e32 v[18:19], v[8:9], v[72:73]
	s_wait_loadcnt 0x0
	s_delay_alu instid0(VALU_DEP_2) | instskip(NEXT) | instid1(VALU_DEP_2)
	v_add_f64_e32 v[10:11], v[10:11], v[16:17]
	v_add_f64_e32 v[12:13], v[18:19], v[12:13]
	global_store_b128 v[14:15], v[10:13], off
.LBB122_65:                             ;   in Loop: Header=BB122_8 Depth=2
	s_wait_xcnt 0x0
	s_or_b32 exec_lo, exec_lo, s4
	s_and_b32 s5, s3, vcc_lo
	s_delay_alu instid0(SALU_CYCLE_1)
	s_and_saveexec_b32 s4, s5
	s_cbranch_execz .LBB122_7
; %bb.66:                               ;   in Loop: Header=BB122_8 Depth=2
	v_lshl_add_u64 v[4:5], v[34:35], 4, v[4:5]
	v_mul_f64_e32 v[14:15], v[8:9], v[66:67]
	v_mul_f64_e32 v[16:17], v[6:7], v[66:67]
	global_load_b128 v[10:13], v[4:5], off
	v_fma_f64 v[14:15], v[6:7], v[70:71], -v[14:15]
	v_fmac_f64_e32 v[16:17], v[8:9], v[70:71]
	s_wait_loadcnt 0x0
	s_delay_alu instid0(VALU_DEP_2) | instskip(NEXT) | instid1(VALU_DEP_2)
	v_add_f64_e32 v[10:11], v[10:11], v[14:15]
	v_add_f64_e32 v[12:13], v[16:17], v[12:13]
	global_store_b128 v[4:5], v[10:13], off
	s_branch .LBB122_7
.LBB122_67:
	s_sendmsg sendmsg(MSG_DEALLOC_VGPRS)
	s_endpgm
	.section	.rodata,"a",@progbits
	.p2align	6, 0x0
	.amdhsa_kernel _ZL30rocblas_trmm_outofplace_kernelI19rocblas_complex_numIdELi32ELi2ELb0ELb1ELb0ELb0EPKS1_S2_S1_Ev17rocblas_diagonal_iiT6_lPT7_lllS7_lllPT8_llli
		.amdhsa_group_segment_fixed_size 32768
		.amdhsa_private_segment_fixed_size 0
		.amdhsa_kernarg_size 392
		.amdhsa_user_sgpr_count 2
		.amdhsa_user_sgpr_dispatch_ptr 0
		.amdhsa_user_sgpr_queue_ptr 0
		.amdhsa_user_sgpr_kernarg_segment_ptr 1
		.amdhsa_user_sgpr_dispatch_id 0
		.amdhsa_user_sgpr_kernarg_preload_length 0
		.amdhsa_user_sgpr_kernarg_preload_offset 0
		.amdhsa_user_sgpr_private_segment_size 0
		.amdhsa_wavefront_size32 1
		.amdhsa_uses_dynamic_stack 0
		.amdhsa_enable_private_segment 0
		.amdhsa_system_sgpr_workgroup_id_x 1
		.amdhsa_system_sgpr_workgroup_id_y 1
		.amdhsa_system_sgpr_workgroup_id_z 1
		.amdhsa_system_sgpr_workgroup_info 0
		.amdhsa_system_vgpr_workitem_id 1
		.amdhsa_next_free_vgpr 98
		.amdhsa_next_free_sgpr 60
		.amdhsa_named_barrier_count 0
		.amdhsa_reserve_vcc 1
		.amdhsa_float_round_mode_32 0
		.amdhsa_float_round_mode_16_64 0
		.amdhsa_float_denorm_mode_32 3
		.amdhsa_float_denorm_mode_16_64 3
		.amdhsa_fp16_overflow 0
		.amdhsa_memory_ordered 1
		.amdhsa_forward_progress 1
		.amdhsa_inst_pref_size 65
		.amdhsa_round_robin_scheduling 0
		.amdhsa_exception_fp_ieee_invalid_op 0
		.amdhsa_exception_fp_denorm_src 0
		.amdhsa_exception_fp_ieee_div_zero 0
		.amdhsa_exception_fp_ieee_overflow 0
		.amdhsa_exception_fp_ieee_underflow 0
		.amdhsa_exception_fp_ieee_inexact 0
		.amdhsa_exception_int_div_zero 0
	.end_amdhsa_kernel
	.section	.text._ZL30rocblas_trmm_outofplace_kernelI19rocblas_complex_numIdELi32ELi2ELb0ELb1ELb0ELb0EPKS1_S2_S1_Ev17rocblas_diagonal_iiT6_lPT7_lllS7_lllPT8_llli,"axG",@progbits,_ZL30rocblas_trmm_outofplace_kernelI19rocblas_complex_numIdELi32ELi2ELb0ELb1ELb0ELb0EPKS1_S2_S1_Ev17rocblas_diagonal_iiT6_lPT7_lllS7_lllPT8_llli,comdat
.Lfunc_end122:
	.size	_ZL30rocblas_trmm_outofplace_kernelI19rocblas_complex_numIdELi32ELi2ELb0ELb1ELb0ELb0EPKS1_S2_S1_Ev17rocblas_diagonal_iiT6_lPT7_lllS7_lllPT8_llli, .Lfunc_end122-_ZL30rocblas_trmm_outofplace_kernelI19rocblas_complex_numIdELi32ELi2ELb0ELb1ELb0ELb0EPKS1_S2_S1_Ev17rocblas_diagonal_iiT6_lPT7_lllS7_lllPT8_llli
                                        ; -- End function
	.set _ZL30rocblas_trmm_outofplace_kernelI19rocblas_complex_numIdELi32ELi2ELb0ELb1ELb0ELb0EPKS1_S2_S1_Ev17rocblas_diagonal_iiT6_lPT7_lllS7_lllPT8_llli.num_vgpr, 98
	.set _ZL30rocblas_trmm_outofplace_kernelI19rocblas_complex_numIdELi32ELi2ELb0ELb1ELb0ELb0EPKS1_S2_S1_Ev17rocblas_diagonal_iiT6_lPT7_lllS7_lllPT8_llli.num_agpr, 0
	.set _ZL30rocblas_trmm_outofplace_kernelI19rocblas_complex_numIdELi32ELi2ELb0ELb1ELb0ELb0EPKS1_S2_S1_Ev17rocblas_diagonal_iiT6_lPT7_lllS7_lllPT8_llli.numbered_sgpr, 60
	.set _ZL30rocblas_trmm_outofplace_kernelI19rocblas_complex_numIdELi32ELi2ELb0ELb1ELb0ELb0EPKS1_S2_S1_Ev17rocblas_diagonal_iiT6_lPT7_lllS7_lllPT8_llli.num_named_barrier, 0
	.set _ZL30rocblas_trmm_outofplace_kernelI19rocblas_complex_numIdELi32ELi2ELb0ELb1ELb0ELb0EPKS1_S2_S1_Ev17rocblas_diagonal_iiT6_lPT7_lllS7_lllPT8_llli.private_seg_size, 0
	.set _ZL30rocblas_trmm_outofplace_kernelI19rocblas_complex_numIdELi32ELi2ELb0ELb1ELb0ELb0EPKS1_S2_S1_Ev17rocblas_diagonal_iiT6_lPT7_lllS7_lllPT8_llli.uses_vcc, 1
	.set _ZL30rocblas_trmm_outofplace_kernelI19rocblas_complex_numIdELi32ELi2ELb0ELb1ELb0ELb0EPKS1_S2_S1_Ev17rocblas_diagonal_iiT6_lPT7_lllS7_lllPT8_llli.uses_flat_scratch, 0
	.set _ZL30rocblas_trmm_outofplace_kernelI19rocblas_complex_numIdELi32ELi2ELb0ELb1ELb0ELb0EPKS1_S2_S1_Ev17rocblas_diagonal_iiT6_lPT7_lllS7_lllPT8_llli.has_dyn_sized_stack, 0
	.set _ZL30rocblas_trmm_outofplace_kernelI19rocblas_complex_numIdELi32ELi2ELb0ELb1ELb0ELb0EPKS1_S2_S1_Ev17rocblas_diagonal_iiT6_lPT7_lllS7_lllPT8_llli.has_recursion, 0
	.set _ZL30rocblas_trmm_outofplace_kernelI19rocblas_complex_numIdELi32ELi2ELb0ELb1ELb0ELb0EPKS1_S2_S1_Ev17rocblas_diagonal_iiT6_lPT7_lllS7_lllPT8_llli.has_indirect_call, 0
	.section	.AMDGPU.csdata,"",@progbits
; Kernel info:
; codeLenInByte = 8304
; TotalNumSgprs: 62
; NumVgprs: 98
; ScratchSize: 0
; MemoryBound: 0
; FloatMode: 240
; IeeeMode: 1
; LDSByteSize: 32768 bytes/workgroup (compile time only)
; SGPRBlocks: 0
; VGPRBlocks: 6
; NumSGPRsForWavesPerEU: 62
; NumVGPRsForWavesPerEU: 98
; NamedBarCnt: 0
; Occupancy: 9
; WaveLimiterHint : 0
; COMPUTE_PGM_RSRC2:SCRATCH_EN: 0
; COMPUTE_PGM_RSRC2:USER_SGPR: 2
; COMPUTE_PGM_RSRC2:TRAP_HANDLER: 0
; COMPUTE_PGM_RSRC2:TGID_X_EN: 1
; COMPUTE_PGM_RSRC2:TGID_Y_EN: 1
; COMPUTE_PGM_RSRC2:TGID_Z_EN: 1
; COMPUTE_PGM_RSRC2:TIDIG_COMP_CNT: 1
	.section	.text._ZL30rocblas_trmm_outofplace_kernelI19rocblas_complex_numIdELi32ELi2ELb0ELb1ELb0ELb0ES1_KS1_S1_Ev17rocblas_diagonal_iiT6_lPT7_lllS6_lllPT8_llli,"axG",@progbits,_ZL30rocblas_trmm_outofplace_kernelI19rocblas_complex_numIdELi32ELi2ELb0ELb1ELb0ELb0ES1_KS1_S1_Ev17rocblas_diagonal_iiT6_lPT7_lllS6_lllPT8_llli,comdat
	.globl	_ZL30rocblas_trmm_outofplace_kernelI19rocblas_complex_numIdELi32ELi2ELb0ELb1ELb0ELb0ES1_KS1_S1_Ev17rocblas_diagonal_iiT6_lPT7_lllS6_lllPT8_llli ; -- Begin function _ZL30rocblas_trmm_outofplace_kernelI19rocblas_complex_numIdELi32ELi2ELb0ELb1ELb0ELb0ES1_KS1_S1_Ev17rocblas_diagonal_iiT6_lPT7_lllS6_lllPT8_llli
	.p2align	8
	.type	_ZL30rocblas_trmm_outofplace_kernelI19rocblas_complex_numIdELi32ELi2ELb0ELb1ELb0ELb0ES1_KS1_S1_Ev17rocblas_diagonal_iiT6_lPT7_lllS6_lllPT8_llli,@function
_ZL30rocblas_trmm_outofplace_kernelI19rocblas_complex_numIdELi32ELi2ELb0ELb1ELb0ELb0ES1_KS1_S1_Ev17rocblas_diagonal_iiT6_lPT7_lllS6_lllPT8_llli: ; @_ZL30rocblas_trmm_outofplace_kernelI19rocblas_complex_numIdELi32ELi2ELb0ELb1ELb0ELb0ES1_KS1_S1_Ev17rocblas_diagonal_iiT6_lPT7_lllS6_lllPT8_llli
; %bb.0:
	s_load_b32 s33, s[0:1], 0x88
	s_bfe_u32 s2, ttmp6, 0x40014
	s_lshr_b32 s3, ttmp7, 16
	s_add_co_i32 s2, s2, 1
	s_bfe_u32 s5, ttmp6, 0x40008
	s_mul_i32 s4, s3, s2
	s_getreg_b32 s2, hwreg(HW_REG_IB_STS2, 6, 4)
	s_add_co_i32 s5, s5, s4
	s_cmp_eq_u32 s2, 0
	s_cselect_b32 s34, s3, s5
	s_wait_kmcnt 0x0
	s_cmp_ge_u32 s34, s33
	s_cbranch_scc1 .LBB123_66
; %bb.1:
	s_load_b128 s[36:39], s[0:1], 0x10
	s_wait_kmcnt 0x0
	v_cmp_eq_f64_e64 s3, s[36:37], 0
	v_cmp_eq_f64_e64 s4, s[38:39], 0
	s_and_b32 s3, s3, s4
	s_delay_alu instid0(SALU_CYCLE_1)
	s_and_b32 vcc_lo, exec_lo, s3
	s_cbranch_vccnz .LBB123_66
; %bb.2:
	s_clause 0x1
	s_load_b96 s[40:42], s[0:1], 0x0
	s_load_b512 s[8:23], s[0:1], 0x28
	v_and_b32_e32 v16, 0x3ff, v0
	v_bfe_u32 v0, v0, 10, 10
	v_mov_b32_e32 v2, 0
	s_bfe_u32 s4, ttmp6, 0x4000c
	s_bfe_u32 s6, ttmp6, 0x40010
	s_and_b32 s5, ttmp7, 0xffff
	s_delay_alu instid0(VALU_DEP_1) | instskip(SKIP_4) | instid1(VALU_DEP_2)
	v_dual_mov_b32 v17, v2 :: v_dual_lshlrev_b32 v70, 9, v0
	v_dual_mov_b32 v1, v2 :: v_dual_lshlrev_b32 v18, 4, v16
	;; [unrolled: 1-line block ×3, first 2 shown]
	s_add_co_i32 s4, s4, 1
	s_add_co_i32 s6, s6, 1
	v_add_nc_u32_e32 v72, v70, v18
	s_and_b32 s3, ttmp6, 15
	v_add_nc_u64_e32 v[4:5], 0x100, v[4:5]
	s_bfe_u32 s7, ttmp6, 0x40004
	s_wait_kmcnt 0x0
	s_add_co_i32 s43, s42, -1
	v_mul_u64_e32 v[6:7], s[20:21], v[0:1]
	s_ashr_i32 s44, s43, 31
	s_mul_i32 s4, ttmp9, s4
	s_lshr_b32 s44, s44, 27
	v_mul_u64_e32 v[22:23], s[20:21], v[4:5]
	s_mul_i32 s6, s5, s6
	s_add_co_i32 s43, s43, s44
	s_load_b256 s[24:31], s[0:1], 0x68
	s_add_co_i32 s3, s3, s4
	s_add_co_i32 s7, s7, s6
	s_ashr_i32 s43, s43, 5
	s_cmp_eq_u32 s2, 0
	v_or_b32_e32 v71, 0x4000, v18
	s_cselect_b32 s2, ttmp9, s3
	s_cselect_b32 s50, s5, s7
	v_lshl_add_u32 v20, s2, 5, v16
	s_cmp_le_i32 s50, s43
	s_mov_b32 s2, s41
	s_cselect_b32 s51, -1, 0
	s_cmp_eq_u32 s40, 0x84
	v_dual_ashrrev_i32 v21, 31, v20 :: v_dual_add_nc_u32 v73, v71, v70
	s_cselect_b32 s52, -1, 0
	s_ashr_i32 s3, s41, 31
	s_lshl_b64 s[4:5], s[18:19], 4
	s_delay_alu instid0(VALU_DEP_1)
	v_sub_nc_u64_e32 v[8:9], s[2:3], v[20:21]
	s_add_nc_u64 s[4:5], s[16:17], s[4:5]
	v_dual_mov_b32 v3, 0x3ff00000 :: v_dual_add_nc_u32 v24, 16, v20
	v_lshl_add_u64 v[4:5], v[20:21], 4, s[4:5]
	s_add_nc_u64 s[48:49], s[0:1], 0x90
	s_wait_kmcnt 0x0
	s_lshl_b64 s[0:1], s[26:27], 4
	s_lshl_b64 s[46:47], s[20:21], 9
	s_add_nc_u64 s[20:21], s[24:25], s[0:1]
	v_cmp_gt_i64_e64 s0, 1, v[8:9]
	v_cmp_gt_i64_e64 s1, 17, v[8:9]
	v_sub_nc_u64_e32 v[26:27], 0, v[16:17]
	v_lshlrev_b64_e32 v[28:29], 4, v[6:7]
	v_add_nc_u64_e32 v[30:31], 0x100, v[4:5]
	s_lshl_b64 s[4:5], s[10:11], 4
	v_dual_mov_b32 v19, v2 :: v_dual_add_nc_u32 v74, 0x100, v72
	v_add_nc_u32_e32 v75, 0x2000, v72
	v_add_nc_u32_e32 v76, 0x2100, v72
	;; [unrolled: 1-line block ×5, first 2 shown]
	v_cmp_gt_i32_e64 s2, s41, v20
	v_cmp_gt_i32_e64 s3, s41, v24
	v_ashrrev_i32_e32 v25, 31, v24
	v_lshl_add_u32 v80, s50, 5, v0
	s_ashr_i32 s45, s42, 31
	s_mov_b32 s44, s42
	s_add_nc_u64 s[4:5], s[8:9], s[4:5]
	s_mov_b32 s35, 0
	s_add_nc_u64 s[24:25], s[44:45], -16
	s_lshl_b64 s[16:17], s[22:23], 4
	s_add_nc_u64 s[10:11], s[4:5], 0x100
	s_lshl_b64 s[14:15], s[14:15], 4
	s_lshl_b64 s[18:19], s[12:13], 4
	s_branch .LBB123_4
.LBB123_3:                              ;   in Loop: Header=BB123_4 Depth=1
	s_add_co_i32 s34, s34, 0x10000
	s_delay_alu instid0(SALU_CYCLE_1)
	s_cmp_ge_u32 s34, s33
	s_cbranch_scc1 .LBB123_66
.LBB123_4:                              ; =>This Loop Header: Depth=1
                                        ;     Child Loop BB123_7 Depth 2
                                        ;       Child Loop BB123_10 Depth 3
	s_and_not1_b32 vcc_lo, exec_lo, s51
	s_cbranch_vccnz .LBB123_3
; %bb.5:                                ;   in Loop: Header=BB123_4 Depth=1
	s_load_b32 s53, s[48:49], 0x4
	v_mad_nc_u64_u32 v[32:33], s16, s34, v[30:31]
	s_mul_u64 s[6:7], s[30:31], s[34:35]
	v_mov_b32_e32 v34, v80
	s_mul_u64 s[4:5], s[14:15], s[34:35]
	s_lshl_b64 s[6:7], s[6:7], 4
	s_add_nc_u64 s[22:23], s[10:11], s[4:5]
	s_add_nc_u64 s[26:27], s[20:21], s[6:7]
	s_mov_b32 s55, s50
	s_delay_alu instid0(VALU_DEP_2)
	v_mad_u32 v33, s17, s34, v33
	s_wait_kmcnt 0x0
	s_lshl_b32 s54, s53, 5
	s_branch .LBB123_7
.LBB123_6:                              ;   in Loop: Header=BB123_7 Depth=2
	s_wait_xcnt 0x0
	s_or_b32 exec_lo, exec_lo, s4
	v_add_nc_u32_e32 v34, s54, v34
	s_add_co_i32 s55, s53, s55
	s_delay_alu instid0(SALU_CYCLE_1)
	s_cmp_gt_i32 s55, s43
	s_cbranch_scc1 .LBB123_3
.LBB123_7:                              ;   Parent Loop BB123_4 Depth=1
                                        ; =>  This Loop Header: Depth=2
                                        ;       Child Loop BB123_10 Depth 3
	s_lshl_b32 s56, s55, 5
	v_mov_b64_e32 v[56:57], 0
	v_add_nc_u32_e32 v36, s56, v0
	v_mov_b64_e32 v[58:59], 0
	v_mov_b64_e32 v[52:53], 0
	;; [unrolled: 1-line block ×7, first 2 shown]
	v_ashrrev_i32_e32 v37, 31, v36
	s_cmp_lt_i32 s55, 0
	s_cbranch_scc1 .LBB123_58
; %bb.8:                                ;   in Loop: Header=BB123_7 Depth=2
	v_ashrrev_i32_e32 v35, 31, v34
	v_mad_nc_u64_u32 v[38:39], s18, v34, s[22:23]
	v_add_nc_u64_e32 v[42:43], 16, v[36:37]
	v_mov_b64_e32 v[60:61], 0
	v_mov_b64_e32 v[68:69], 0
	v_lshl_add_u64 v[4:5], v[34:35], 4, 0x100
	v_add_nc_u64_e32 v[44:45], v[26:27], v[34:35]
	v_mov_b64_e32 v[64:65], 0
	v_mov_b64_e32 v[66:67], 0
	v_mov_b64_e32 v[54:55], 0
	v_mad_nc_u64_u32 v[40:41], s12, v4, s[22:23]
	v_mov_b64_e32 v[52:53], 0
	v_mad_u32 v6, s19, v34, v39
	v_add_nc_u64_e32 v[46:47], 16, v[44:45]
	v_add_nc_u64_e32 v[48:49], -16, v[44:45]
	v_mov_b64_e32 v[58:59], 0
	v_mov_b64_e32 v[56:57], 0
	;; [unrolled: 1-line block ×3, first 2 shown]
	v_cmp_le_i32_e64 s4, s42, v36
	s_mov_b64 s[40:41], 0
	v_cmp_le_i64_e32 vcc_lo, s[44:45], v[42:43]
	v_mad_u32 v4, s13, v4, v41
	v_mad_u32 v39, s18, v35, v6
	s_delay_alu instid0(VALU_DEP_2)
	v_mad_u32 v41, s12, v5, v4
	s_branch .LBB123_10
.LBB123_9:                              ;   in Loop: Header=BB123_10 Depth=3
	s_or_b32 exec_lo, exec_lo, s5
	s_wait_dscnt 0x0
	s_barrier_signal -1
	s_barrier_wait -1
	ds_load_b128 v[82:85], v70
	ds_load_b128 v[12:15], v70 offset:16
	ds_load_b128 v[8:11], v70 offset:32
	;; [unrolled: 1-line block ×3, first 2 shown]
	ds_load_b128 v[86:89], v71
	v_add_nc_u64_e32 v[50:51], s[46:47], v[50:51]
	v_add_nc_u64_e32 v[40:41], 0x200, v[40:41]
	;; [unrolled: 1-line block ×3, first 2 shown]
	s_add_nc_u64 s[40:41], s[40:41], 32
	s_delay_alu instid0(SALU_CYCLE_1) | instskip(NEXT) | instid1(SALU_CYCLE_1)
	s_sub_co_i32 s5, s40, 32
	s_cmp_ge_i32 s5, s56
	s_wait_dscnt 0x0
	v_mul_f64_e32 v[62:63], v[84:85], v[88:89]
	v_mul_f64_e32 v[90:91], v[82:83], v[88:89]
	s_delay_alu instid0(VALU_DEP_2) | instskip(NEXT) | instid1(VALU_DEP_2)
	v_fma_f64 v[62:63], v[82:83], v[86:87], -v[62:63]
	v_fmac_f64_e32 v[90:91], v[84:85], v[86:87]
	s_delay_alu instid0(VALU_DEP_2) | instskip(NEXT) | instid1(VALU_DEP_2)
	v_add_f64_e32 v[62:63], v[56:57], v[62:63]
	v_add_f64_e32 v[90:91], v[90:91], v[58:59]
	ds_load_b128 v[56:59], v71 offset:256
	s_wait_dscnt 0x0
	v_mul_f64_e32 v[92:93], v[84:85], v[58:59]
	s_delay_alu instid0(VALU_DEP_1) | instskip(SKIP_1) | instid1(VALU_DEP_2)
	v_fma_f64 v[92:93], v[82:83], v[56:57], -v[92:93]
	v_mul_f64_e32 v[82:83], v[82:83], v[58:59]
	v_add_f64_e32 v[92:93], v[52:53], v[92:93]
	s_delay_alu instid0(VALU_DEP_2) | instskip(NEXT) | instid1(VALU_DEP_1)
	v_fmac_f64_e32 v[82:83], v[84:85], v[56:57]
	v_add_f64_e32 v[94:95], v[82:83], v[54:55]
	ds_load_b128 v[82:85], v70 offset:8192
	s_wait_dscnt 0x0
	v_mul_f64_e32 v[54:55], v[82:83], v[88:89]
	v_mul_f64_e32 v[52:53], v[84:85], v[88:89]
	s_delay_alu instid0(VALU_DEP_2) | instskip(NEXT) | instid1(VALU_DEP_2)
	v_fmac_f64_e32 v[54:55], v[84:85], v[86:87]
	v_fma_f64 v[52:53], v[82:83], v[86:87], -v[52:53]
	s_delay_alu instid0(VALU_DEP_2) | instskip(SKIP_2) | instid1(VALU_DEP_4)
	v_add_f64_e32 v[54:55], v[54:55], v[64:65]
	v_mul_f64_e32 v[64:65], v[84:85], v[58:59]
	v_mul_f64_e32 v[58:59], v[82:83], v[58:59]
	v_add_f64_e32 v[52:53], v[66:67], v[52:53]
	s_delay_alu instid0(VALU_DEP_3) | instskip(NEXT) | instid1(VALU_DEP_3)
	v_fma_f64 v[64:65], v[82:83], v[56:57], -v[64:65]
	v_fmac_f64_e32 v[58:59], v[84:85], v[56:57]
	ds_load_b128 v[82:85], v71 offset:768
	s_wait_dscnt 0x0
	v_mul_f64_e32 v[86:87], v[12:13], v[84:85]
	v_add_f64_e32 v[56:57], v[68:69], v[64:65]
	ds_load_b128 v[64:67], v71 offset:512
	v_add_f64_e32 v[58:59], v[58:59], v[60:61]
	s_wait_dscnt 0x0
	v_mul_f64_e32 v[60:61], v[14:15], v[66:67]
	v_mul_f64_e32 v[68:69], v[12:13], v[66:67]
	v_fmac_f64_e32 v[86:87], v[14:15], v[82:83]
	s_delay_alu instid0(VALU_DEP_3) | instskip(NEXT) | instid1(VALU_DEP_3)
	v_fma_f64 v[60:61], v[12:13], v[64:65], -v[60:61]
	v_fmac_f64_e32 v[68:69], v[14:15], v[64:65]
	s_delay_alu instid0(VALU_DEP_2) | instskip(NEXT) | instid1(VALU_DEP_2)
	v_add_f64_e32 v[60:61], v[62:63], v[60:61]
	v_add_f64_e32 v[62:63], v[68:69], v[90:91]
	v_mul_f64_e32 v[68:69], v[14:15], v[84:85]
	v_add_f64_e32 v[14:15], v[86:87], v[94:95]
	ds_load_b128 v[86:89], v70 offset:8208
	v_fma_f64 v[68:69], v[12:13], v[82:83], -v[68:69]
	s_delay_alu instid0(VALU_DEP_1) | instskip(SKIP_3) | instid1(VALU_DEP_2)
	v_add_f64_e32 v[12:13], v[92:93], v[68:69]
	s_wait_dscnt 0x0
	v_mul_f64_e32 v[68:69], v[88:89], v[66:67]
	v_mul_f64_e32 v[66:67], v[86:87], v[66:67]
	v_fma_f64 v[68:69], v[86:87], v[64:65], -v[68:69]
	s_delay_alu instid0(VALU_DEP_2) | instskip(NEXT) | instid1(VALU_DEP_2)
	v_fmac_f64_e32 v[66:67], v[88:89], v[64:65]
	v_add_f64_e32 v[64:65], v[52:53], v[68:69]
	s_delay_alu instid0(VALU_DEP_2) | instskip(SKIP_2) | instid1(VALU_DEP_2)
	v_add_f64_e32 v[66:67], v[66:67], v[54:55]
	v_mul_f64_e32 v[52:53], v[88:89], v[84:85]
	v_mul_f64_e32 v[54:55], v[86:87], v[84:85]
	v_fma_f64 v[52:53], v[86:87], v[82:83], -v[52:53]
	s_delay_alu instid0(VALU_DEP_2) | instskip(NEXT) | instid1(VALU_DEP_2)
	v_fmac_f64_e32 v[54:55], v[88:89], v[82:83]
	v_add_f64_e32 v[68:69], v[56:57], v[52:53]
	s_delay_alu instid0(VALU_DEP_2) | instskip(SKIP_4) | instid1(VALU_DEP_2)
	v_add_f64_e32 v[82:83], v[54:55], v[58:59]
	ds_load_b128 v[52:55], v71 offset:1024
	s_wait_dscnt 0x0
	v_mul_f64_e32 v[56:57], v[10:11], v[54:55]
	v_mul_f64_e32 v[58:59], v[8:9], v[54:55]
	v_fma_f64 v[56:57], v[8:9], v[52:53], -v[56:57]
	s_delay_alu instid0(VALU_DEP_2) | instskip(NEXT) | instid1(VALU_DEP_2)
	v_fmac_f64_e32 v[58:59], v[10:11], v[52:53]
	v_add_f64_e32 v[84:85], v[60:61], v[56:57]
	s_delay_alu instid0(VALU_DEP_2) | instskip(SKIP_3) | instid1(VALU_DEP_1)
	v_add_f64_e32 v[86:87], v[58:59], v[62:63]
	ds_load_b128 v[56:59], v71 offset:1280
	s_wait_dscnt 0x0
	v_mul_f64_e32 v[60:61], v[10:11], v[58:59]
	v_fma_f64 v[60:61], v[8:9], v[56:57], -v[60:61]
	v_mul_f64_e32 v[8:9], v[8:9], v[58:59]
	s_delay_alu instid0(VALU_DEP_2) | instskip(NEXT) | instid1(VALU_DEP_2)
	v_add_f64_e32 v[88:89], v[12:13], v[60:61]
	v_fmac_f64_e32 v[8:9], v[10:11], v[56:57]
	s_delay_alu instid0(VALU_DEP_1) | instskip(SKIP_4) | instid1(VALU_DEP_2)
	v_add_f64_e32 v[90:91], v[8:9], v[14:15]
	ds_load_b128 v[8:11], v70 offset:8224
	s_wait_dscnt 0x0
	v_mul_f64_e32 v[12:13], v[10:11], v[54:55]
	v_mul_f64_e32 v[14:15], v[8:9], v[54:55]
	v_fma_f64 v[12:13], v[8:9], v[52:53], -v[12:13]
	s_delay_alu instid0(VALU_DEP_2) | instskip(NEXT) | instid1(VALU_DEP_2)
	v_fmac_f64_e32 v[14:15], v[10:11], v[52:53]
	v_add_f64_e32 v[60:61], v[64:65], v[12:13]
	v_mul_f64_e32 v[12:13], v[10:11], v[58:59]
	s_delay_alu instid0(VALU_DEP_3) | instskip(NEXT) | instid1(VALU_DEP_2)
	v_add_f64_e32 v[62:63], v[14:15], v[66:67]
	v_fma_f64 v[12:13], v[8:9], v[56:57], -v[12:13]
	v_mul_f64_e32 v[8:9], v[8:9], v[58:59]
	s_delay_alu instid0(VALU_DEP_1) | instskip(NEXT) | instid1(VALU_DEP_3)
	v_fmac_f64_e32 v[8:9], v[10:11], v[56:57]
	v_add_f64_e32 v[56:57], v[68:69], v[12:13]
	ds_load_b128 v[12:15], v71 offset:1536
	s_wait_dscnt 0x0
	v_mul_f64_e32 v[10:11], v[4:5], v[14:15]
	v_add_f64_e32 v[58:59], v[8:9], v[82:83]
	v_mul_f64_e32 v[8:9], v[6:7], v[14:15]
	s_delay_alu instid0(VALU_DEP_3) | instskip(NEXT) | instid1(VALU_DEP_2)
	v_fmac_f64_e32 v[10:11], v[6:7], v[12:13]
	v_fma_f64 v[8:9], v[4:5], v[12:13], -v[8:9]
	s_delay_alu instid0(VALU_DEP_2) | instskip(NEXT) | instid1(VALU_DEP_2)
	v_add_f64_e32 v[54:55], v[10:11], v[86:87]
	v_add_f64_e32 v[52:53], v[84:85], v[8:9]
	ds_load_b128 v[8:11], v71 offset:1792
	s_wait_dscnt 0x0
	v_mul_f64_e32 v[64:65], v[6:7], v[10:11]
	v_mul_f64_e32 v[66:67], v[4:5], v[10:11]
	s_delay_alu instid0(VALU_DEP_2) | instskip(NEXT) | instid1(VALU_DEP_2)
	v_fma_f64 v[64:65], v[4:5], v[8:9], -v[64:65]
	v_fmac_f64_e32 v[66:67], v[6:7], v[8:9]
	s_delay_alu instid0(VALU_DEP_2) | instskip(NEXT) | instid1(VALU_DEP_2)
	v_add_f64_e32 v[4:5], v[88:89], v[64:65]
	v_add_f64_e32 v[6:7], v[66:67], v[90:91]
	ds_load_b128 v[64:67], v70 offset:8240
	s_wait_dscnt 0x0
	v_mul_f64_e32 v[68:69], v[66:67], v[14:15]
	v_mul_f64_e32 v[14:15], v[64:65], v[14:15]
	s_delay_alu instid0(VALU_DEP_2) | instskip(NEXT) | instid1(VALU_DEP_2)
	v_fma_f64 v[68:69], v[64:65], v[12:13], -v[68:69]
	v_fmac_f64_e32 v[14:15], v[66:67], v[12:13]
	v_mul_f64_e32 v[12:13], v[66:67], v[10:11]
	v_mul_f64_e32 v[10:11], v[64:65], v[10:11]
	s_delay_alu instid0(VALU_DEP_4) | instskip(NEXT) | instid1(VALU_DEP_4)
	v_add_f64_e32 v[60:61], v[60:61], v[68:69]
	v_add_f64_e32 v[62:63], v[14:15], v[62:63]
	s_delay_alu instid0(VALU_DEP_4) | instskip(NEXT) | instid1(VALU_DEP_4)
	v_fma_f64 v[12:13], v[64:65], v[8:9], -v[12:13]
	v_fmac_f64_e32 v[10:11], v[66:67], v[8:9]
	s_delay_alu instid0(VALU_DEP_2) | instskip(NEXT) | instid1(VALU_DEP_2)
	v_add_f64_e32 v[56:57], v[56:57], v[12:13]
	v_add_f64_e32 v[58:59], v[10:11], v[58:59]
	ds_load_b128 v[8:11], v70 offset:64
	ds_load_b128 v[12:15], v71 offset:2048
	s_wait_dscnt 0x0
	v_mul_f64_e32 v[64:65], v[10:11], v[14:15]
	v_mul_f64_e32 v[66:67], v[8:9], v[14:15]
	s_delay_alu instid0(VALU_DEP_2) | instskip(NEXT) | instid1(VALU_DEP_2)
	v_fma_f64 v[64:65], v[8:9], v[12:13], -v[64:65]
	v_fmac_f64_e32 v[66:67], v[10:11], v[12:13]
	s_delay_alu instid0(VALU_DEP_2) | instskip(NEXT) | instid1(VALU_DEP_2)
	v_add_f64_e32 v[64:65], v[52:53], v[64:65]
	v_add_f64_e32 v[66:67], v[66:67], v[54:55]
	ds_load_b128 v[52:55], v71 offset:2304
	s_wait_dscnt 0x0
	v_mul_f64_e32 v[68:69], v[10:11], v[54:55]
	s_delay_alu instid0(VALU_DEP_1) | instskip(SKIP_1) | instid1(VALU_DEP_2)
	v_fma_f64 v[68:69], v[8:9], v[52:53], -v[68:69]
	v_mul_f64_e32 v[8:9], v[8:9], v[54:55]
	v_add_f64_e32 v[68:69], v[4:5], v[68:69]
	s_delay_alu instid0(VALU_DEP_2) | instskip(NEXT) | instid1(VALU_DEP_1)
	v_fmac_f64_e32 v[8:9], v[10:11], v[52:53]
	v_add_f64_e32 v[82:83], v[8:9], v[6:7]
	ds_load_b128 v[4:7], v70 offset:8256
	s_wait_dscnt 0x0
	v_mul_f64_e32 v[8:9], v[6:7], v[14:15]
	v_mul_f64_e32 v[10:11], v[4:5], v[14:15]
	s_delay_alu instid0(VALU_DEP_2) | instskip(NEXT) | instid1(VALU_DEP_2)
	v_fma_f64 v[8:9], v[4:5], v[12:13], -v[8:9]
	v_fmac_f64_e32 v[10:11], v[6:7], v[12:13]
	s_delay_alu instid0(VALU_DEP_2) | instskip(SKIP_1) | instid1(VALU_DEP_3)
	v_add_f64_e32 v[12:13], v[60:61], v[8:9]
	v_mul_f64_e32 v[8:9], v[6:7], v[54:55]
	v_add_f64_e32 v[14:15], v[10:11], v[62:63]
	s_delay_alu instid0(VALU_DEP_2) | instskip(SKIP_1) | instid1(VALU_DEP_2)
	v_fma_f64 v[8:9], v[4:5], v[52:53], -v[8:9]
	v_mul_f64_e32 v[4:5], v[4:5], v[54:55]
	v_add_f64_e32 v[8:9], v[56:57], v[8:9]
	s_delay_alu instid0(VALU_DEP_2)
	v_fmac_f64_e32 v[4:5], v[6:7], v[52:53]
	ds_load_b128 v[52:55], v70 offset:80
	ds_load_b128 v[60:63], v71 offset:2560
	s_wait_dscnt 0x0
	v_mul_f64_e32 v[6:7], v[52:53], v[62:63]
	v_add_f64_e32 v[10:11], v[4:5], v[58:59]
	v_mul_f64_e32 v[4:5], v[54:55], v[62:63]
	s_delay_alu instid0(VALU_DEP_3) | instskip(NEXT) | instid1(VALU_DEP_2)
	v_fmac_f64_e32 v[6:7], v[54:55], v[60:61]
	v_fma_f64 v[4:5], v[52:53], v[60:61], -v[4:5]
	s_delay_alu instid0(VALU_DEP_2) | instskip(NEXT) | instid1(VALU_DEP_2)
	v_add_f64_e32 v[58:59], v[6:7], v[66:67]
	v_add_f64_e32 v[56:57], v[64:65], v[4:5]
	ds_load_b128 v[4:7], v71 offset:2816
	s_wait_dscnt 0x0
	v_mul_f64_e32 v[64:65], v[54:55], v[6:7]
	v_mul_f64_e32 v[66:67], v[52:53], v[6:7]
	s_delay_alu instid0(VALU_DEP_2) | instskip(NEXT) | instid1(VALU_DEP_2)
	v_fma_f64 v[64:65], v[52:53], v[4:5], -v[64:65]
	v_fmac_f64_e32 v[66:67], v[54:55], v[4:5]
	s_delay_alu instid0(VALU_DEP_2) | instskip(NEXT) | instid1(VALU_DEP_2)
	v_add_f64_e32 v[52:53], v[68:69], v[64:65]
	v_add_f64_e32 v[54:55], v[66:67], v[82:83]
	ds_load_b128 v[64:67], v70 offset:8272
	s_wait_dscnt 0x0
	v_mul_f64_e32 v[68:69], v[66:67], v[62:63]
	v_mul_f64_e32 v[62:63], v[64:65], v[62:63]
	s_delay_alu instid0(VALU_DEP_2) | instskip(NEXT) | instid1(VALU_DEP_2)
	v_fma_f64 v[68:69], v[64:65], v[60:61], -v[68:69]
	v_fmac_f64_e32 v[62:63], v[66:67], v[60:61]
	v_mul_f64_e32 v[60:61], v[66:67], v[6:7]
	v_mul_f64_e32 v[6:7], v[64:65], v[6:7]
	s_delay_alu instid0(VALU_DEP_4) | instskip(NEXT) | instid1(VALU_DEP_4)
	v_add_f64_e32 v[12:13], v[12:13], v[68:69]
	v_add_f64_e32 v[14:15], v[62:63], v[14:15]
	s_delay_alu instid0(VALU_DEP_4) | instskip(NEXT) | instid1(VALU_DEP_4)
	v_fma_f64 v[60:61], v[64:65], v[4:5], -v[60:61]
	v_fmac_f64_e32 v[6:7], v[66:67], v[4:5]
	s_delay_alu instid0(VALU_DEP_2) | instskip(NEXT) | instid1(VALU_DEP_2)
	v_add_f64_e32 v[60:61], v[8:9], v[60:61]
	v_add_f64_e32 v[62:63], v[6:7], v[10:11]
	ds_load_b128 v[4:7], v70 offset:96
	ds_load_b128 v[8:11], v71 offset:3072
	s_wait_dscnt 0x0
	v_mul_f64_e32 v[64:65], v[6:7], v[10:11]
	v_mul_f64_e32 v[66:67], v[4:5], v[10:11]
	s_delay_alu instid0(VALU_DEP_2) | instskip(NEXT) | instid1(VALU_DEP_2)
	v_fma_f64 v[64:65], v[4:5], v[8:9], -v[64:65]
	v_fmac_f64_e32 v[66:67], v[6:7], v[8:9]
	s_delay_alu instid0(VALU_DEP_2) | instskip(NEXT) | instid1(VALU_DEP_2)
	v_add_f64_e32 v[64:65], v[56:57], v[64:65]
	v_add_f64_e32 v[66:67], v[66:67], v[58:59]
	ds_load_b128 v[56:59], v71 offset:3328
	s_wait_dscnt 0x0
	v_mul_f64_e32 v[68:69], v[6:7], v[58:59]
	s_delay_alu instid0(VALU_DEP_1) | instskip(SKIP_1) | instid1(VALU_DEP_2)
	v_fma_f64 v[68:69], v[4:5], v[56:57], -v[68:69]
	v_mul_f64_e32 v[4:5], v[4:5], v[58:59]
	v_add_f64_e32 v[68:69], v[52:53], v[68:69]
	s_delay_alu instid0(VALU_DEP_2) | instskip(NEXT) | instid1(VALU_DEP_1)
	v_fmac_f64_e32 v[4:5], v[6:7], v[56:57]
	v_add_f64_e32 v[82:83], v[4:5], v[54:55]
	ds_load_b128 v[4:7], v70 offset:8288
	s_wait_dscnt 0x0
	v_mul_f64_e32 v[52:53], v[6:7], v[10:11]
	v_mul_f64_e32 v[10:11], v[4:5], v[10:11]
	s_delay_alu instid0(VALU_DEP_2) | instskip(NEXT) | instid1(VALU_DEP_2)
	v_fma_f64 v[52:53], v[4:5], v[8:9], -v[52:53]
	v_fmac_f64_e32 v[10:11], v[6:7], v[8:9]
	v_mul_f64_e32 v[8:9], v[6:7], v[58:59]
	s_delay_alu instid0(VALU_DEP_3) | instskip(NEXT) | instid1(VALU_DEP_3)
	v_add_f64_e32 v[12:13], v[12:13], v[52:53]
	v_add_f64_e32 v[14:15], v[10:11], v[14:15]
	s_delay_alu instid0(VALU_DEP_3) | instskip(SKIP_1) | instid1(VALU_DEP_2)
	v_fma_f64 v[8:9], v[4:5], v[56:57], -v[8:9]
	v_mul_f64_e32 v[4:5], v[4:5], v[58:59]
	v_add_f64_e32 v[8:9], v[60:61], v[8:9]
	s_delay_alu instid0(VALU_DEP_2) | instskip(NEXT) | instid1(VALU_DEP_1)
	v_fmac_f64_e32 v[4:5], v[6:7], v[56:57]
	v_add_f64_e32 v[10:11], v[4:5], v[62:63]
	ds_load_b128 v[52:55], v70 offset:112
	ds_load_b128 v[60:63], v71 offset:3584
	s_wait_dscnt 0x0
	v_mul_f64_e32 v[4:5], v[54:55], v[62:63]
	v_mul_f64_e32 v[6:7], v[52:53], v[62:63]
	s_delay_alu instid0(VALU_DEP_2) | instskip(NEXT) | instid1(VALU_DEP_2)
	v_fma_f64 v[4:5], v[52:53], v[60:61], -v[4:5]
	v_fmac_f64_e32 v[6:7], v[54:55], v[60:61]
	s_delay_alu instid0(VALU_DEP_2) | instskip(NEXT) | instid1(VALU_DEP_2)
	v_add_f64_e32 v[56:57], v[64:65], v[4:5]
	v_add_f64_e32 v[58:59], v[6:7], v[66:67]
	ds_load_b128 v[4:7], v71 offset:3840
	s_wait_dscnt 0x0
	v_mul_f64_e32 v[64:65], v[54:55], v[6:7]
	v_mul_f64_e32 v[66:67], v[52:53], v[6:7]
	s_delay_alu instid0(VALU_DEP_2) | instskip(NEXT) | instid1(VALU_DEP_2)
	v_fma_f64 v[64:65], v[52:53], v[4:5], -v[64:65]
	v_fmac_f64_e32 v[66:67], v[54:55], v[4:5]
	s_delay_alu instid0(VALU_DEP_2) | instskip(NEXT) | instid1(VALU_DEP_2)
	v_add_f64_e32 v[52:53], v[68:69], v[64:65]
	v_add_f64_e32 v[54:55], v[66:67], v[82:83]
	ds_load_b128 v[64:67], v70 offset:8304
	s_wait_dscnt 0x0
	v_mul_f64_e32 v[68:69], v[66:67], v[62:63]
	v_mul_f64_e32 v[62:63], v[64:65], v[62:63]
	s_delay_alu instid0(VALU_DEP_2) | instskip(NEXT) | instid1(VALU_DEP_2)
	v_fma_f64 v[68:69], v[64:65], v[60:61], -v[68:69]
	v_fmac_f64_e32 v[62:63], v[66:67], v[60:61]
	v_mul_f64_e32 v[60:61], v[66:67], v[6:7]
	v_mul_f64_e32 v[6:7], v[64:65], v[6:7]
	s_delay_alu instid0(VALU_DEP_4) | instskip(NEXT) | instid1(VALU_DEP_4)
	v_add_f64_e32 v[12:13], v[12:13], v[68:69]
	v_add_f64_e32 v[14:15], v[62:63], v[14:15]
	s_delay_alu instid0(VALU_DEP_4) | instskip(NEXT) | instid1(VALU_DEP_4)
	v_fma_f64 v[60:61], v[64:65], v[4:5], -v[60:61]
	v_fmac_f64_e32 v[6:7], v[66:67], v[4:5]
	s_delay_alu instid0(VALU_DEP_2) | instskip(NEXT) | instid1(VALU_DEP_2)
	v_add_f64_e32 v[60:61], v[8:9], v[60:61]
	v_add_f64_e32 v[62:63], v[6:7], v[10:11]
	ds_load_b128 v[4:7], v70 offset:128
	ds_load_b128 v[8:11], v71 offset:4096
	s_wait_dscnt 0x0
	v_mul_f64_e32 v[64:65], v[6:7], v[10:11]
	v_mul_f64_e32 v[66:67], v[4:5], v[10:11]
	s_delay_alu instid0(VALU_DEP_2) | instskip(NEXT) | instid1(VALU_DEP_2)
	v_fma_f64 v[64:65], v[4:5], v[8:9], -v[64:65]
	v_fmac_f64_e32 v[66:67], v[6:7], v[8:9]
	s_delay_alu instid0(VALU_DEP_2) | instskip(NEXT) | instid1(VALU_DEP_2)
	v_add_f64_e32 v[64:65], v[56:57], v[64:65]
	v_add_f64_e32 v[66:67], v[66:67], v[58:59]
	ds_load_b128 v[56:59], v71 offset:4352
	s_wait_dscnt 0x0
	v_mul_f64_e32 v[68:69], v[6:7], v[58:59]
	s_delay_alu instid0(VALU_DEP_1) | instskip(SKIP_1) | instid1(VALU_DEP_2)
	v_fma_f64 v[68:69], v[4:5], v[56:57], -v[68:69]
	v_mul_f64_e32 v[4:5], v[4:5], v[58:59]
	v_add_f64_e32 v[68:69], v[52:53], v[68:69]
	s_delay_alu instid0(VALU_DEP_2) | instskip(NEXT) | instid1(VALU_DEP_1)
	v_fmac_f64_e32 v[4:5], v[6:7], v[56:57]
	v_add_f64_e32 v[82:83], v[4:5], v[54:55]
	ds_load_b128 v[4:7], v70 offset:8320
	s_wait_dscnt 0x0
	v_mul_f64_e32 v[52:53], v[6:7], v[10:11]
	v_mul_f64_e32 v[10:11], v[4:5], v[10:11]
	s_delay_alu instid0(VALU_DEP_2) | instskip(NEXT) | instid1(VALU_DEP_2)
	v_fma_f64 v[52:53], v[4:5], v[8:9], -v[52:53]
	v_fmac_f64_e32 v[10:11], v[6:7], v[8:9]
	v_mul_f64_e32 v[8:9], v[6:7], v[58:59]
	s_delay_alu instid0(VALU_DEP_3) | instskip(NEXT) | instid1(VALU_DEP_3)
	v_add_f64_e32 v[12:13], v[12:13], v[52:53]
	v_add_f64_e32 v[14:15], v[10:11], v[14:15]
	s_delay_alu instid0(VALU_DEP_3) | instskip(SKIP_1) | instid1(VALU_DEP_2)
	v_fma_f64 v[8:9], v[4:5], v[56:57], -v[8:9]
	v_mul_f64_e32 v[4:5], v[4:5], v[58:59]
	v_add_f64_e32 v[8:9], v[60:61], v[8:9]
	s_delay_alu instid0(VALU_DEP_2) | instskip(NEXT) | instid1(VALU_DEP_1)
	v_fmac_f64_e32 v[4:5], v[6:7], v[56:57]
	v_add_f64_e32 v[10:11], v[4:5], v[62:63]
	ds_load_b128 v[52:55], v70 offset:144
	ds_load_b128 v[60:63], v71 offset:4608
	s_wait_dscnt 0x0
	v_mul_f64_e32 v[4:5], v[54:55], v[62:63]
	v_mul_f64_e32 v[6:7], v[52:53], v[62:63]
	s_delay_alu instid0(VALU_DEP_2) | instskip(NEXT) | instid1(VALU_DEP_2)
	v_fma_f64 v[4:5], v[52:53], v[60:61], -v[4:5]
	v_fmac_f64_e32 v[6:7], v[54:55], v[60:61]
	s_delay_alu instid0(VALU_DEP_2) | instskip(NEXT) | instid1(VALU_DEP_2)
	v_add_f64_e32 v[56:57], v[64:65], v[4:5]
	v_add_f64_e32 v[58:59], v[6:7], v[66:67]
	ds_load_b128 v[4:7], v71 offset:4864
	s_wait_dscnt 0x0
	v_mul_f64_e32 v[64:65], v[54:55], v[6:7]
	v_mul_f64_e32 v[66:67], v[52:53], v[6:7]
	s_delay_alu instid0(VALU_DEP_2) | instskip(NEXT) | instid1(VALU_DEP_2)
	v_fma_f64 v[64:65], v[52:53], v[4:5], -v[64:65]
	v_fmac_f64_e32 v[66:67], v[54:55], v[4:5]
	s_delay_alu instid0(VALU_DEP_2) | instskip(NEXT) | instid1(VALU_DEP_2)
	v_add_f64_e32 v[52:53], v[68:69], v[64:65]
	v_add_f64_e32 v[54:55], v[66:67], v[82:83]
	ds_load_b128 v[64:67], v70 offset:8336
	s_wait_dscnt 0x0
	v_mul_f64_e32 v[68:69], v[66:67], v[62:63]
	v_mul_f64_e32 v[62:63], v[64:65], v[62:63]
	s_delay_alu instid0(VALU_DEP_2) | instskip(NEXT) | instid1(VALU_DEP_2)
	v_fma_f64 v[68:69], v[64:65], v[60:61], -v[68:69]
	v_fmac_f64_e32 v[62:63], v[66:67], v[60:61]
	v_mul_f64_e32 v[60:61], v[66:67], v[6:7]
	v_mul_f64_e32 v[6:7], v[64:65], v[6:7]
	s_delay_alu instid0(VALU_DEP_4) | instskip(NEXT) | instid1(VALU_DEP_4)
	v_add_f64_e32 v[12:13], v[12:13], v[68:69]
	v_add_f64_e32 v[14:15], v[62:63], v[14:15]
	s_delay_alu instid0(VALU_DEP_4) | instskip(NEXT) | instid1(VALU_DEP_4)
	v_fma_f64 v[60:61], v[64:65], v[4:5], -v[60:61]
	v_fmac_f64_e32 v[6:7], v[66:67], v[4:5]
	s_delay_alu instid0(VALU_DEP_2) | instskip(NEXT) | instid1(VALU_DEP_2)
	v_add_f64_e32 v[60:61], v[8:9], v[60:61]
	v_add_f64_e32 v[62:63], v[6:7], v[10:11]
	ds_load_b128 v[4:7], v70 offset:160
	ds_load_b128 v[8:11], v71 offset:5120
	s_wait_dscnt 0x0
	v_mul_f64_e32 v[64:65], v[6:7], v[10:11]
	v_mul_f64_e32 v[66:67], v[4:5], v[10:11]
	s_delay_alu instid0(VALU_DEP_2) | instskip(NEXT) | instid1(VALU_DEP_2)
	v_fma_f64 v[64:65], v[4:5], v[8:9], -v[64:65]
	v_fmac_f64_e32 v[66:67], v[6:7], v[8:9]
	s_delay_alu instid0(VALU_DEP_2) | instskip(NEXT) | instid1(VALU_DEP_2)
	v_add_f64_e32 v[64:65], v[56:57], v[64:65]
	v_add_f64_e32 v[66:67], v[66:67], v[58:59]
	ds_load_b128 v[56:59], v71 offset:5376
	s_wait_dscnt 0x0
	v_mul_f64_e32 v[68:69], v[6:7], v[58:59]
	s_delay_alu instid0(VALU_DEP_1) | instskip(SKIP_1) | instid1(VALU_DEP_2)
	v_fma_f64 v[68:69], v[4:5], v[56:57], -v[68:69]
	v_mul_f64_e32 v[4:5], v[4:5], v[58:59]
	v_add_f64_e32 v[68:69], v[52:53], v[68:69]
	s_delay_alu instid0(VALU_DEP_2) | instskip(NEXT) | instid1(VALU_DEP_1)
	v_fmac_f64_e32 v[4:5], v[6:7], v[56:57]
	v_add_f64_e32 v[82:83], v[4:5], v[54:55]
	ds_load_b128 v[4:7], v70 offset:8352
	s_wait_dscnt 0x0
	v_mul_f64_e32 v[52:53], v[6:7], v[10:11]
	v_mul_f64_e32 v[10:11], v[4:5], v[10:11]
	s_delay_alu instid0(VALU_DEP_2) | instskip(NEXT) | instid1(VALU_DEP_2)
	v_fma_f64 v[52:53], v[4:5], v[8:9], -v[52:53]
	v_fmac_f64_e32 v[10:11], v[6:7], v[8:9]
	v_mul_f64_e32 v[8:9], v[6:7], v[58:59]
	s_delay_alu instid0(VALU_DEP_3) | instskip(NEXT) | instid1(VALU_DEP_3)
	v_add_f64_e32 v[12:13], v[12:13], v[52:53]
	v_add_f64_e32 v[14:15], v[10:11], v[14:15]
	s_delay_alu instid0(VALU_DEP_3) | instskip(SKIP_1) | instid1(VALU_DEP_2)
	v_fma_f64 v[8:9], v[4:5], v[56:57], -v[8:9]
	v_mul_f64_e32 v[4:5], v[4:5], v[58:59]
	v_add_f64_e32 v[8:9], v[60:61], v[8:9]
	s_delay_alu instid0(VALU_DEP_2) | instskip(NEXT) | instid1(VALU_DEP_1)
	v_fmac_f64_e32 v[4:5], v[6:7], v[56:57]
	v_add_f64_e32 v[10:11], v[4:5], v[62:63]
	ds_load_b128 v[52:55], v70 offset:176
	ds_load_b128 v[60:63], v71 offset:5632
	s_wait_dscnt 0x0
	v_mul_f64_e32 v[4:5], v[54:55], v[62:63]
	v_mul_f64_e32 v[6:7], v[52:53], v[62:63]
	s_delay_alu instid0(VALU_DEP_2) | instskip(NEXT) | instid1(VALU_DEP_2)
	v_fma_f64 v[4:5], v[52:53], v[60:61], -v[4:5]
	v_fmac_f64_e32 v[6:7], v[54:55], v[60:61]
	s_delay_alu instid0(VALU_DEP_2) | instskip(NEXT) | instid1(VALU_DEP_2)
	v_add_f64_e32 v[56:57], v[64:65], v[4:5]
	v_add_f64_e32 v[58:59], v[6:7], v[66:67]
	ds_load_b128 v[4:7], v71 offset:5888
	s_wait_dscnt 0x0
	v_mul_f64_e32 v[64:65], v[54:55], v[6:7]
	v_mul_f64_e32 v[66:67], v[52:53], v[6:7]
	s_delay_alu instid0(VALU_DEP_2) | instskip(NEXT) | instid1(VALU_DEP_2)
	v_fma_f64 v[64:65], v[52:53], v[4:5], -v[64:65]
	v_fmac_f64_e32 v[66:67], v[54:55], v[4:5]
	s_delay_alu instid0(VALU_DEP_2) | instskip(NEXT) | instid1(VALU_DEP_2)
	v_add_f64_e32 v[52:53], v[68:69], v[64:65]
	v_add_f64_e32 v[54:55], v[66:67], v[82:83]
	ds_load_b128 v[64:67], v70 offset:8368
	s_wait_dscnt 0x0
	v_mul_f64_e32 v[68:69], v[66:67], v[62:63]
	v_mul_f64_e32 v[62:63], v[64:65], v[62:63]
	s_delay_alu instid0(VALU_DEP_2) | instskip(NEXT) | instid1(VALU_DEP_2)
	v_fma_f64 v[68:69], v[64:65], v[60:61], -v[68:69]
	v_fmac_f64_e32 v[62:63], v[66:67], v[60:61]
	v_mul_f64_e32 v[60:61], v[66:67], v[6:7]
	v_mul_f64_e32 v[6:7], v[64:65], v[6:7]
	s_delay_alu instid0(VALU_DEP_4) | instskip(NEXT) | instid1(VALU_DEP_4)
	v_add_f64_e32 v[12:13], v[12:13], v[68:69]
	v_add_f64_e32 v[14:15], v[62:63], v[14:15]
	s_delay_alu instid0(VALU_DEP_4) | instskip(NEXT) | instid1(VALU_DEP_4)
	v_fma_f64 v[60:61], v[64:65], v[4:5], -v[60:61]
	v_fmac_f64_e32 v[6:7], v[66:67], v[4:5]
	s_delay_alu instid0(VALU_DEP_2) | instskip(NEXT) | instid1(VALU_DEP_2)
	v_add_f64_e32 v[60:61], v[8:9], v[60:61]
	v_add_f64_e32 v[62:63], v[6:7], v[10:11]
	ds_load_b128 v[4:7], v70 offset:192
	ds_load_b128 v[8:11], v71 offset:6144
	s_wait_dscnt 0x0
	v_mul_f64_e32 v[64:65], v[6:7], v[10:11]
	v_mul_f64_e32 v[66:67], v[4:5], v[10:11]
	s_delay_alu instid0(VALU_DEP_2) | instskip(NEXT) | instid1(VALU_DEP_2)
	v_fma_f64 v[64:65], v[4:5], v[8:9], -v[64:65]
	v_fmac_f64_e32 v[66:67], v[6:7], v[8:9]
	s_delay_alu instid0(VALU_DEP_2) | instskip(NEXT) | instid1(VALU_DEP_2)
	v_add_f64_e32 v[64:65], v[56:57], v[64:65]
	v_add_f64_e32 v[66:67], v[66:67], v[58:59]
	ds_load_b128 v[56:59], v71 offset:6400
	s_wait_dscnt 0x0
	v_mul_f64_e32 v[68:69], v[6:7], v[58:59]
	s_delay_alu instid0(VALU_DEP_1) | instskip(SKIP_1) | instid1(VALU_DEP_2)
	v_fma_f64 v[68:69], v[4:5], v[56:57], -v[68:69]
	v_mul_f64_e32 v[4:5], v[4:5], v[58:59]
	v_add_f64_e32 v[68:69], v[52:53], v[68:69]
	s_delay_alu instid0(VALU_DEP_2) | instskip(NEXT) | instid1(VALU_DEP_1)
	v_fmac_f64_e32 v[4:5], v[6:7], v[56:57]
	v_add_f64_e32 v[82:83], v[4:5], v[54:55]
	ds_load_b128 v[4:7], v70 offset:8384
	s_wait_dscnt 0x0
	v_mul_f64_e32 v[52:53], v[6:7], v[10:11]
	v_mul_f64_e32 v[10:11], v[4:5], v[10:11]
	s_delay_alu instid0(VALU_DEP_2) | instskip(NEXT) | instid1(VALU_DEP_2)
	v_fma_f64 v[52:53], v[4:5], v[8:9], -v[52:53]
	v_fmac_f64_e32 v[10:11], v[6:7], v[8:9]
	v_mul_f64_e32 v[8:9], v[6:7], v[58:59]
	s_delay_alu instid0(VALU_DEP_3) | instskip(NEXT) | instid1(VALU_DEP_3)
	v_add_f64_e32 v[12:13], v[12:13], v[52:53]
	v_add_f64_e32 v[14:15], v[10:11], v[14:15]
	s_delay_alu instid0(VALU_DEP_3) | instskip(SKIP_1) | instid1(VALU_DEP_2)
	v_fma_f64 v[8:9], v[4:5], v[56:57], -v[8:9]
	v_mul_f64_e32 v[4:5], v[4:5], v[58:59]
	v_add_f64_e32 v[8:9], v[60:61], v[8:9]
	s_delay_alu instid0(VALU_DEP_2) | instskip(NEXT) | instid1(VALU_DEP_1)
	v_fmac_f64_e32 v[4:5], v[6:7], v[56:57]
	v_add_f64_e32 v[10:11], v[4:5], v[62:63]
	ds_load_b128 v[52:55], v70 offset:208
	ds_load_b128 v[60:63], v71 offset:6656
	s_wait_dscnt 0x0
	v_mul_f64_e32 v[4:5], v[54:55], v[62:63]
	v_mul_f64_e32 v[6:7], v[52:53], v[62:63]
	s_delay_alu instid0(VALU_DEP_2) | instskip(NEXT) | instid1(VALU_DEP_2)
	v_fma_f64 v[4:5], v[52:53], v[60:61], -v[4:5]
	v_fmac_f64_e32 v[6:7], v[54:55], v[60:61]
	s_delay_alu instid0(VALU_DEP_2) | instskip(NEXT) | instid1(VALU_DEP_2)
	v_add_f64_e32 v[56:57], v[64:65], v[4:5]
	v_add_f64_e32 v[58:59], v[6:7], v[66:67]
	ds_load_b128 v[4:7], v71 offset:6912
	s_wait_dscnt 0x0
	v_mul_f64_e32 v[64:65], v[54:55], v[6:7]
	v_mul_f64_e32 v[66:67], v[52:53], v[6:7]
	s_delay_alu instid0(VALU_DEP_2) | instskip(NEXT) | instid1(VALU_DEP_2)
	v_fma_f64 v[64:65], v[52:53], v[4:5], -v[64:65]
	v_fmac_f64_e32 v[66:67], v[54:55], v[4:5]
	s_delay_alu instid0(VALU_DEP_2) | instskip(NEXT) | instid1(VALU_DEP_2)
	v_add_f64_e32 v[52:53], v[68:69], v[64:65]
	v_add_f64_e32 v[54:55], v[66:67], v[82:83]
	ds_load_b128 v[64:67], v70 offset:8400
	s_wait_dscnt 0x0
	v_mul_f64_e32 v[68:69], v[66:67], v[62:63]
	v_mul_f64_e32 v[62:63], v[64:65], v[62:63]
	s_delay_alu instid0(VALU_DEP_2) | instskip(NEXT) | instid1(VALU_DEP_2)
	v_fma_f64 v[68:69], v[64:65], v[60:61], -v[68:69]
	v_fmac_f64_e32 v[62:63], v[66:67], v[60:61]
	v_mul_f64_e32 v[60:61], v[66:67], v[6:7]
	v_mul_f64_e32 v[6:7], v[64:65], v[6:7]
	s_delay_alu instid0(VALU_DEP_4) | instskip(NEXT) | instid1(VALU_DEP_4)
	v_add_f64_e32 v[12:13], v[12:13], v[68:69]
	v_add_f64_e32 v[14:15], v[62:63], v[14:15]
	s_delay_alu instid0(VALU_DEP_4) | instskip(NEXT) | instid1(VALU_DEP_4)
	v_fma_f64 v[60:61], v[64:65], v[4:5], -v[60:61]
	v_fmac_f64_e32 v[6:7], v[66:67], v[4:5]
	s_delay_alu instid0(VALU_DEP_2) | instskip(NEXT) | instid1(VALU_DEP_2)
	v_add_f64_e32 v[60:61], v[8:9], v[60:61]
	v_add_f64_e32 v[62:63], v[6:7], v[10:11]
	ds_load_b128 v[4:7], v70 offset:224
	ds_load_b128 v[8:11], v71 offset:7168
	s_wait_dscnt 0x0
	v_mul_f64_e32 v[64:65], v[6:7], v[10:11]
	v_mul_f64_e32 v[66:67], v[4:5], v[10:11]
	s_delay_alu instid0(VALU_DEP_2) | instskip(NEXT) | instid1(VALU_DEP_2)
	v_fma_f64 v[64:65], v[4:5], v[8:9], -v[64:65]
	v_fmac_f64_e32 v[66:67], v[6:7], v[8:9]
	s_delay_alu instid0(VALU_DEP_2) | instskip(NEXT) | instid1(VALU_DEP_2)
	v_add_f64_e32 v[64:65], v[56:57], v[64:65]
	v_add_f64_e32 v[66:67], v[66:67], v[58:59]
	ds_load_b128 v[56:59], v71 offset:7424
	s_wait_dscnt 0x0
	v_mul_f64_e32 v[68:69], v[6:7], v[58:59]
	s_delay_alu instid0(VALU_DEP_1) | instskip(SKIP_1) | instid1(VALU_DEP_2)
	v_fma_f64 v[68:69], v[4:5], v[56:57], -v[68:69]
	v_mul_f64_e32 v[4:5], v[4:5], v[58:59]
	v_add_f64_e32 v[68:69], v[52:53], v[68:69]
	s_delay_alu instid0(VALU_DEP_2) | instskip(NEXT) | instid1(VALU_DEP_1)
	v_fmac_f64_e32 v[4:5], v[6:7], v[56:57]
	v_add_f64_e32 v[82:83], v[4:5], v[54:55]
	ds_load_b128 v[4:7], v70 offset:8416
	s_wait_dscnt 0x0
	v_mul_f64_e32 v[52:53], v[6:7], v[10:11]
	v_mul_f64_e32 v[10:11], v[4:5], v[10:11]
	s_delay_alu instid0(VALU_DEP_2) | instskip(NEXT) | instid1(VALU_DEP_2)
	v_fma_f64 v[52:53], v[4:5], v[8:9], -v[52:53]
	v_fmac_f64_e32 v[10:11], v[6:7], v[8:9]
	v_mul_f64_e32 v[8:9], v[6:7], v[58:59]
	s_delay_alu instid0(VALU_DEP_3) | instskip(NEXT) | instid1(VALU_DEP_3)
	v_add_f64_e32 v[12:13], v[12:13], v[52:53]
	v_add_f64_e32 v[14:15], v[10:11], v[14:15]
	s_delay_alu instid0(VALU_DEP_3) | instskip(SKIP_1) | instid1(VALU_DEP_2)
	v_fma_f64 v[8:9], v[4:5], v[56:57], -v[8:9]
	v_mul_f64_e32 v[4:5], v[4:5], v[58:59]
	v_add_f64_e32 v[8:9], v[60:61], v[8:9]
	s_delay_alu instid0(VALU_DEP_2) | instskip(NEXT) | instid1(VALU_DEP_1)
	v_fmac_f64_e32 v[4:5], v[6:7], v[56:57]
	v_add_f64_e32 v[10:11], v[4:5], v[62:63]
	ds_load_b128 v[52:55], v70 offset:240
	ds_load_b128 v[60:63], v71 offset:7680
	s_wait_dscnt 0x0
	v_mul_f64_e32 v[4:5], v[54:55], v[62:63]
	v_mul_f64_e32 v[6:7], v[52:53], v[62:63]
	s_delay_alu instid0(VALU_DEP_2) | instskip(NEXT) | instid1(VALU_DEP_2)
	v_fma_f64 v[4:5], v[52:53], v[60:61], -v[4:5]
	v_fmac_f64_e32 v[6:7], v[54:55], v[60:61]
	s_delay_alu instid0(VALU_DEP_2) | instskip(NEXT) | instid1(VALU_DEP_2)
	v_add_f64_e32 v[56:57], v[64:65], v[4:5]
	v_add_f64_e32 v[58:59], v[6:7], v[66:67]
	ds_load_b128 v[4:7], v71 offset:7936
	s_wait_dscnt 0x0
	v_mul_f64_e32 v[64:65], v[54:55], v[6:7]
	v_mul_f64_e32 v[66:67], v[52:53], v[6:7]
	s_delay_alu instid0(VALU_DEP_2) | instskip(NEXT) | instid1(VALU_DEP_2)
	v_fma_f64 v[64:65], v[52:53], v[4:5], -v[64:65]
	v_fmac_f64_e32 v[66:67], v[54:55], v[4:5]
	s_delay_alu instid0(VALU_DEP_2) | instskip(NEXT) | instid1(VALU_DEP_2)
	v_add_f64_e32 v[52:53], v[68:69], v[64:65]
	v_add_f64_e32 v[54:55], v[66:67], v[82:83]
	ds_load_b128 v[64:67], v70 offset:8432
	s_wait_dscnt 0x0
	v_mul_f64_e32 v[68:69], v[66:67], v[62:63]
	v_mul_f64_e32 v[62:63], v[64:65], v[62:63]
	s_delay_alu instid0(VALU_DEP_2) | instskip(NEXT) | instid1(VALU_DEP_2)
	v_fma_f64 v[68:69], v[64:65], v[60:61], -v[68:69]
	v_fmac_f64_e32 v[62:63], v[66:67], v[60:61]
	v_mul_f64_e32 v[60:61], v[66:67], v[6:7]
	v_mul_f64_e32 v[6:7], v[64:65], v[6:7]
	s_delay_alu instid0(VALU_DEP_4) | instskip(NEXT) | instid1(VALU_DEP_4)
	v_add_f64_e32 v[12:13], v[12:13], v[68:69]
	v_add_f64_e32 v[14:15], v[62:63], v[14:15]
	s_delay_alu instid0(VALU_DEP_4) | instskip(NEXT) | instid1(VALU_DEP_4)
	v_fma_f64 v[60:61], v[64:65], v[4:5], -v[60:61]
	v_fmac_f64_e32 v[6:7], v[66:67], v[4:5]
	s_delay_alu instid0(VALU_DEP_2) | instskip(NEXT) | instid1(VALU_DEP_2)
	v_add_f64_e32 v[60:61], v[8:9], v[60:61]
	v_add_f64_e32 v[62:63], v[6:7], v[10:11]
	ds_load_b128 v[4:7], v70 offset:256
	ds_load_b128 v[8:11], v71 offset:8192
	s_wait_dscnt 0x0
	v_mul_f64_e32 v[64:65], v[6:7], v[10:11]
	v_mul_f64_e32 v[66:67], v[4:5], v[10:11]
	s_delay_alu instid0(VALU_DEP_2) | instskip(NEXT) | instid1(VALU_DEP_2)
	v_fma_f64 v[64:65], v[4:5], v[8:9], -v[64:65]
	v_fmac_f64_e32 v[66:67], v[6:7], v[8:9]
	s_delay_alu instid0(VALU_DEP_2) | instskip(NEXT) | instid1(VALU_DEP_2)
	v_add_f64_e32 v[64:65], v[56:57], v[64:65]
	v_add_f64_e32 v[66:67], v[66:67], v[58:59]
	ds_load_b128 v[56:59], v71 offset:8448
	s_wait_dscnt 0x0
	v_mul_f64_e32 v[68:69], v[6:7], v[58:59]
	s_delay_alu instid0(VALU_DEP_1) | instskip(SKIP_1) | instid1(VALU_DEP_2)
	v_fma_f64 v[68:69], v[4:5], v[56:57], -v[68:69]
	v_mul_f64_e32 v[4:5], v[4:5], v[58:59]
	v_add_f64_e32 v[68:69], v[52:53], v[68:69]
	s_delay_alu instid0(VALU_DEP_2) | instskip(NEXT) | instid1(VALU_DEP_1)
	v_fmac_f64_e32 v[4:5], v[6:7], v[56:57]
	v_add_f64_e32 v[82:83], v[4:5], v[54:55]
	ds_load_b128 v[4:7], v70 offset:8448
	s_wait_dscnt 0x0
	v_mul_f64_e32 v[52:53], v[6:7], v[10:11]
	v_mul_f64_e32 v[10:11], v[4:5], v[10:11]
	s_delay_alu instid0(VALU_DEP_2) | instskip(NEXT) | instid1(VALU_DEP_2)
	v_fma_f64 v[52:53], v[4:5], v[8:9], -v[52:53]
	v_fmac_f64_e32 v[10:11], v[6:7], v[8:9]
	v_mul_f64_e32 v[8:9], v[6:7], v[58:59]
	s_delay_alu instid0(VALU_DEP_3) | instskip(NEXT) | instid1(VALU_DEP_3)
	v_add_f64_e32 v[12:13], v[12:13], v[52:53]
	v_add_f64_e32 v[14:15], v[10:11], v[14:15]
	s_delay_alu instid0(VALU_DEP_3) | instskip(SKIP_1) | instid1(VALU_DEP_2)
	v_fma_f64 v[8:9], v[4:5], v[56:57], -v[8:9]
	v_mul_f64_e32 v[4:5], v[4:5], v[58:59]
	v_add_f64_e32 v[8:9], v[60:61], v[8:9]
	s_delay_alu instid0(VALU_DEP_2) | instskip(NEXT) | instid1(VALU_DEP_1)
	v_fmac_f64_e32 v[4:5], v[6:7], v[56:57]
	v_add_f64_e32 v[10:11], v[4:5], v[62:63]
	ds_load_b128 v[52:55], v70 offset:272
	ds_load_b128 v[60:63], v71 offset:8704
	s_wait_dscnt 0x0
	v_mul_f64_e32 v[4:5], v[54:55], v[62:63]
	v_mul_f64_e32 v[6:7], v[52:53], v[62:63]
	s_delay_alu instid0(VALU_DEP_2) | instskip(NEXT) | instid1(VALU_DEP_2)
	v_fma_f64 v[4:5], v[52:53], v[60:61], -v[4:5]
	v_fmac_f64_e32 v[6:7], v[54:55], v[60:61]
	s_delay_alu instid0(VALU_DEP_2) | instskip(NEXT) | instid1(VALU_DEP_2)
	v_add_f64_e32 v[56:57], v[64:65], v[4:5]
	v_add_f64_e32 v[58:59], v[6:7], v[66:67]
	ds_load_b128 v[4:7], v71 offset:8960
	s_wait_dscnt 0x0
	v_mul_f64_e32 v[64:65], v[54:55], v[6:7]
	v_mul_f64_e32 v[66:67], v[52:53], v[6:7]
	s_delay_alu instid0(VALU_DEP_2) | instskip(NEXT) | instid1(VALU_DEP_2)
	v_fma_f64 v[64:65], v[52:53], v[4:5], -v[64:65]
	v_fmac_f64_e32 v[66:67], v[54:55], v[4:5]
	s_delay_alu instid0(VALU_DEP_2) | instskip(NEXT) | instid1(VALU_DEP_2)
	v_add_f64_e32 v[52:53], v[68:69], v[64:65]
	v_add_f64_e32 v[54:55], v[66:67], v[82:83]
	ds_load_b128 v[64:67], v70 offset:8464
	s_wait_dscnt 0x0
	v_mul_f64_e32 v[68:69], v[66:67], v[62:63]
	v_mul_f64_e32 v[62:63], v[64:65], v[62:63]
	s_delay_alu instid0(VALU_DEP_2) | instskip(NEXT) | instid1(VALU_DEP_2)
	v_fma_f64 v[68:69], v[64:65], v[60:61], -v[68:69]
	v_fmac_f64_e32 v[62:63], v[66:67], v[60:61]
	v_mul_f64_e32 v[60:61], v[66:67], v[6:7]
	v_mul_f64_e32 v[6:7], v[64:65], v[6:7]
	s_delay_alu instid0(VALU_DEP_4) | instskip(NEXT) | instid1(VALU_DEP_4)
	v_add_f64_e32 v[12:13], v[12:13], v[68:69]
	v_add_f64_e32 v[14:15], v[62:63], v[14:15]
	s_delay_alu instid0(VALU_DEP_4) | instskip(NEXT) | instid1(VALU_DEP_4)
	v_fma_f64 v[60:61], v[64:65], v[4:5], -v[60:61]
	v_fmac_f64_e32 v[6:7], v[66:67], v[4:5]
	s_delay_alu instid0(VALU_DEP_2) | instskip(NEXT) | instid1(VALU_DEP_2)
	v_add_f64_e32 v[60:61], v[8:9], v[60:61]
	v_add_f64_e32 v[62:63], v[6:7], v[10:11]
	ds_load_b128 v[4:7], v70 offset:288
	ds_load_b128 v[8:11], v71 offset:9216
	s_wait_dscnt 0x0
	v_mul_f64_e32 v[64:65], v[6:7], v[10:11]
	v_mul_f64_e32 v[66:67], v[4:5], v[10:11]
	s_delay_alu instid0(VALU_DEP_2) | instskip(NEXT) | instid1(VALU_DEP_2)
	v_fma_f64 v[64:65], v[4:5], v[8:9], -v[64:65]
	v_fmac_f64_e32 v[66:67], v[6:7], v[8:9]
	s_delay_alu instid0(VALU_DEP_2) | instskip(NEXT) | instid1(VALU_DEP_2)
	v_add_f64_e32 v[64:65], v[56:57], v[64:65]
	v_add_f64_e32 v[66:67], v[66:67], v[58:59]
	ds_load_b128 v[56:59], v71 offset:9472
	s_wait_dscnt 0x0
	v_mul_f64_e32 v[68:69], v[6:7], v[58:59]
	s_delay_alu instid0(VALU_DEP_1) | instskip(SKIP_1) | instid1(VALU_DEP_2)
	v_fma_f64 v[68:69], v[4:5], v[56:57], -v[68:69]
	v_mul_f64_e32 v[4:5], v[4:5], v[58:59]
	v_add_f64_e32 v[68:69], v[52:53], v[68:69]
	s_delay_alu instid0(VALU_DEP_2) | instskip(NEXT) | instid1(VALU_DEP_1)
	v_fmac_f64_e32 v[4:5], v[6:7], v[56:57]
	v_add_f64_e32 v[82:83], v[4:5], v[54:55]
	ds_load_b128 v[4:7], v70 offset:8480
	s_wait_dscnt 0x0
	v_mul_f64_e32 v[52:53], v[6:7], v[10:11]
	v_mul_f64_e32 v[10:11], v[4:5], v[10:11]
	s_delay_alu instid0(VALU_DEP_2) | instskip(NEXT) | instid1(VALU_DEP_2)
	v_fma_f64 v[52:53], v[4:5], v[8:9], -v[52:53]
	v_fmac_f64_e32 v[10:11], v[6:7], v[8:9]
	v_mul_f64_e32 v[8:9], v[6:7], v[58:59]
	s_delay_alu instid0(VALU_DEP_3) | instskip(NEXT) | instid1(VALU_DEP_3)
	v_add_f64_e32 v[12:13], v[12:13], v[52:53]
	v_add_f64_e32 v[14:15], v[10:11], v[14:15]
	s_delay_alu instid0(VALU_DEP_3) | instskip(SKIP_1) | instid1(VALU_DEP_2)
	v_fma_f64 v[8:9], v[4:5], v[56:57], -v[8:9]
	v_mul_f64_e32 v[4:5], v[4:5], v[58:59]
	v_add_f64_e32 v[8:9], v[60:61], v[8:9]
	s_delay_alu instid0(VALU_DEP_2) | instskip(NEXT) | instid1(VALU_DEP_1)
	v_fmac_f64_e32 v[4:5], v[6:7], v[56:57]
	v_add_f64_e32 v[10:11], v[4:5], v[62:63]
	ds_load_b128 v[52:55], v70 offset:304
	ds_load_b128 v[60:63], v71 offset:9728
	s_wait_dscnt 0x0
	v_mul_f64_e32 v[4:5], v[54:55], v[62:63]
	v_mul_f64_e32 v[6:7], v[52:53], v[62:63]
	s_delay_alu instid0(VALU_DEP_2) | instskip(NEXT) | instid1(VALU_DEP_2)
	v_fma_f64 v[4:5], v[52:53], v[60:61], -v[4:5]
	v_fmac_f64_e32 v[6:7], v[54:55], v[60:61]
	s_delay_alu instid0(VALU_DEP_2) | instskip(NEXT) | instid1(VALU_DEP_2)
	v_add_f64_e32 v[56:57], v[64:65], v[4:5]
	v_add_f64_e32 v[58:59], v[6:7], v[66:67]
	ds_load_b128 v[4:7], v71 offset:9984
	s_wait_dscnt 0x0
	v_mul_f64_e32 v[64:65], v[54:55], v[6:7]
	v_mul_f64_e32 v[66:67], v[52:53], v[6:7]
	s_delay_alu instid0(VALU_DEP_2) | instskip(NEXT) | instid1(VALU_DEP_2)
	v_fma_f64 v[64:65], v[52:53], v[4:5], -v[64:65]
	v_fmac_f64_e32 v[66:67], v[54:55], v[4:5]
	s_delay_alu instid0(VALU_DEP_2) | instskip(NEXT) | instid1(VALU_DEP_2)
	v_add_f64_e32 v[52:53], v[68:69], v[64:65]
	v_add_f64_e32 v[54:55], v[66:67], v[82:83]
	ds_load_b128 v[64:67], v70 offset:8496
	s_wait_dscnt 0x0
	v_mul_f64_e32 v[68:69], v[66:67], v[62:63]
	v_mul_f64_e32 v[62:63], v[64:65], v[62:63]
	s_delay_alu instid0(VALU_DEP_2) | instskip(NEXT) | instid1(VALU_DEP_2)
	v_fma_f64 v[68:69], v[64:65], v[60:61], -v[68:69]
	v_fmac_f64_e32 v[62:63], v[66:67], v[60:61]
	v_mul_f64_e32 v[60:61], v[66:67], v[6:7]
	v_mul_f64_e32 v[6:7], v[64:65], v[6:7]
	s_delay_alu instid0(VALU_DEP_4) | instskip(NEXT) | instid1(VALU_DEP_4)
	v_add_f64_e32 v[12:13], v[12:13], v[68:69]
	v_add_f64_e32 v[14:15], v[62:63], v[14:15]
	s_delay_alu instid0(VALU_DEP_4) | instskip(NEXT) | instid1(VALU_DEP_4)
	v_fma_f64 v[60:61], v[64:65], v[4:5], -v[60:61]
	v_fmac_f64_e32 v[6:7], v[66:67], v[4:5]
	s_delay_alu instid0(VALU_DEP_2) | instskip(NEXT) | instid1(VALU_DEP_2)
	v_add_f64_e32 v[60:61], v[8:9], v[60:61]
	v_add_f64_e32 v[62:63], v[6:7], v[10:11]
	ds_load_b128 v[4:7], v70 offset:320
	ds_load_b128 v[8:11], v71 offset:10240
	s_wait_dscnt 0x0
	v_mul_f64_e32 v[64:65], v[6:7], v[10:11]
	v_mul_f64_e32 v[66:67], v[4:5], v[10:11]
	s_delay_alu instid0(VALU_DEP_2) | instskip(NEXT) | instid1(VALU_DEP_2)
	v_fma_f64 v[64:65], v[4:5], v[8:9], -v[64:65]
	v_fmac_f64_e32 v[66:67], v[6:7], v[8:9]
	s_delay_alu instid0(VALU_DEP_2) | instskip(NEXT) | instid1(VALU_DEP_2)
	v_add_f64_e32 v[64:65], v[56:57], v[64:65]
	v_add_f64_e32 v[66:67], v[66:67], v[58:59]
	ds_load_b128 v[56:59], v71 offset:10496
	s_wait_dscnt 0x0
	v_mul_f64_e32 v[68:69], v[6:7], v[58:59]
	s_delay_alu instid0(VALU_DEP_1) | instskip(SKIP_1) | instid1(VALU_DEP_2)
	v_fma_f64 v[68:69], v[4:5], v[56:57], -v[68:69]
	v_mul_f64_e32 v[4:5], v[4:5], v[58:59]
	v_add_f64_e32 v[68:69], v[52:53], v[68:69]
	s_delay_alu instid0(VALU_DEP_2) | instskip(NEXT) | instid1(VALU_DEP_1)
	v_fmac_f64_e32 v[4:5], v[6:7], v[56:57]
	v_add_f64_e32 v[82:83], v[4:5], v[54:55]
	ds_load_b128 v[4:7], v70 offset:8512
	s_wait_dscnt 0x0
	v_mul_f64_e32 v[52:53], v[6:7], v[10:11]
	v_mul_f64_e32 v[10:11], v[4:5], v[10:11]
	s_delay_alu instid0(VALU_DEP_2) | instskip(NEXT) | instid1(VALU_DEP_2)
	v_fma_f64 v[52:53], v[4:5], v[8:9], -v[52:53]
	v_fmac_f64_e32 v[10:11], v[6:7], v[8:9]
	v_mul_f64_e32 v[8:9], v[6:7], v[58:59]
	s_delay_alu instid0(VALU_DEP_3) | instskip(NEXT) | instid1(VALU_DEP_3)
	v_add_f64_e32 v[12:13], v[12:13], v[52:53]
	v_add_f64_e32 v[14:15], v[10:11], v[14:15]
	s_delay_alu instid0(VALU_DEP_3) | instskip(SKIP_1) | instid1(VALU_DEP_2)
	v_fma_f64 v[8:9], v[4:5], v[56:57], -v[8:9]
	v_mul_f64_e32 v[4:5], v[4:5], v[58:59]
	v_add_f64_e32 v[8:9], v[60:61], v[8:9]
	s_delay_alu instid0(VALU_DEP_2) | instskip(NEXT) | instid1(VALU_DEP_1)
	v_fmac_f64_e32 v[4:5], v[6:7], v[56:57]
	v_add_f64_e32 v[10:11], v[4:5], v[62:63]
	ds_load_b128 v[52:55], v70 offset:336
	ds_load_b128 v[60:63], v71 offset:10752
	s_wait_dscnt 0x0
	v_mul_f64_e32 v[4:5], v[54:55], v[62:63]
	v_mul_f64_e32 v[6:7], v[52:53], v[62:63]
	s_delay_alu instid0(VALU_DEP_2) | instskip(NEXT) | instid1(VALU_DEP_2)
	v_fma_f64 v[4:5], v[52:53], v[60:61], -v[4:5]
	v_fmac_f64_e32 v[6:7], v[54:55], v[60:61]
	s_delay_alu instid0(VALU_DEP_2) | instskip(NEXT) | instid1(VALU_DEP_2)
	v_add_f64_e32 v[56:57], v[64:65], v[4:5]
	v_add_f64_e32 v[58:59], v[6:7], v[66:67]
	ds_load_b128 v[4:7], v71 offset:11008
	s_wait_dscnt 0x0
	v_mul_f64_e32 v[64:65], v[54:55], v[6:7]
	v_mul_f64_e32 v[66:67], v[52:53], v[6:7]
	s_delay_alu instid0(VALU_DEP_2) | instskip(NEXT) | instid1(VALU_DEP_2)
	v_fma_f64 v[64:65], v[52:53], v[4:5], -v[64:65]
	v_fmac_f64_e32 v[66:67], v[54:55], v[4:5]
	s_delay_alu instid0(VALU_DEP_2) | instskip(NEXT) | instid1(VALU_DEP_2)
	v_add_f64_e32 v[52:53], v[68:69], v[64:65]
	v_add_f64_e32 v[54:55], v[66:67], v[82:83]
	ds_load_b128 v[64:67], v70 offset:8528
	s_wait_dscnt 0x0
	v_mul_f64_e32 v[68:69], v[66:67], v[62:63]
	v_mul_f64_e32 v[62:63], v[64:65], v[62:63]
	s_delay_alu instid0(VALU_DEP_2) | instskip(NEXT) | instid1(VALU_DEP_2)
	v_fma_f64 v[68:69], v[64:65], v[60:61], -v[68:69]
	v_fmac_f64_e32 v[62:63], v[66:67], v[60:61]
	v_mul_f64_e32 v[60:61], v[66:67], v[6:7]
	v_mul_f64_e32 v[6:7], v[64:65], v[6:7]
	s_delay_alu instid0(VALU_DEP_4) | instskip(NEXT) | instid1(VALU_DEP_4)
	v_add_f64_e32 v[12:13], v[12:13], v[68:69]
	v_add_f64_e32 v[14:15], v[62:63], v[14:15]
	s_delay_alu instid0(VALU_DEP_4) | instskip(NEXT) | instid1(VALU_DEP_4)
	v_fma_f64 v[60:61], v[64:65], v[4:5], -v[60:61]
	v_fmac_f64_e32 v[6:7], v[66:67], v[4:5]
	s_delay_alu instid0(VALU_DEP_2) | instskip(NEXT) | instid1(VALU_DEP_2)
	v_add_f64_e32 v[60:61], v[8:9], v[60:61]
	v_add_f64_e32 v[62:63], v[6:7], v[10:11]
	ds_load_b128 v[4:7], v70 offset:352
	ds_load_b128 v[8:11], v71 offset:11264
	s_wait_dscnt 0x0
	v_mul_f64_e32 v[64:65], v[6:7], v[10:11]
	v_mul_f64_e32 v[66:67], v[4:5], v[10:11]
	s_delay_alu instid0(VALU_DEP_2) | instskip(NEXT) | instid1(VALU_DEP_2)
	v_fma_f64 v[64:65], v[4:5], v[8:9], -v[64:65]
	v_fmac_f64_e32 v[66:67], v[6:7], v[8:9]
	s_delay_alu instid0(VALU_DEP_2) | instskip(NEXT) | instid1(VALU_DEP_2)
	v_add_f64_e32 v[64:65], v[56:57], v[64:65]
	v_add_f64_e32 v[66:67], v[66:67], v[58:59]
	ds_load_b128 v[56:59], v71 offset:11520
	s_wait_dscnt 0x0
	v_mul_f64_e32 v[68:69], v[6:7], v[58:59]
	s_delay_alu instid0(VALU_DEP_1) | instskip(SKIP_1) | instid1(VALU_DEP_2)
	v_fma_f64 v[68:69], v[4:5], v[56:57], -v[68:69]
	v_mul_f64_e32 v[4:5], v[4:5], v[58:59]
	v_add_f64_e32 v[68:69], v[52:53], v[68:69]
	s_delay_alu instid0(VALU_DEP_2) | instskip(NEXT) | instid1(VALU_DEP_1)
	v_fmac_f64_e32 v[4:5], v[6:7], v[56:57]
	v_add_f64_e32 v[82:83], v[4:5], v[54:55]
	ds_load_b128 v[4:7], v70 offset:8544
	s_wait_dscnt 0x0
	v_mul_f64_e32 v[52:53], v[6:7], v[10:11]
	v_mul_f64_e32 v[10:11], v[4:5], v[10:11]
	s_delay_alu instid0(VALU_DEP_2) | instskip(NEXT) | instid1(VALU_DEP_2)
	v_fma_f64 v[52:53], v[4:5], v[8:9], -v[52:53]
	v_fmac_f64_e32 v[10:11], v[6:7], v[8:9]
	v_mul_f64_e32 v[8:9], v[6:7], v[58:59]
	s_delay_alu instid0(VALU_DEP_3) | instskip(NEXT) | instid1(VALU_DEP_3)
	v_add_f64_e32 v[12:13], v[12:13], v[52:53]
	v_add_f64_e32 v[14:15], v[10:11], v[14:15]
	s_delay_alu instid0(VALU_DEP_3) | instskip(SKIP_1) | instid1(VALU_DEP_2)
	v_fma_f64 v[8:9], v[4:5], v[56:57], -v[8:9]
	v_mul_f64_e32 v[4:5], v[4:5], v[58:59]
	v_add_f64_e32 v[8:9], v[60:61], v[8:9]
	s_delay_alu instid0(VALU_DEP_2) | instskip(NEXT) | instid1(VALU_DEP_1)
	v_fmac_f64_e32 v[4:5], v[6:7], v[56:57]
	v_add_f64_e32 v[10:11], v[4:5], v[62:63]
	ds_load_b128 v[52:55], v70 offset:368
	ds_load_b128 v[60:63], v71 offset:11776
	s_wait_dscnt 0x0
	v_mul_f64_e32 v[4:5], v[54:55], v[62:63]
	v_mul_f64_e32 v[6:7], v[52:53], v[62:63]
	s_delay_alu instid0(VALU_DEP_2) | instskip(NEXT) | instid1(VALU_DEP_2)
	v_fma_f64 v[4:5], v[52:53], v[60:61], -v[4:5]
	v_fmac_f64_e32 v[6:7], v[54:55], v[60:61]
	s_delay_alu instid0(VALU_DEP_2) | instskip(NEXT) | instid1(VALU_DEP_2)
	v_add_f64_e32 v[56:57], v[64:65], v[4:5]
	v_add_f64_e32 v[58:59], v[6:7], v[66:67]
	ds_load_b128 v[4:7], v71 offset:12032
	s_wait_dscnt 0x0
	v_mul_f64_e32 v[64:65], v[54:55], v[6:7]
	v_mul_f64_e32 v[66:67], v[52:53], v[6:7]
	s_delay_alu instid0(VALU_DEP_2) | instskip(NEXT) | instid1(VALU_DEP_2)
	v_fma_f64 v[64:65], v[52:53], v[4:5], -v[64:65]
	v_fmac_f64_e32 v[66:67], v[54:55], v[4:5]
	s_delay_alu instid0(VALU_DEP_2) | instskip(NEXT) | instid1(VALU_DEP_2)
	v_add_f64_e32 v[52:53], v[68:69], v[64:65]
	v_add_f64_e32 v[54:55], v[66:67], v[82:83]
	ds_load_b128 v[64:67], v70 offset:8560
	s_wait_dscnt 0x0
	v_mul_f64_e32 v[68:69], v[66:67], v[62:63]
	v_mul_f64_e32 v[62:63], v[64:65], v[62:63]
	s_delay_alu instid0(VALU_DEP_2) | instskip(NEXT) | instid1(VALU_DEP_2)
	v_fma_f64 v[68:69], v[64:65], v[60:61], -v[68:69]
	v_fmac_f64_e32 v[62:63], v[66:67], v[60:61]
	s_delay_alu instid0(VALU_DEP_2) | instskip(SKIP_2) | instid1(VALU_DEP_4)
	v_add_f64_e32 v[60:61], v[12:13], v[68:69]
	v_mul_f64_e32 v[12:13], v[66:67], v[6:7]
	v_mul_f64_e32 v[6:7], v[64:65], v[6:7]
	v_add_f64_e32 v[62:63], v[62:63], v[14:15]
	s_delay_alu instid0(VALU_DEP_3) | instskip(NEXT) | instid1(VALU_DEP_3)
	v_fma_f64 v[12:13], v[64:65], v[4:5], -v[12:13]
	v_fmac_f64_e32 v[6:7], v[66:67], v[4:5]
	s_delay_alu instid0(VALU_DEP_2) | instskip(NEXT) | instid1(VALU_DEP_2)
	v_add_f64_e32 v[64:65], v[8:9], v[12:13]
	v_add_f64_e32 v[66:67], v[6:7], v[10:11]
	ds_load_b128 v[4:7], v70 offset:384
	ds_load_b128 v[8:11], v71 offset:12288
	s_wait_dscnt 0x0
	v_mul_f64_e32 v[12:13], v[6:7], v[10:11]
	v_mul_f64_e32 v[14:15], v[4:5], v[10:11]
	s_delay_alu instid0(VALU_DEP_2) | instskip(NEXT) | instid1(VALU_DEP_2)
	v_fma_f64 v[12:13], v[4:5], v[8:9], -v[12:13]
	v_fmac_f64_e32 v[14:15], v[6:7], v[8:9]
	s_delay_alu instid0(VALU_DEP_2) | instskip(NEXT) | instid1(VALU_DEP_2)
	v_add_f64_e32 v[68:69], v[56:57], v[12:13]
	v_add_f64_e32 v[82:83], v[14:15], v[58:59]
	ds_load_b128 v[12:15], v71 offset:12544
	s_wait_dscnt 0x0
	v_mul_f64_e32 v[56:57], v[6:7], v[14:15]
	s_delay_alu instid0(VALU_DEP_1) | instskip(SKIP_1) | instid1(VALU_DEP_2)
	v_fma_f64 v[56:57], v[4:5], v[12:13], -v[56:57]
	v_mul_f64_e32 v[4:5], v[4:5], v[14:15]
	v_add_f64_e32 v[84:85], v[52:53], v[56:57]
	s_delay_alu instid0(VALU_DEP_2) | instskip(NEXT) | instid1(VALU_DEP_1)
	v_fmac_f64_e32 v[4:5], v[6:7], v[12:13]
	v_add_f64_e32 v[86:87], v[4:5], v[54:55]
	ds_load_b128 v[4:7], v70 offset:8576
	s_wait_dscnt 0x0
	v_mul_f64_e32 v[52:53], v[6:7], v[10:11]
	v_mul_f64_e32 v[10:11], v[4:5], v[10:11]
	s_delay_alu instid0(VALU_DEP_2) | instskip(NEXT) | instid1(VALU_DEP_2)
	v_fma_f64 v[52:53], v[4:5], v[8:9], -v[52:53]
	v_fmac_f64_e32 v[10:11], v[6:7], v[8:9]
	v_mul_f64_e32 v[8:9], v[6:7], v[14:15]
	s_delay_alu instid0(VALU_DEP_3) | instskip(NEXT) | instid1(VALU_DEP_3)
	v_add_f64_e32 v[52:53], v[60:61], v[52:53]
	v_add_f64_e32 v[54:55], v[10:11], v[62:63]
	s_delay_alu instid0(VALU_DEP_3) | instskip(SKIP_1) | instid1(VALU_DEP_2)
	v_fma_f64 v[8:9], v[4:5], v[12:13], -v[8:9]
	v_mul_f64_e32 v[4:5], v[4:5], v[14:15]
	v_add_f64_e32 v[56:57], v[64:65], v[8:9]
	s_delay_alu instid0(VALU_DEP_2) | instskip(NEXT) | instid1(VALU_DEP_1)
	v_fmac_f64_e32 v[4:5], v[6:7], v[12:13]
	v_add_f64_e32 v[58:59], v[4:5], v[66:67]
	ds_load_b128 v[12:15], v70 offset:400
	ds_load_b128 v[4:7], v71 offset:12800
	s_wait_dscnt 0x0
	v_mul_f64_e32 v[8:9], v[14:15], v[6:7]
	v_mul_f64_e32 v[10:11], v[12:13], v[6:7]
	s_delay_alu instid0(VALU_DEP_2) | instskip(NEXT) | instid1(VALU_DEP_2)
	v_fma_f64 v[8:9], v[12:13], v[4:5], -v[8:9]
	v_fmac_f64_e32 v[10:11], v[14:15], v[4:5]
	s_delay_alu instid0(VALU_DEP_2) | instskip(NEXT) | instid1(VALU_DEP_2)
	v_add_f64_e32 v[64:65], v[68:69], v[8:9]
	v_add_f64_e32 v[66:67], v[10:11], v[82:83]
	ds_load_b128 v[8:11], v71 offset:13056
	s_wait_dscnt 0x0
	v_mul_f64_e32 v[60:61], v[14:15], v[10:11]
	s_delay_alu instid0(VALU_DEP_1) | instskip(SKIP_1) | instid1(VALU_DEP_2)
	v_fma_f64 v[60:61], v[12:13], v[8:9], -v[60:61]
	v_mul_f64_e32 v[12:13], v[12:13], v[10:11]
	v_add_f64_e32 v[60:61], v[84:85], v[60:61]
	s_delay_alu instid0(VALU_DEP_2) | instskip(NEXT) | instid1(VALU_DEP_1)
	v_fmac_f64_e32 v[12:13], v[14:15], v[8:9]
	v_add_f64_e32 v[62:63], v[12:13], v[86:87]
	ds_load_b128 v[12:15], v70 offset:8592
	s_wait_dscnt 0x0
	v_mul_f64_e32 v[68:69], v[14:15], v[6:7]
	v_mul_f64_e32 v[6:7], v[12:13], v[6:7]
	s_delay_alu instid0(VALU_DEP_2) | instskip(NEXT) | instid1(VALU_DEP_2)
	v_fma_f64 v[68:69], v[12:13], v[4:5], -v[68:69]
	v_fmac_f64_e32 v[6:7], v[14:15], v[4:5]
	v_mul_f64_e32 v[4:5], v[14:15], v[10:11]
	s_delay_alu instid0(VALU_DEP_3) | instskip(NEXT) | instid1(VALU_DEP_3)
	v_add_f64_e32 v[52:53], v[52:53], v[68:69]
	v_add_f64_e32 v[54:55], v[6:7], v[54:55]
	v_mul_f64_e32 v[6:7], v[12:13], v[10:11]
	s_delay_alu instid0(VALU_DEP_4) | instskip(NEXT) | instid1(VALU_DEP_2)
	v_fma_f64 v[4:5], v[12:13], v[8:9], -v[4:5]
	v_fmac_f64_e32 v[6:7], v[14:15], v[8:9]
	s_delay_alu instid0(VALU_DEP_2) | instskip(NEXT) | instid1(VALU_DEP_2)
	v_add_f64_e32 v[56:57], v[56:57], v[4:5]
	v_add_f64_e32 v[58:59], v[6:7], v[58:59]
	ds_load_b128 v[4:7], v70 offset:416
	ds_load_b128 v[8:11], v71 offset:13312
	s_wait_dscnt 0x0
	v_mul_f64_e32 v[12:13], v[6:7], v[10:11]
	v_mul_f64_e32 v[14:15], v[4:5], v[10:11]
	s_delay_alu instid0(VALU_DEP_2) | instskip(NEXT) | instid1(VALU_DEP_2)
	v_fma_f64 v[12:13], v[4:5], v[8:9], -v[12:13]
	v_fmac_f64_e32 v[14:15], v[6:7], v[8:9]
	s_delay_alu instid0(VALU_DEP_2) | instskip(NEXT) | instid1(VALU_DEP_2)
	v_add_f64_e32 v[64:65], v[64:65], v[12:13]
	v_add_f64_e32 v[66:67], v[14:15], v[66:67]
	ds_load_b128 v[12:15], v71 offset:13568
	s_wait_dscnt 0x0
	v_mul_f64_e32 v[68:69], v[6:7], v[14:15]
	s_delay_alu instid0(VALU_DEP_1) | instskip(SKIP_1) | instid1(VALU_DEP_2)
	v_fma_f64 v[68:69], v[4:5], v[12:13], -v[68:69]
	v_mul_f64_e32 v[4:5], v[4:5], v[14:15]
	v_add_f64_e32 v[68:69], v[60:61], v[68:69]
	s_delay_alu instid0(VALU_DEP_2) | instskip(NEXT) | instid1(VALU_DEP_1)
	v_fmac_f64_e32 v[4:5], v[6:7], v[12:13]
	v_add_f64_e32 v[82:83], v[4:5], v[62:63]
	ds_load_b128 v[4:7], v70 offset:8608
	s_wait_dscnt 0x0
	v_mul_f64_e32 v[60:61], v[6:7], v[10:11]
	v_mul_f64_e32 v[10:11], v[4:5], v[10:11]
	s_delay_alu instid0(VALU_DEP_2) | instskip(NEXT) | instid1(VALU_DEP_2)
	v_fma_f64 v[60:61], v[4:5], v[8:9], -v[60:61]
	v_fmac_f64_e32 v[10:11], v[6:7], v[8:9]
	s_delay_alu instid0(VALU_DEP_2) | instskip(SKIP_2) | instid1(VALU_DEP_4)
	v_add_f64_e32 v[8:9], v[52:53], v[60:61]
	v_mul_f64_e32 v[52:53], v[6:7], v[14:15]
	v_mul_f64_e32 v[14:15], v[4:5], v[14:15]
	v_add_f64_e32 v[10:11], v[10:11], v[54:55]
	s_delay_alu instid0(VALU_DEP_3) | instskip(NEXT) | instid1(VALU_DEP_3)
	v_fma_f64 v[52:53], v[4:5], v[12:13], -v[52:53]
	v_fmac_f64_e32 v[14:15], v[6:7], v[12:13]
	s_delay_alu instid0(VALU_DEP_2) | instskip(NEXT) | instid1(VALU_DEP_2)
	v_add_f64_e32 v[4:5], v[56:57], v[52:53]
	v_add_f64_e32 v[6:7], v[14:15], v[58:59]
	ds_load_b128 v[12:15], v70 offset:432
	ds_load_b128 v[56:59], v71 offset:13824
	;; [unrolled: 1-line block ×3, first 2 shown]
	s_wait_dscnt 0x1
	v_mul_f64_e32 v[52:53], v[14:15], v[58:59]
	v_mul_f64_e32 v[54:55], v[12:13], v[58:59]
	s_delay_alu instid0(VALU_DEP_2) | instskip(NEXT) | instid1(VALU_DEP_2)
	v_fma_f64 v[52:53], v[12:13], v[56:57], -v[52:53]
	v_fmac_f64_e32 v[54:55], v[14:15], v[56:57]
	s_delay_alu instid0(VALU_DEP_2) | instskip(NEXT) | instid1(VALU_DEP_2)
	v_add_f64_e32 v[52:53], v[64:65], v[52:53]
	v_add_f64_e32 v[54:55], v[54:55], v[66:67]
	s_wait_dscnt 0x0
	v_mul_f64_e32 v[64:65], v[14:15], v[62:63]
	v_mul_f64_e32 v[66:67], v[12:13], v[62:63]
	s_delay_alu instid0(VALU_DEP_2) | instskip(NEXT) | instid1(VALU_DEP_2)
	v_fma_f64 v[64:65], v[12:13], v[60:61], -v[64:65]
	v_fmac_f64_e32 v[66:67], v[14:15], v[60:61]
	s_delay_alu instid0(VALU_DEP_2) | instskip(NEXT) | instid1(VALU_DEP_2)
	v_add_f64_e32 v[12:13], v[68:69], v[64:65]
	v_add_f64_e32 v[14:15], v[66:67], v[82:83]
	ds_load_b128 v[64:67], v70 offset:8624
	s_wait_dscnt 0x0
	v_mul_f64_e32 v[68:69], v[66:67], v[58:59]
	v_mul_f64_e32 v[58:59], v[64:65], v[58:59]
	s_delay_alu instid0(VALU_DEP_2) | instskip(NEXT) | instid1(VALU_DEP_2)
	v_fma_f64 v[68:69], v[64:65], v[56:57], -v[68:69]
	v_fmac_f64_e32 v[58:59], v[66:67], v[56:57]
	s_delay_alu instid0(VALU_DEP_2) | instskip(NEXT) | instid1(VALU_DEP_2)
	v_add_f64_e32 v[68:69], v[8:9], v[68:69]
	v_add_f64_e32 v[82:83], v[58:59], v[10:11]
	v_mul_f64_e32 v[8:9], v[66:67], v[62:63]
	v_mul_f64_e32 v[10:11], v[64:65], v[62:63]
	s_delay_alu instid0(VALU_DEP_2) | instskip(NEXT) | instid1(VALU_DEP_2)
	v_fma_f64 v[8:9], v[64:65], v[60:61], -v[8:9]
	v_fmac_f64_e32 v[10:11], v[66:67], v[60:61]
	s_delay_alu instid0(VALU_DEP_2) | instskip(NEXT) | instid1(VALU_DEP_2)
	v_add_f64_e32 v[60:61], v[4:5], v[8:9]
	v_add_f64_e32 v[62:63], v[10:11], v[6:7]
	ds_load_b128 v[4:7], v70 offset:448
	ds_load_b128 v[8:11], v71 offset:14336
	s_wait_dscnt 0x0
	v_mul_f64_e32 v[56:57], v[6:7], v[10:11]
	v_mul_f64_e32 v[58:59], v[4:5], v[10:11]
	s_delay_alu instid0(VALU_DEP_2) | instskip(NEXT) | instid1(VALU_DEP_2)
	v_fma_f64 v[56:57], v[4:5], v[8:9], -v[56:57]
	v_fmac_f64_e32 v[58:59], v[6:7], v[8:9]
	s_delay_alu instid0(VALU_DEP_2) | instskip(NEXT) | instid1(VALU_DEP_2)
	v_add_f64_e32 v[64:65], v[52:53], v[56:57]
	v_add_f64_e32 v[66:67], v[58:59], v[54:55]
	ds_load_b128 v[56:59], v71 offset:14592
	s_wait_dscnt 0x0
	v_mul_f64_e32 v[52:53], v[6:7], v[58:59]
	s_delay_alu instid0(VALU_DEP_1) | instskip(SKIP_1) | instid1(VALU_DEP_2)
	v_fma_f64 v[52:53], v[4:5], v[56:57], -v[52:53]
	v_mul_f64_e32 v[4:5], v[4:5], v[58:59]
	v_add_f64_e32 v[84:85], v[12:13], v[52:53]
	s_delay_alu instid0(VALU_DEP_2) | instskip(NEXT) | instid1(VALU_DEP_1)
	v_fmac_f64_e32 v[4:5], v[6:7], v[56:57]
	v_add_f64_e32 v[86:87], v[4:5], v[14:15]
	ds_load_b128 v[4:7], v70 offset:8640
	s_wait_dscnt 0x0
	v_mul_f64_e32 v[12:13], v[6:7], v[10:11]
	v_mul_f64_e32 v[10:11], v[4:5], v[10:11]
	s_delay_alu instid0(VALU_DEP_2) | instskip(NEXT) | instid1(VALU_DEP_2)
	v_fma_f64 v[12:13], v[4:5], v[8:9], -v[12:13]
	v_fmac_f64_e32 v[10:11], v[6:7], v[8:9]
	v_mul_f64_e32 v[8:9], v[6:7], v[58:59]
	s_delay_alu instid0(VALU_DEP_3) | instskip(NEXT) | instid1(VALU_DEP_3)
	v_add_f64_e32 v[52:53], v[68:69], v[12:13]
	v_add_f64_e32 v[54:55], v[10:11], v[82:83]
	s_delay_alu instid0(VALU_DEP_3) | instskip(SKIP_1) | instid1(VALU_DEP_2)
	v_fma_f64 v[8:9], v[4:5], v[56:57], -v[8:9]
	v_mul_f64_e32 v[4:5], v[4:5], v[58:59]
	v_add_f64_e32 v[12:13], v[60:61], v[8:9]
	s_delay_alu instid0(VALU_DEP_2)
	v_fmac_f64_e32 v[4:5], v[6:7], v[56:57]
	ds_load_b128 v[56:59], v70 offset:464
	ds_load_b128 v[8:11], v71 offset:14848
	s_wait_dscnt 0x0
	v_mul_f64_e32 v[6:7], v[56:57], v[10:11]
	v_add_f64_e32 v[14:15], v[4:5], v[62:63]
	v_mul_f64_e32 v[4:5], v[58:59], v[10:11]
	s_delay_alu instid0(VALU_DEP_3) | instskip(NEXT) | instid1(VALU_DEP_2)
	v_fmac_f64_e32 v[6:7], v[58:59], v[8:9]
	v_fma_f64 v[4:5], v[56:57], v[8:9], -v[4:5]
	s_delay_alu instid0(VALU_DEP_2) | instskip(NEXT) | instid1(VALU_DEP_2)
	v_add_f64_e32 v[62:63], v[6:7], v[66:67]
	v_add_f64_e32 v[60:61], v[64:65], v[4:5]
	ds_load_b128 v[4:7], v71 offset:15104
	s_wait_dscnt 0x0
	v_mul_f64_e32 v[64:65], v[58:59], v[6:7]
	v_mul_f64_e32 v[66:67], v[56:57], v[6:7]
	s_delay_alu instid0(VALU_DEP_2) | instskip(NEXT) | instid1(VALU_DEP_2)
	v_fma_f64 v[64:65], v[56:57], v[4:5], -v[64:65]
	v_fmac_f64_e32 v[66:67], v[58:59], v[4:5]
	s_delay_alu instid0(VALU_DEP_2) | instskip(NEXT) | instid1(VALU_DEP_2)
	v_add_f64_e32 v[56:57], v[84:85], v[64:65]
	v_add_f64_e32 v[58:59], v[66:67], v[86:87]
	ds_load_b128 v[64:67], v70 offset:8656
	s_wait_dscnt 0x0
	v_mul_f64_e32 v[68:69], v[66:67], v[10:11]
	v_mul_f64_e32 v[10:11], v[64:65], v[10:11]
	s_delay_alu instid0(VALU_DEP_2) | instskip(NEXT) | instid1(VALU_DEP_2)
	v_fma_f64 v[68:69], v[64:65], v[8:9], -v[68:69]
	v_fmac_f64_e32 v[10:11], v[66:67], v[8:9]
	v_mul_f64_e32 v[8:9], v[66:67], v[6:7]
	v_mul_f64_e32 v[6:7], v[64:65], v[6:7]
	s_delay_alu instid0(VALU_DEP_4) | instskip(NEXT) | instid1(VALU_DEP_4)
	v_add_f64_e32 v[52:53], v[52:53], v[68:69]
	v_add_f64_e32 v[54:55], v[10:11], v[54:55]
	s_delay_alu instid0(VALU_DEP_4) | instskip(NEXT) | instid1(VALU_DEP_4)
	v_fma_f64 v[8:9], v[64:65], v[4:5], -v[8:9]
	v_fmac_f64_e32 v[6:7], v[66:67], v[4:5]
	s_delay_alu instid0(VALU_DEP_2) | instskip(NEXT) | instid1(VALU_DEP_2)
	v_add_f64_e32 v[66:67], v[12:13], v[8:9]
	v_add_f64_e32 v[82:83], v[6:7], v[14:15]
	ds_load_b128 v[4:7], v70 offset:480
	ds_load_b128 v[8:11], v71 offset:15360
	s_wait_dscnt 0x0
	v_mul_f64_e32 v[12:13], v[6:7], v[10:11]
	v_mul_f64_e32 v[14:15], v[4:5], v[10:11]
	s_delay_alu instid0(VALU_DEP_2) | instskip(NEXT) | instid1(VALU_DEP_2)
	v_fma_f64 v[12:13], v[4:5], v[8:9], -v[12:13]
	v_fmac_f64_e32 v[14:15], v[6:7], v[8:9]
	s_delay_alu instid0(VALU_DEP_2) | instskip(NEXT) | instid1(VALU_DEP_2)
	v_add_f64_e32 v[84:85], v[60:61], v[12:13]
	v_add_f64_e32 v[86:87], v[14:15], v[62:63]
	ds_load_b128 v[12:15], v71 offset:15616
	s_wait_dscnt 0x0
	v_mul_f64_e32 v[60:61], v[6:7], v[14:15]
	s_delay_alu instid0(VALU_DEP_1) | instskip(SKIP_1) | instid1(VALU_DEP_2)
	v_fma_f64 v[60:61], v[4:5], v[12:13], -v[60:61]
	v_mul_f64_e32 v[4:5], v[4:5], v[14:15]
	v_add_f64_e32 v[88:89], v[56:57], v[60:61]
	s_delay_alu instid0(VALU_DEP_2) | instskip(NEXT) | instid1(VALU_DEP_1)
	v_fmac_f64_e32 v[4:5], v[6:7], v[12:13]
	v_add_f64_e32 v[90:91], v[4:5], v[58:59]
	ds_load_b128 v[4:7], v70 offset:8672
	s_wait_dscnt 0x0
	v_mul_f64_e32 v[56:57], v[6:7], v[10:11]
	v_mul_f64_e32 v[10:11], v[4:5], v[10:11]
	s_delay_alu instid0(VALU_DEP_2) | instskip(NEXT) | instid1(VALU_DEP_2)
	v_fma_f64 v[56:57], v[4:5], v[8:9], -v[56:57]
	v_fmac_f64_e32 v[10:11], v[6:7], v[8:9]
	v_mul_f64_e32 v[8:9], v[6:7], v[14:15]
	s_delay_alu instid0(VALU_DEP_3) | instskip(NEXT) | instid1(VALU_DEP_3)
	v_add_f64_e32 v[64:65], v[52:53], v[56:57]
	v_add_f64_e32 v[68:69], v[10:11], v[54:55]
	s_delay_alu instid0(VALU_DEP_3) | instskip(SKIP_1) | instid1(VALU_DEP_2)
	v_fma_f64 v[8:9], v[4:5], v[12:13], -v[8:9]
	v_mul_f64_e32 v[4:5], v[4:5], v[14:15]
	v_add_f64_e32 v[60:61], v[66:67], v[8:9]
	s_delay_alu instid0(VALU_DEP_2)
	v_fmac_f64_e32 v[4:5], v[6:7], v[12:13]
	ds_load_b128 v[12:15], v70 offset:496
	ds_load_b128 v[8:11], v71 offset:15872
	s_wait_dscnt 0x0
	v_mul_f64_e32 v[6:7], v[12:13], v[10:11]
	v_add_f64_e32 v[62:63], v[4:5], v[82:83]
	v_mul_f64_e32 v[4:5], v[14:15], v[10:11]
	s_delay_alu instid0(VALU_DEP_3) | instskip(NEXT) | instid1(VALU_DEP_2)
	v_fmac_f64_e32 v[6:7], v[14:15], v[8:9]
	v_fma_f64 v[4:5], v[12:13], v[8:9], -v[4:5]
	s_delay_alu instid0(VALU_DEP_2) | instskip(NEXT) | instid1(VALU_DEP_2)
	v_add_f64_e32 v[58:59], v[6:7], v[86:87]
	v_add_f64_e32 v[56:57], v[84:85], v[4:5]
	ds_load_b128 v[4:7], v71 offset:16128
	s_wait_dscnt 0x0
	v_mul_f64_e32 v[52:53], v[14:15], v[6:7]
	s_delay_alu instid0(VALU_DEP_1) | instskip(SKIP_1) | instid1(VALU_DEP_2)
	v_fma_f64 v[52:53], v[12:13], v[4:5], -v[52:53]
	v_mul_f64_e32 v[12:13], v[12:13], v[6:7]
	v_add_f64_e32 v[52:53], v[88:89], v[52:53]
	s_delay_alu instid0(VALU_DEP_2) | instskip(NEXT) | instid1(VALU_DEP_1)
	v_fmac_f64_e32 v[12:13], v[14:15], v[4:5]
	v_add_f64_e32 v[54:55], v[12:13], v[90:91]
	ds_load_b128 v[12:15], v70 offset:8688
	s_wait_dscnt 0x0
	s_barrier_signal -1
	s_barrier_wait -1
	v_mul_f64_e32 v[66:67], v[14:15], v[10:11]
	v_mul_f64_e32 v[10:11], v[12:13], v[10:11]
	s_delay_alu instid0(VALU_DEP_2) | instskip(NEXT) | instid1(VALU_DEP_2)
	v_fma_f64 v[66:67], v[12:13], v[8:9], -v[66:67]
	v_fmac_f64_e32 v[10:11], v[14:15], v[8:9]
	v_mul_f64_e32 v[8:9], v[14:15], v[6:7]
	v_mul_f64_e32 v[6:7], v[12:13], v[6:7]
	s_delay_alu instid0(VALU_DEP_4) | instskip(NEXT) | instid1(VALU_DEP_4)
	v_add_f64_e32 v[66:67], v[64:65], v[66:67]
	v_add_f64_e32 v[64:65], v[10:11], v[68:69]
	s_delay_alu instid0(VALU_DEP_4) | instskip(NEXT) | instid1(VALU_DEP_4)
	v_fma_f64 v[8:9], v[12:13], v[4:5], -v[8:9]
	v_fmac_f64_e32 v[6:7], v[14:15], v[4:5]
	s_delay_alu instid0(VALU_DEP_2) | instskip(NEXT) | instid1(VALU_DEP_2)
	v_add_f64_e32 v[68:69], v[60:61], v[8:9]
	v_add_f64_e32 v[60:61], v[6:7], v[62:63]
	s_cbranch_scc1 .LBB123_58
.LBB123_10:                             ;   Parent Loop BB123_4 Depth=1
                                        ;     Parent Loop BB123_7 Depth=2
                                        ; =>    This Inner Loop Header: Depth=3
	v_add_nc_u64_e32 v[6:7], s[40:41], v[16:17]
	v_cmp_eq_u64_e64 s7, s[40:41], v[44:45]
	s_delay_alu instid0(VALU_DEP_4) | instskip(NEXT) | instid1(VALU_DEP_3)
	v_add_nc_u64_e32 v[8:9], v[38:39], v[18:19]
	v_cmp_gt_i64_e64 s5, v[6:7], v[36:37]
	v_cmp_le_i64_e64 s6, s[44:45], v[6:7]
	s_and_b32 s58, s52, s7
	s_or_b32 s7, s4, s5
	s_delay_alu instid0(SALU_CYCLE_1) | instskip(NEXT) | instid1(SALU_CYCLE_1)
	s_or_b32 s7, s7, s58
	s_nor_b32 s7, s6, s7
	s_delay_alu instid0(SALU_CYCLE_1) | instskip(NEXT) | instid1(SALU_CYCLE_1)
	s_and_saveexec_b32 s8, s7
	s_xor_b32 s7, exec_lo, s8
	s_cbranch_execz .LBB123_12
; %bb.11:                               ;   in Loop: Header=BB123_10 Depth=3
	global_load_b128 v[10:13], v[8:9], off offset:-256
	s_wait_loadcnt 0x0
	ds_store_2addr_b64 v72, v[10:11], v[12:13] offset1:1
.LBB123_12:                             ;   in Loop: Header=BB123_10 Depth=3
	s_wait_xcnt 0x0
	s_or_saveexec_b32 s7, s7
	s_xor_b32 s57, s58, -1
	s_xor_b32 exec_lo, exec_lo, s7
	s_cbranch_execz .LBB123_18
; %bb.13:                               ;   in Loop: Header=BB123_10 Depth=3
	s_and_saveexec_b32 s8, s57
	s_delay_alu instid0(SALU_CYCLE_1)
	s_xor_b32 s8, exec_lo, s8
; %bb.14:                               ;   in Loop: Header=BB123_10 Depth=3
	v_dual_mov_b32 v10, v2 :: v_dual_mov_b32 v11, v2
	v_dual_mov_b32 v12, v2 :: v_dual_mov_b32 v13, v2
	ds_store_b128 v72, v[10:13]
; %bb.15:                               ;   in Loop: Header=BB123_10 Depth=3
	s_and_not1_saveexec_b32 s8, s8
; %bb.16:                               ;   in Loop: Header=BB123_10 Depth=3
	v_dual_mov_b32 v4, v2 :: v_dual_mov_b32 v5, v2
	ds_store_b128 v72, v[2:5]
; %bb.17:                               ;   in Loop: Header=BB123_10 Depth=3
	s_or_b32 exec_lo, exec_lo, s8
.LBB123_18:                             ;   in Loop: Header=BB123_10 Depth=3
	s_delay_alu instid0(SALU_CYCLE_1) | instskip(SKIP_2) | instid1(VALU_DEP_2)
	s_or_b32 exec_lo, exec_lo, s7
	v_add_nc_u64_e32 v[4:5], 16, v[6:7]
	v_cmp_eq_u64_e64 s8, s[40:41], v[48:49]
	v_cmp_gt_i64_e64 s9, v[4:5], v[36:37]
	v_cmp_le_i64_e64 s7, s[44:45], v[4:5]
	s_and_b32 s59, s52, s8
	s_or_b32 s8, s4, s9
	s_delay_alu instid0(SALU_CYCLE_1) | instskip(NEXT) | instid1(SALU_CYCLE_1)
	s_or_b32 s8, s8, s59
	s_nor_b32 s8, s7, s8
	s_delay_alu instid0(SALU_CYCLE_1) | instskip(NEXT) | instid1(SALU_CYCLE_1)
	s_and_saveexec_b32 s9, s8
	s_xor_b32 s8, exec_lo, s9
	s_cbranch_execz .LBB123_20
; %bb.19:                               ;   in Loop: Header=BB123_10 Depth=3
	global_load_b128 v[8:11], v[8:9], off
	s_wait_loadcnt 0x0
	ds_store_2addr_b64 v74, v[8:9], v[10:11] offset1:1
.LBB123_20:                             ;   in Loop: Header=BB123_10 Depth=3
	s_wait_xcnt 0x0
	s_and_not1_saveexec_b32 s8, s8
	s_cbranch_execz .LBB123_26
; %bb.21:                               ;   in Loop: Header=BB123_10 Depth=3
	s_xor_b32 s9, s59, -1
	s_delay_alu instid0(SALU_CYCLE_1) | instskip(NEXT) | instid1(SALU_CYCLE_1)
	s_and_saveexec_b32 s59, s9
	s_xor_b32 s9, exec_lo, s59
; %bb.22:                               ;   in Loop: Header=BB123_10 Depth=3
	v_dual_mov_b32 v8, v2 :: v_dual_mov_b32 v9, v2
	v_dual_mov_b32 v10, v2 :: v_dual_mov_b32 v11, v2
	ds_store_b128 v72, v[8:11] offset:256
; %bb.23:                               ;   in Loop: Header=BB123_10 Depth=3
	s_and_not1_saveexec_b32 s9, s9
; %bb.24:                               ;   in Loop: Header=BB123_10 Depth=3
	v_dual_mov_b32 v4, v2 :: v_dual_mov_b32 v5, v2
	ds_store_b128 v72, v[2:5] offset:256
; %bb.25:                               ;   in Loop: Header=BB123_10 Depth=3
	s_or_b32 exec_lo, exec_lo, s9
.LBB123_26:                             ;   in Loop: Header=BB123_10 Depth=3
	s_delay_alu instid0(SALU_CYCLE_1)
	s_or_b32 exec_lo, exec_lo, s8
	v_cmp_eq_u64_e64 s8, s[40:41], v[46:47]
	v_cmp_gt_i64_e64 s9, v[6:7], v[42:43]
	v_add_nc_u64_e32 v[6:7], v[40:41], v[18:19]
	s_and_b32 s8, s52, s8
	s_or_b32 s9, vcc_lo, s9
	s_delay_alu instid0(SALU_CYCLE_1) | instskip(NEXT) | instid1(SALU_CYCLE_1)
	s_or_b32 s9, s9, s8
	s_nor_b32 s6, s6, s9
	s_delay_alu instid0(SALU_CYCLE_1) | instskip(NEXT) | instid1(SALU_CYCLE_1)
	s_and_saveexec_b32 s9, s6
	s_xor_b32 s6, exec_lo, s9
	s_cbranch_execz .LBB123_28
; %bb.27:                               ;   in Loop: Header=BB123_10 Depth=3
	global_load_b128 v[8:11], v[6:7], off offset:-256
	s_wait_loadcnt 0x0
	ds_store_2addr_b64 v75, v[8:9], v[10:11] offset1:1
.LBB123_28:                             ;   in Loop: Header=BB123_10 Depth=3
	s_wait_xcnt 0x0
	s_and_not1_saveexec_b32 s6, s6
	s_cbranch_execz .LBB123_34
; %bb.29:                               ;   in Loop: Header=BB123_10 Depth=3
	s_xor_b32 s8, s8, -1
	s_delay_alu instid0(SALU_CYCLE_1) | instskip(NEXT) | instid1(SALU_CYCLE_1)
	s_and_saveexec_b32 s9, s8
	s_xor_b32 s8, exec_lo, s9
; %bb.30:                               ;   in Loop: Header=BB123_10 Depth=3
	v_dual_mov_b32 v8, v2 :: v_dual_mov_b32 v9, v2
	v_dual_mov_b32 v10, v2 :: v_dual_mov_b32 v11, v2
	ds_store_b128 v72, v[8:11] offset:8192
; %bb.31:                               ;   in Loop: Header=BB123_10 Depth=3
	s_and_not1_saveexec_b32 s8, s8
; %bb.32:                               ;   in Loop: Header=BB123_10 Depth=3
	v_dual_mov_b32 v4, v2 :: v_dual_mov_b32 v5, v2
	ds_store_b128 v72, v[2:5] offset:8192
; %bb.33:                               ;   in Loop: Header=BB123_10 Depth=3
	s_or_b32 exec_lo, exec_lo, s8
.LBB123_34:                             ;   in Loop: Header=BB123_10 Depth=3
	s_delay_alu instid0(SALU_CYCLE_1) | instskip(SKIP_1) | instid1(SALU_CYCLE_1)
	s_or_b32 exec_lo, exec_lo, s6
	s_or_b32 s5, vcc_lo, s5
	s_or_b32 s5, s5, s58
	s_delay_alu instid0(SALU_CYCLE_1) | instskip(NEXT) | instid1(SALU_CYCLE_1)
	s_nor_b32 s5, s7, s5
	s_and_saveexec_b32 s6, s5
	s_delay_alu instid0(SALU_CYCLE_1)
	s_xor_b32 s5, exec_lo, s6
	s_cbranch_execz .LBB123_36
; %bb.35:                               ;   in Loop: Header=BB123_10 Depth=3
	global_load_b128 v[4:7], v[6:7], off
	s_wait_loadcnt 0x0
	ds_store_2addr_b64 v76, v[4:5], v[6:7] offset1:1
.LBB123_36:                             ;   in Loop: Header=BB123_10 Depth=3
	s_wait_xcnt 0x0
	s_and_not1_saveexec_b32 s5, s5
	s_cbranch_execz .LBB123_42
; %bb.37:                               ;   in Loop: Header=BB123_10 Depth=3
	s_and_saveexec_b32 s6, s57
	s_delay_alu instid0(SALU_CYCLE_1)
	s_xor_b32 s6, exec_lo, s6
; %bb.38:                               ;   in Loop: Header=BB123_10 Depth=3
	v_dual_mov_b32 v4, v2 :: v_dual_mov_b32 v5, v2
	v_dual_mov_b32 v6, v2 :: v_dual_mov_b32 v7, v2
	ds_store_b128 v72, v[4:7] offset:8448
; %bb.39:                               ;   in Loop: Header=BB123_10 Depth=3
	s_and_not1_saveexec_b32 s6, s6
; %bb.40:                               ;   in Loop: Header=BB123_10 Depth=3
	v_dual_mov_b32 v4, v2 :: v_dual_mov_b32 v5, v2
	ds_store_b128 v72, v[2:5] offset:8448
; %bb.41:                               ;   in Loop: Header=BB123_10 Depth=3
	s_or_b32 exec_lo, exec_lo, s6
.LBB123_42:                             ;   in Loop: Header=BB123_10 Depth=3
	s_delay_alu instid0(SALU_CYCLE_1) | instskip(SKIP_2) | instid1(VALU_DEP_2)
	s_or_b32 exec_lo, exec_lo, s5
	v_add_nc_u64_e32 v[4:5], s[40:41], v[0:1]
	v_add_nc_u64_e32 v[6:7], v[50:51], v[28:29]
	v_cmp_le_i64_e64 s5, s[44:45], v[4:5]
	s_nor_b32 s6, s5, s0
	s_delay_alu instid0(SALU_CYCLE_1) | instskip(NEXT) | instid1(SALU_CYCLE_1)
	s_and_saveexec_b32 s7, s6
	s_xor_b32 s6, exec_lo, s7
	s_cbranch_execz .LBB123_44
; %bb.43:                               ;   in Loop: Header=BB123_10 Depth=3
	global_load_b128 v[8:11], v[6:7], off offset:-256
	s_wait_loadcnt 0x0
	ds_store_2addr_b64 v73, v[8:9], v[10:11] offset1:1
.LBB123_44:                             ;   in Loop: Header=BB123_10 Depth=3
	s_wait_xcnt 0x0
	s_and_not1_saveexec_b32 s6, s6
; %bb.45:                               ;   in Loop: Header=BB123_10 Depth=3
	v_dual_mov_b32 v8, v2 :: v_dual_mov_b32 v9, v2
	v_dual_mov_b32 v10, v2 :: v_dual_mov_b32 v11, v2
	ds_store_b128 v73, v[8:11]
; %bb.46:                               ;   in Loop: Header=BB123_10 Depth=3
	s_or_b32 exec_lo, exec_lo, s6
	s_nor_b32 s5, s5, s1
	s_delay_alu instid0(SALU_CYCLE_1) | instskip(NEXT) | instid1(SALU_CYCLE_1)
	s_and_saveexec_b32 s6, s5
	s_xor_b32 s5, exec_lo, s6
	s_cbranch_execz .LBB123_48
; %bb.47:                               ;   in Loop: Header=BB123_10 Depth=3
	global_load_b128 v[6:9], v[6:7], off
	s_wait_loadcnt 0x0
	ds_store_2addr_b64 v77, v[6:7], v[8:9] offset1:1
.LBB123_48:                             ;   in Loop: Header=BB123_10 Depth=3
	s_wait_xcnt 0x0
	s_and_not1_saveexec_b32 s5, s5
; %bb.49:                               ;   in Loop: Header=BB123_10 Depth=3
	v_dual_mov_b32 v6, v2 :: v_dual_mov_b32 v7, v2
	v_dual_mov_b32 v8, v2 :: v_dual_mov_b32 v9, v2
	ds_store_b128 v73, v[6:9] offset:256
; %bb.50:                               ;   in Loop: Header=BB123_10 Depth=3
	s_or_b32 exec_lo, exec_lo, s5
	v_cmp_le_i64_e64 s5, s[24:25], v[4:5]
	v_add_nc_u64_e32 v[4:5], v[50:51], v[22:23]
	s_nor_b32 s6, s5, s0
	s_delay_alu instid0(SALU_CYCLE_1) | instskip(NEXT) | instid1(SALU_CYCLE_1)
	s_and_saveexec_b32 s7, s6
	s_xor_b32 s6, exec_lo, s7
	s_cbranch_execz .LBB123_52
; %bb.51:                               ;   in Loop: Header=BB123_10 Depth=3
	global_load_b128 v[6:9], v[4:5], off offset:-256
	s_wait_loadcnt 0x0
	ds_store_2addr_b64 v78, v[6:7], v[8:9] offset1:1
.LBB123_52:                             ;   in Loop: Header=BB123_10 Depth=3
	s_wait_xcnt 0x0
	s_and_not1_saveexec_b32 s6, s6
; %bb.53:                               ;   in Loop: Header=BB123_10 Depth=3
	v_dual_mov_b32 v6, v2 :: v_dual_mov_b32 v7, v2
	v_dual_mov_b32 v8, v2 :: v_dual_mov_b32 v9, v2
	ds_store_b128 v73, v[6:9] offset:8192
; %bb.54:                               ;   in Loop: Header=BB123_10 Depth=3
	s_or_b32 exec_lo, exec_lo, s6
	s_nor_b32 s5, s5, s1
	s_delay_alu instid0(SALU_CYCLE_1) | instskip(NEXT) | instid1(SALU_CYCLE_1)
	s_and_saveexec_b32 s6, s5
	s_xor_b32 s5, exec_lo, s6
	s_cbranch_execz .LBB123_56
; %bb.55:                               ;   in Loop: Header=BB123_10 Depth=3
	global_load_b128 v[4:7], v[4:5], off
	s_wait_loadcnt 0x0
	ds_store_2addr_b64 v79, v[4:5], v[6:7] offset1:1
.LBB123_56:                             ;   in Loop: Header=BB123_10 Depth=3
	s_wait_xcnt 0x0
	s_and_not1_saveexec_b32 s5, s5
	s_cbranch_execz .LBB123_9
; %bb.57:                               ;   in Loop: Header=BB123_10 Depth=3
	v_dual_mov_b32 v4, v2 :: v_dual_mov_b32 v5, v2
	v_dual_mov_b32 v6, v2 :: v_dual_mov_b32 v7, v2
	ds_store_b128 v73, v[4:7] offset:8448
	s_branch .LBB123_9
.LBB123_58:                             ;   in Loop: Header=BB123_7 Depth=2
	s_delay_alu instid0(VALU_DEP_1) | instskip(SKIP_2) | instid1(VALU_DEP_2)
	v_mul_u64_e32 v[4:5], s[28:29], v[36:37]
	v_cmp_gt_i32_e32 vcc_lo, s42, v36
	s_and_b32 s5, s2, vcc_lo
	v_lshl_add_u64 v[4:5], v[4:5], 4, s[26:27]
	s_and_saveexec_b32 s4, s5
	s_cbranch_execz .LBB123_60
; %bb.59:                               ;   in Loop: Header=BB123_7 Depth=2
	s_delay_alu instid0(VALU_DEP_1)
	v_lshl_add_u64 v[10:11], v[20:21], 4, v[4:5]
	v_mul_f64_e32 v[12:13], s[38:39], v[58:59]
	v_mul_f64_e32 v[14:15], s[36:37], v[58:59]
	global_load_b128 v[6:9], v[10:11], off
	v_fma_f64 v[12:13], s[36:37], v[56:57], -v[12:13]
	v_fmac_f64_e32 v[14:15], s[38:39], v[56:57]
	s_wait_loadcnt 0x0
	s_delay_alu instid0(VALU_DEP_2) | instskip(NEXT) | instid1(VALU_DEP_2)
	v_add_f64_e32 v[6:7], v[6:7], v[12:13]
	v_add_f64_e32 v[8:9], v[14:15], v[8:9]
	global_store_b128 v[10:11], v[6:9], off
.LBB123_60:                             ;   in Loop: Header=BB123_7 Depth=2
	s_wait_xcnt 0x0
	s_or_b32 exec_lo, exec_lo, s4
	s_and_b32 s5, s3, vcc_lo
	s_delay_alu instid0(SALU_CYCLE_1)
	s_and_saveexec_b32 s4, s5
	s_cbranch_execz .LBB123_62
; %bb.61:                               ;   in Loop: Header=BB123_7 Depth=2
	v_lshl_add_u64 v[8:9], v[24:25], 4, v[4:5]
	v_mul_f64_e32 v[10:11], s[38:39], v[54:55]
	v_mul_f64_e32 v[12:13], s[36:37], v[54:55]
	global_load_b128 v[4:7], v[8:9], off
	v_fma_f64 v[10:11], s[36:37], v[52:53], -v[10:11]
	v_fmac_f64_e32 v[12:13], s[38:39], v[52:53]
	s_wait_loadcnt 0x0
	s_delay_alu instid0(VALU_DEP_2) | instskip(NEXT) | instid1(VALU_DEP_2)
	v_add_f64_e32 v[4:5], v[4:5], v[10:11]
	v_add_f64_e32 v[6:7], v[12:13], v[6:7]
	global_store_b128 v[8:9], v[4:7], off
.LBB123_62:                             ;   in Loop: Header=BB123_7 Depth=2
	s_wait_xcnt 0x0
	s_or_b32 exec_lo, exec_lo, s4
	v_add_nc_u32_e32 v4, 16, v36
	s_delay_alu instid0(VALU_DEP_1) | instskip(SKIP_1) | instid1(VALU_DEP_2)
	v_ashrrev_i32_e32 v5, 31, v4
	v_cmp_gt_i32_e32 vcc_lo, s42, v4
	v_mul_u64_e32 v[6:7], s[28:29], v[4:5]
	s_and_b32 s5, s2, vcc_lo
	s_delay_alu instid0(VALU_DEP_1)
	v_lshl_add_u64 v[4:5], v[6:7], 4, s[26:27]
	s_and_saveexec_b32 s4, s5
	s_cbranch_execz .LBB123_64
; %bb.63:                               ;   in Loop: Header=BB123_7 Depth=2
	s_delay_alu instid0(VALU_DEP_1)
	v_lshl_add_u64 v[10:11], v[20:21], 4, v[4:5]
	v_mul_f64_e32 v[12:13], s[38:39], v[64:65]
	v_mul_f64_e32 v[14:15], s[36:37], v[64:65]
	global_load_b128 v[6:9], v[10:11], off
	v_fma_f64 v[12:13], s[36:37], v[66:67], -v[12:13]
	v_fmac_f64_e32 v[14:15], s[38:39], v[66:67]
	s_wait_loadcnt 0x0
	s_delay_alu instid0(VALU_DEP_2) | instskip(NEXT) | instid1(VALU_DEP_2)
	v_add_f64_e32 v[6:7], v[6:7], v[12:13]
	v_add_f64_e32 v[8:9], v[14:15], v[8:9]
	global_store_b128 v[10:11], v[6:9], off
.LBB123_64:                             ;   in Loop: Header=BB123_7 Depth=2
	s_wait_xcnt 0x0
	s_or_b32 exec_lo, exec_lo, s4
	s_and_b32 s5, s3, vcc_lo
	s_delay_alu instid0(SALU_CYCLE_1)
	s_and_saveexec_b32 s4, s5
	s_cbranch_execz .LBB123_6
; %bb.65:                               ;   in Loop: Header=BB123_7 Depth=2
	v_lshl_add_u64 v[8:9], v[24:25], 4, v[4:5]
	v_mul_f64_e32 v[10:11], s[38:39], v[60:61]
	v_mul_f64_e32 v[12:13], s[36:37], v[60:61]
	global_load_b128 v[4:7], v[8:9], off
	v_fma_f64 v[10:11], s[36:37], v[68:69], -v[10:11]
	v_fmac_f64_e32 v[12:13], s[38:39], v[68:69]
	s_wait_loadcnt 0x0
	s_delay_alu instid0(VALU_DEP_2) | instskip(NEXT) | instid1(VALU_DEP_2)
	v_add_f64_e32 v[4:5], v[4:5], v[10:11]
	v_add_f64_e32 v[6:7], v[12:13], v[6:7]
	global_store_b128 v[8:9], v[4:7], off
	s_branch .LBB123_6
.LBB123_66:
	s_sendmsg sendmsg(MSG_DEALLOC_VGPRS)
	s_endpgm
	.section	.rodata,"a",@progbits
	.p2align	6, 0x0
	.amdhsa_kernel _ZL30rocblas_trmm_outofplace_kernelI19rocblas_complex_numIdELi32ELi2ELb0ELb1ELb0ELb0ES1_KS1_S1_Ev17rocblas_diagonal_iiT6_lPT7_lllS6_lllPT8_llli
		.amdhsa_group_segment_fixed_size 32768
		.amdhsa_private_segment_fixed_size 0
		.amdhsa_kernarg_size 400
		.amdhsa_user_sgpr_count 2
		.amdhsa_user_sgpr_dispatch_ptr 0
		.amdhsa_user_sgpr_queue_ptr 0
		.amdhsa_user_sgpr_kernarg_segment_ptr 1
		.amdhsa_user_sgpr_dispatch_id 0
		.amdhsa_user_sgpr_kernarg_preload_length 0
		.amdhsa_user_sgpr_kernarg_preload_offset 0
		.amdhsa_user_sgpr_private_segment_size 0
		.amdhsa_wavefront_size32 1
		.amdhsa_uses_dynamic_stack 0
		.amdhsa_enable_private_segment 0
		.amdhsa_system_sgpr_workgroup_id_x 1
		.amdhsa_system_sgpr_workgroup_id_y 1
		.amdhsa_system_sgpr_workgroup_id_z 1
		.amdhsa_system_sgpr_workgroup_info 0
		.amdhsa_system_vgpr_workitem_id 1
		.amdhsa_next_free_vgpr 96
		.amdhsa_next_free_sgpr 60
		.amdhsa_named_barrier_count 0
		.amdhsa_reserve_vcc 1
		.amdhsa_float_round_mode_32 0
		.amdhsa_float_round_mode_16_64 0
		.amdhsa_float_denorm_mode_32 3
		.amdhsa_float_denorm_mode_16_64 3
		.amdhsa_fp16_overflow 0
		.amdhsa_memory_ordered 1
		.amdhsa_forward_progress 1
		.amdhsa_inst_pref_size 66
		.amdhsa_round_robin_scheduling 0
		.amdhsa_exception_fp_ieee_invalid_op 0
		.amdhsa_exception_fp_denorm_src 0
		.amdhsa_exception_fp_ieee_div_zero 0
		.amdhsa_exception_fp_ieee_overflow 0
		.amdhsa_exception_fp_ieee_underflow 0
		.amdhsa_exception_fp_ieee_inexact 0
		.amdhsa_exception_int_div_zero 0
	.end_amdhsa_kernel
	.section	.text._ZL30rocblas_trmm_outofplace_kernelI19rocblas_complex_numIdELi32ELi2ELb0ELb1ELb0ELb0ES1_KS1_S1_Ev17rocblas_diagonal_iiT6_lPT7_lllS6_lllPT8_llli,"axG",@progbits,_ZL30rocblas_trmm_outofplace_kernelI19rocblas_complex_numIdELi32ELi2ELb0ELb1ELb0ELb0ES1_KS1_S1_Ev17rocblas_diagonal_iiT6_lPT7_lllS6_lllPT8_llli,comdat
.Lfunc_end123:
	.size	_ZL30rocblas_trmm_outofplace_kernelI19rocblas_complex_numIdELi32ELi2ELb0ELb1ELb0ELb0ES1_KS1_S1_Ev17rocblas_diagonal_iiT6_lPT7_lllS6_lllPT8_llli, .Lfunc_end123-_ZL30rocblas_trmm_outofplace_kernelI19rocblas_complex_numIdELi32ELi2ELb0ELb1ELb0ELb0ES1_KS1_S1_Ev17rocblas_diagonal_iiT6_lPT7_lllS6_lllPT8_llli
                                        ; -- End function
	.set _ZL30rocblas_trmm_outofplace_kernelI19rocblas_complex_numIdELi32ELi2ELb0ELb1ELb0ELb0ES1_KS1_S1_Ev17rocblas_diagonal_iiT6_lPT7_lllS6_lllPT8_llli.num_vgpr, 96
	.set _ZL30rocblas_trmm_outofplace_kernelI19rocblas_complex_numIdELi32ELi2ELb0ELb1ELb0ELb0ES1_KS1_S1_Ev17rocblas_diagonal_iiT6_lPT7_lllS6_lllPT8_llli.num_agpr, 0
	.set _ZL30rocblas_trmm_outofplace_kernelI19rocblas_complex_numIdELi32ELi2ELb0ELb1ELb0ELb0ES1_KS1_S1_Ev17rocblas_diagonal_iiT6_lPT7_lllS6_lllPT8_llli.numbered_sgpr, 60
	.set _ZL30rocblas_trmm_outofplace_kernelI19rocblas_complex_numIdELi32ELi2ELb0ELb1ELb0ELb0ES1_KS1_S1_Ev17rocblas_diagonal_iiT6_lPT7_lllS6_lllPT8_llli.num_named_barrier, 0
	.set _ZL30rocblas_trmm_outofplace_kernelI19rocblas_complex_numIdELi32ELi2ELb0ELb1ELb0ELb0ES1_KS1_S1_Ev17rocblas_diagonal_iiT6_lPT7_lllS6_lllPT8_llli.private_seg_size, 0
	.set _ZL30rocblas_trmm_outofplace_kernelI19rocblas_complex_numIdELi32ELi2ELb0ELb1ELb0ELb0ES1_KS1_S1_Ev17rocblas_diagonal_iiT6_lPT7_lllS6_lllPT8_llli.uses_vcc, 1
	.set _ZL30rocblas_trmm_outofplace_kernelI19rocblas_complex_numIdELi32ELi2ELb0ELb1ELb0ELb0ES1_KS1_S1_Ev17rocblas_diagonal_iiT6_lPT7_lllS6_lllPT8_llli.uses_flat_scratch, 0
	.set _ZL30rocblas_trmm_outofplace_kernelI19rocblas_complex_numIdELi32ELi2ELb0ELb1ELb0ELb0ES1_KS1_S1_Ev17rocblas_diagonal_iiT6_lPT7_lllS6_lllPT8_llli.has_dyn_sized_stack, 0
	.set _ZL30rocblas_trmm_outofplace_kernelI19rocblas_complex_numIdELi32ELi2ELb0ELb1ELb0ELb0ES1_KS1_S1_Ev17rocblas_diagonal_iiT6_lPT7_lllS6_lllPT8_llli.has_recursion, 0
	.set _ZL30rocblas_trmm_outofplace_kernelI19rocblas_complex_numIdELi32ELi2ELb0ELb1ELb0ELb0ES1_KS1_S1_Ev17rocblas_diagonal_iiT6_lPT7_lllS6_lllPT8_llli.has_indirect_call, 0
	.section	.AMDGPU.csdata,"",@progbits
; Kernel info:
; codeLenInByte = 8392
; TotalNumSgprs: 62
; NumVgprs: 96
; ScratchSize: 0
; MemoryBound: 0
; FloatMode: 240
; IeeeMode: 1
; LDSByteSize: 32768 bytes/workgroup (compile time only)
; SGPRBlocks: 0
; VGPRBlocks: 5
; NumSGPRsForWavesPerEU: 62
; NumVGPRsForWavesPerEU: 96
; NamedBarCnt: 0
; Occupancy: 10
; WaveLimiterHint : 0
; COMPUTE_PGM_RSRC2:SCRATCH_EN: 0
; COMPUTE_PGM_RSRC2:USER_SGPR: 2
; COMPUTE_PGM_RSRC2:TRAP_HANDLER: 0
; COMPUTE_PGM_RSRC2:TGID_X_EN: 1
; COMPUTE_PGM_RSRC2:TGID_Y_EN: 1
; COMPUTE_PGM_RSRC2:TGID_Z_EN: 1
; COMPUTE_PGM_RSRC2:TIDIG_COMP_CNT: 1
	.section	.text._ZL30rocblas_trmm_outofplace_kernelI19rocblas_complex_numIdELi32ELi2ELb0ELb0ELb1ELb0EPKS1_S2_S1_Ev17rocblas_diagonal_iiT6_lPT7_lllS7_lllPT8_llli,"axG",@progbits,_ZL30rocblas_trmm_outofplace_kernelI19rocblas_complex_numIdELi32ELi2ELb0ELb0ELb1ELb0EPKS1_S2_S1_Ev17rocblas_diagonal_iiT6_lPT7_lllS7_lllPT8_llli,comdat
	.globl	_ZL30rocblas_trmm_outofplace_kernelI19rocblas_complex_numIdELi32ELi2ELb0ELb0ELb1ELb0EPKS1_S2_S1_Ev17rocblas_diagonal_iiT6_lPT7_lllS7_lllPT8_llli ; -- Begin function _ZL30rocblas_trmm_outofplace_kernelI19rocblas_complex_numIdELi32ELi2ELb0ELb0ELb1ELb0EPKS1_S2_S1_Ev17rocblas_diagonal_iiT6_lPT7_lllS7_lllPT8_llli
	.p2align	8
	.type	_ZL30rocblas_trmm_outofplace_kernelI19rocblas_complex_numIdELi32ELi2ELb0ELb0ELb1ELb0EPKS1_S2_S1_Ev17rocblas_diagonal_iiT6_lPT7_lllS7_lllPT8_llli,@function
_ZL30rocblas_trmm_outofplace_kernelI19rocblas_complex_numIdELi32ELi2ELb0ELb0ELb1ELb0EPKS1_S2_S1_Ev17rocblas_diagonal_iiT6_lPT7_lllS7_lllPT8_llli: ; @_ZL30rocblas_trmm_outofplace_kernelI19rocblas_complex_numIdELi32ELi2ELb0ELb0ELb1ELb0EPKS1_S2_S1_Ev17rocblas_diagonal_iiT6_lPT7_lllS7_lllPT8_llli
; %bb.0:
	s_load_b32 s33, s[0:1], 0x80
	s_bfe_u32 s2, ttmp6, 0x40014
	s_lshr_b32 s3, ttmp7, 16
	s_add_co_i32 s2, s2, 1
	s_bfe_u32 s5, ttmp6, 0x40008
	s_mul_i32 s4, s3, s2
	s_getreg_b32 s2, hwreg(HW_REG_IB_STS2, 6, 4)
	s_add_co_i32 s5, s5, s4
	s_cmp_eq_u32 s2, 0
	s_mov_b32 s35, 0
	s_cselect_b32 s34, s3, s5
	s_wait_kmcnt 0x0
	s_cmp_ge_u32 s34, s33
	s_cbranch_scc1 .LBB124_67
; %bb.1:
	s_clause 0x3
	s_load_b96 s[36:38], s[0:1], 0x0
	s_load_b512 s[12:27], s[0:1], 0x10
	s_load_b128 s[28:31], s[0:1], 0x70
	s_load_b256 s[4:11], s[0:1], 0x50
	s_bfe_u32 s39, ttmp6, 0x4000c
	s_and_b32 s3, ttmp6, 15
	s_add_co_i32 s39, s39, 1
	s_bfe_u32 s41, ttmp6, 0x40010
	s_mul_i32 s39, ttmp9, s39
	v_and_b32_e32 v26, 0x3ff, v0
	v_bfe_u32 v0, v0, 10, 10
	v_mov_b32_e32 v2, 0
	s_and_b32 s40, ttmp7, 0xffff
	s_add_co_i32 s41, s41, 1
	s_add_co_i32 s3, s3, s39
	s_bfe_u32 s42, ttmp6, 0x40004
	s_mul_i32 s41, s40, s41
	v_dual_mov_b32 v27, v2 :: v_dual_lshlrev_b32 v86, 9, v0
	v_mov_b32_e32 v1, v2
	s_wait_kmcnt 0x0
	s_add_co_i32 s43, s38, -1
	s_add_co_i32 s42, s42, s41
	s_ashr_i32 s44, s43, 31
	s_lshl_b64 s[10:11], s[10:11], 4
	s_lshr_b32 s39, s44, 27
	v_dual_lshlrev_b32 v3, 4, v26 :: v_dual_lshlrev_b32 v4, 4, v0
	s_add_co_i32 s43, s43, s39
	v_mul_u64_e32 v[6:7], s[20:21], v[26:27]
	s_ashr_i32 s39, s43, 5
	s_cmp_eq_u32 s2, 0
	v_mul_u64_e32 v[8:9], s[4:5], v[0:1]
	s_cselect_b32 s2, ttmp9, s3
	s_cselect_b32 s44, s40, s42
	v_lshl_add_u32 v28, s2, 5, v26
	v_mov_b32_e32 v5, v2
	s_cmp_le_i32 s44, s39
	s_mov_b32 s2, s37
	s_cselect_b32 s45, -1, 0
	v_ashrrev_i32_e32 v29, 31, v28
	v_add_nc_u64_e32 v[4:5], 0x100, v[4:5]
	s_cmp_eq_u32 s36, 0x84
	v_or_b32_e32 v87, 0x4000, v3
	s_cselect_b32 s46, -1, 0
	s_ashr_i32 s3, s37, 31
	v_add_nc_u32_e32 v88, v86, v3
	v_add_nc_u32_e32 v3, 0x100, v3
	v_mul_u64_e32 v[30:31], s[4:5], v[4:5]
	v_sub_nc_u64_e32 v[4:5], s[2:3], v[28:29]
	s_lshl_b64 s[2:3], s[18:19], 4
	s_add_nc_u64 s[10:11], s[8:9], s[10:11]
	s_add_nc_u64 s[8:9], s[16:17], s[2:3]
	s_lshl_b64 s[16:17], s[4:5], 9
	v_mad_nc_u64_u32 v[32:33], s20, v3, s[8:9]
	s_lshl_b64 s[4:5], s[26:27], 4
	s_add_nc_u64 s[42:43], s[0:1], 0x88
	s_add_nc_u64 s[4:5], s[24:25], s[4:5]
	v_cmp_gt_i64_e64 s0, 1, v[4:5]
	v_cmp_gt_i64_e64 s1, 17, v[4:5]
	v_lshl_add_u64 v[4:5], v[28:29], 4, s[4:5]
	v_lshl_add_u64 v[6:7], v[6:7], 4, s[8:9]
	v_dual_add_nc_u32 v34, 16, v28 :: v_dual_add_nc_u32 v89, v87, v86
	v_lshlrev_b64_e32 v[36:37], 4, v[8:9]
	v_mad_u32 v33, s21, v3, v33
	v_add_nc_u64_e32 v[38:39], 0x100, v[4:5]
	v_add_nc_u64_e32 v[40:41], 0x100, v[6:7]
	v_cmp_gt_i32_e64 s2, s37, v28
	v_mov_b32_e32 v3, 0x3ff00000
	v_cmp_gt_i32_e64 s3, s37, v34
	v_ashrrev_i32_e32 v35, 31, v34
	s_ashr_i32 s41, s38, 31
	s_mov_b32 s40, s38
	s_lshl_b64 s[18:19], s[20:21], 9
	s_add_nc_u64 s[20:21], s[40:41], -16
	s_lshl_b64 s[24:25], s[6:7], 4
	s_lshl_b64 s[22:23], s[22:23], 4
	s_branch .LBB124_4
.LBB124_2:                              ;   in Loop: Header=BB124_4 Depth=1
	s_add_co_i32 s34, s34, 0x10000
	s_delay_alu instid0(SALU_CYCLE_1)
	s_cmp_ge_u32 s34, s33
	s_cselect_b32 s4, -1, 0
.LBB124_3:                              ;   in Loop: Header=BB124_4 Depth=1
	s_delay_alu instid0(SALU_CYCLE_1)
	s_and_b32 vcc_lo, exec_lo, s4
	s_cbranch_vccnz .LBB124_67
.LBB124_4:                              ; =>This Loop Header: Depth=1
                                        ;     Child Loop BB124_8 Depth 2
                                        ;       Child Loop BB124_11 Depth 3
	s_mul_u64 s[4:5], s[14:15], s[34:35]
	s_delay_alu instid0(SALU_CYCLE_1) | instskip(NEXT) | instid1(SALU_CYCLE_1)
	s_lshl_b64 s[4:5], s[4:5], 4
	s_add_nc_u64 s[4:5], s[12:13], s[4:5]
	global_load_b128 v[6:9], v2, s[4:5]
	s_wait_loadcnt 0x0
	v_cmp_eq_f64_e32 vcc_lo, 0, v[6:7]
	s_wait_xcnt 0x0
	v_cmp_eq_f64_e64 s4, 0, v[8:9]
	s_and_b32 s4, vcc_lo, s4
	s_delay_alu instid0(SALU_CYCLE_1)
	s_and_b32 vcc_lo, exec_lo, s4
	s_mov_b32 s4, -1
	s_cbranch_vccnz .LBB124_3
; %bb.5:                                ;   in Loop: Header=BB124_4 Depth=1
	s_and_not1_b32 vcc_lo, exec_lo, s45
	s_cbranch_vccnz .LBB124_2
; %bb.6:                                ;   in Loop: Header=BB124_4 Depth=1
	s_load_b32 s47, s[42:43], 0x4
	v_mad_nc_u64_u32 v[42:43], s24, s34, v[38:39]
	v_mad_nc_u64_u32 v[44:45], s22, s34, v[40:41]
	;; [unrolled: 1-line block ×3, first 2 shown]
	s_mul_i32 s6, s23, s34
	s_mul_u64 s[4:5], s[30:31], s[34:35]
	v_lshl_add_u32 v48, s44, 5, v0
	s_lshl_b64 s[4:5], s[4:5], 4
	s_mov_b32 s49, s44
	s_add_nc_u64 s[26:27], s[10:11], s[4:5]
	s_delay_alu instid0(VALU_DEP_4) | instskip(NEXT) | instid1(VALU_DEP_3)
	v_mad_u32 v43, s25, s34, v43
	v_dual_add_nc_u32 v45, s6, v45 :: v_dual_add_nc_u32 v47, s6, v47
	s_wait_kmcnt 0x0
	s_lshl_b32 s48, s47, 5
	s_branch .LBB124_8
.LBB124_7:                              ;   in Loop: Header=BB124_8 Depth=2
	s_wait_xcnt 0x0
	s_or_b32 exec_lo, exec_lo, s4
	v_add_nc_u32_e32 v48, s48, v48
	s_add_co_i32 s49, s47, s49
	s_delay_alu instid0(SALU_CYCLE_1)
	s_cmp_gt_i32 s49, s39
	s_cbranch_scc1 .LBB124_2
.LBB124_8:                              ;   Parent Loop BB124_4 Depth=1
                                        ; =>  This Loop Header: Depth=2
                                        ;       Child Loop BB124_11 Depth 3
	s_lshl_b32 s50, s49, 5
	v_mov_b64_e32 v[66:67], 0
	v_add_nc_u32_e32 v50, s50, v0
	v_mov_b64_e32 v[68:69], 0
	v_mov_b64_e32 v[22:23], 0
	;; [unrolled: 1-line block ×7, first 2 shown]
	v_ashrrev_i32_e32 v51, 31, v50
	s_cmp_lt_i32 s49, 0
	s_cbranch_scc1 .LBB124_59
; %bb.9:                                ;   in Loop: Header=BB124_8 Depth=2
	v_sub_nc_u64_e32 v[4:5], 0, v[26:27]
	v_ashrrev_i32_e32 v49, 31, v48
	v_add_nc_u64_e32 v[52:53], 16, v[50:51]
	v_mov_b64_e32 v[74:75], 0
	v_mov_b64_e32 v[54:55], v[46:47]
	;; [unrolled: 1-line block ×4, first 2 shown]
	v_add_nc_u64_e32 v[56:57], v[4:5], v[48:49]
	v_mov_b64_e32 v[70:71], 0
	v_mov_b64_e32 v[24:25], 0
	;; [unrolled: 1-line block ×3, first 2 shown]
	v_lshlrev_b64_e32 v[58:59], 4, v[48:49]
	v_cmp_le_i64_e64 s4, s[40:41], v[52:53]
	v_mov_b64_e32 v[68:69], 0
	v_add_nc_u64_e32 v[60:61], -16, v[56:57]
	v_mov_b64_e32 v[66:67], 0
	v_mov_b64_e32 v[62:63], v[44:45]
	;; [unrolled: 1-line block ×3, first 2 shown]
	s_mov_b64 s[36:37], 0
	v_cmp_le_i32_e32 vcc_lo, s38, v50
	s_branch .LBB124_11
.LBB124_10:                             ;   in Loop: Header=BB124_11 Depth=3
	s_or_b32 exec_lo, exec_lo, s5
	s_wait_dscnt 0x0
	s_barrier_signal -1
	s_barrier_wait -1
	ds_load_b128 v[78:81], v86
	ds_load_b128 v[18:21], v86 offset:16
	ds_load_b128 v[14:17], v86 offset:32
	;; [unrolled: 1-line block ×3, first 2 shown]
	ds_load_b128 v[90:93], v87
	ds_load_b128 v[94:97], v87 offset:256
	v_add_nc_u64_e32 v[64:65], s[16:17], v[64:65]
	v_add_nc_u64_e32 v[62:63], s[18:19], v[62:63]
	;; [unrolled: 1-line block ×3, first 2 shown]
	s_add_nc_u64 s[36:37], s[36:37], 32
	s_delay_alu instid0(SALU_CYCLE_1) | instskip(NEXT) | instid1(SALU_CYCLE_1)
	s_sub_co_i32 s5, s36, 32
	s_cmp_ge_i32 s5, s50
	s_wait_dscnt 0x1
	v_mul_f64_e32 v[4:5], v[80:81], v[92:93]
	v_mul_f64_e32 v[84:85], v[78:79], v[92:93]
	s_delay_alu instid0(VALU_DEP_2) | instskip(NEXT) | instid1(VALU_DEP_2)
	v_fma_f64 v[4:5], v[78:79], v[90:91], -v[4:5]
	v_fmac_f64_e32 v[84:85], v[80:81], v[90:91]
	s_delay_alu instid0(VALU_DEP_2) | instskip(SKIP_3) | instid1(VALU_DEP_4)
	v_add_f64_e32 v[82:83], v[66:67], v[4:5]
	s_wait_dscnt 0x0
	v_mul_f64_e32 v[4:5], v[80:81], v[96:97]
	v_mul_f64_e32 v[66:67], v[78:79], v[96:97]
	v_add_f64_e32 v[84:85], v[84:85], v[68:69]
	s_delay_alu instid0(VALU_DEP_3) | instskip(NEXT) | instid1(VALU_DEP_3)
	v_fma_f64 v[4:5], v[78:79], v[94:95], -v[4:5]
	v_fmac_f64_e32 v[66:67], v[80:81], v[94:95]
	s_delay_alu instid0(VALU_DEP_2) | instskip(NEXT) | instid1(VALU_DEP_2)
	v_add_f64_e32 v[78:79], v[22:23], v[4:5]
	v_add_f64_e32 v[80:81], v[66:67], v[24:25]
	ds_load_b128 v[22:25], v86 offset:8192
	s_wait_dscnt 0x0
	v_mul_f64_e32 v[4:5], v[24:25], v[92:93]
	v_mul_f64_e32 v[66:67], v[22:23], v[92:93]
	s_delay_alu instid0(VALU_DEP_2) | instskip(NEXT) | instid1(VALU_DEP_2)
	v_fma_f64 v[4:5], v[22:23], v[90:91], -v[4:5]
	v_fmac_f64_e32 v[66:67], v[24:25], v[90:91]
	s_delay_alu instid0(VALU_DEP_2) | instskip(SKIP_1) | instid1(VALU_DEP_3)
	v_add_f64_e32 v[68:69], v[70:71], v[4:5]
	v_mul_f64_e32 v[4:5], v[24:25], v[96:97]
	v_add_f64_e32 v[70:71], v[66:67], v[72:73]
	s_delay_alu instid0(VALU_DEP_2) | instskip(SKIP_1) | instid1(VALU_DEP_2)
	v_fma_f64 v[4:5], v[22:23], v[94:95], -v[4:5]
	v_mul_f64_e32 v[22:23], v[22:23], v[96:97]
	v_add_f64_e32 v[4:5], v[76:77], v[4:5]
	s_delay_alu instid0(VALU_DEP_2) | instskip(NEXT) | instid1(VALU_DEP_1)
	v_fmac_f64_e32 v[22:23], v[24:25], v[94:95]
	v_add_f64_e32 v[66:67], v[22:23], v[74:75]
	ds_load_b128 v[22:25], v87 offset:512
	s_wait_dscnt 0x0
	v_mul_f64_e32 v[72:73], v[20:21], v[24:25]
	v_mul_f64_e32 v[74:75], v[18:19], v[24:25]
	s_delay_alu instid0(VALU_DEP_2) | instskip(NEXT) | instid1(VALU_DEP_2)
	v_fma_f64 v[72:73], v[18:19], v[22:23], -v[72:73]
	v_fmac_f64_e32 v[74:75], v[20:21], v[22:23]
	s_delay_alu instid0(VALU_DEP_2) | instskip(NEXT) | instid1(VALU_DEP_2)
	v_add_f64_e32 v[72:73], v[82:83], v[72:73]
	v_add_f64_e32 v[74:75], v[74:75], v[84:85]
	ds_load_b128 v[82:85], v87 offset:768
	s_wait_dscnt 0x0
	v_mul_f64_e32 v[76:77], v[20:21], v[84:85]
	v_mul_f64_e32 v[90:91], v[18:19], v[84:85]
	s_delay_alu instid0(VALU_DEP_2) | instskip(NEXT) | instid1(VALU_DEP_2)
	v_fma_f64 v[76:77], v[18:19], v[82:83], -v[76:77]
	v_fmac_f64_e32 v[90:91], v[20:21], v[82:83]
	s_delay_alu instid0(VALU_DEP_2)
	v_add_f64_e32 v[18:19], v[78:79], v[76:77]
	ds_load_b128 v[76:79], v86 offset:8208
	v_add_f64_e32 v[20:21], v[90:91], v[80:81]
	s_wait_dscnt 0x0
	v_mul_f64_e32 v[80:81], v[78:79], v[24:25]
	v_mul_f64_e32 v[24:25], v[76:77], v[24:25]
	s_delay_alu instid0(VALU_DEP_2) | instskip(NEXT) | instid1(VALU_DEP_2)
	v_fma_f64 v[80:81], v[76:77], v[22:23], -v[80:81]
	v_fmac_f64_e32 v[24:25], v[78:79], v[22:23]
	s_delay_alu instid0(VALU_DEP_2) | instskip(NEXT) | instid1(VALU_DEP_2)
	v_add_f64_e32 v[22:23], v[68:69], v[80:81]
	v_add_f64_e32 v[24:25], v[24:25], v[70:71]
	v_mul_f64_e32 v[68:69], v[78:79], v[84:85]
	v_mul_f64_e32 v[70:71], v[76:77], v[84:85]
	s_delay_alu instid0(VALU_DEP_2) | instskip(NEXT) | instid1(VALU_DEP_2)
	v_fma_f64 v[68:69], v[76:77], v[82:83], -v[68:69]
	v_fmac_f64_e32 v[70:71], v[78:79], v[82:83]
	ds_load_b128 v[76:79], v87 offset:1024
	ds_load_b128 v[80:83], v87 offset:1280
	v_add_f64_e32 v[4:5], v[4:5], v[68:69]
	v_add_f64_e32 v[68:69], v[70:71], v[66:67]
	s_wait_dscnt 0x1
	v_mul_f64_e32 v[66:67], v[16:17], v[78:79]
	v_mul_f64_e32 v[70:71], v[14:15], v[78:79]
	s_delay_alu instid0(VALU_DEP_2) | instskip(NEXT) | instid1(VALU_DEP_2)
	v_fma_f64 v[66:67], v[14:15], v[76:77], -v[66:67]
	v_fmac_f64_e32 v[70:71], v[16:17], v[76:77]
	s_delay_alu instid0(VALU_DEP_2) | instskip(SKIP_2) | instid1(VALU_DEP_3)
	v_add_f64_e32 v[84:85], v[72:73], v[66:67]
	s_wait_dscnt 0x0
	v_mul_f64_e32 v[66:67], v[16:17], v[82:83]
	v_add_f64_e32 v[74:75], v[70:71], v[74:75]
	s_delay_alu instid0(VALU_DEP_2) | instskip(SKIP_1) | instid1(VALU_DEP_2)
	v_fma_f64 v[66:67], v[14:15], v[80:81], -v[66:67]
	v_mul_f64_e32 v[14:15], v[14:15], v[82:83]
	v_add_f64_e32 v[90:91], v[18:19], v[66:67]
	s_delay_alu instid0(VALU_DEP_2) | instskip(NEXT) | instid1(VALU_DEP_1)
	v_fmac_f64_e32 v[14:15], v[16:17], v[80:81]
	v_add_f64_e32 v[92:93], v[14:15], v[20:21]
	ds_load_b128 v[14:17], v86 offset:8224
	s_wait_dscnt 0x0
	v_mul_f64_e32 v[18:19], v[16:17], v[78:79]
	v_mul_f64_e32 v[20:21], v[14:15], v[78:79]
	s_delay_alu instid0(VALU_DEP_2) | instskip(NEXT) | instid1(VALU_DEP_2)
	v_fma_f64 v[18:19], v[14:15], v[76:77], -v[18:19]
	v_fmac_f64_e32 v[20:21], v[16:17], v[76:77]
	s_delay_alu instid0(VALU_DEP_2) | instskip(SKIP_1) | instid1(VALU_DEP_3)
	v_add_f64_e32 v[70:71], v[22:23], v[18:19]
	v_mul_f64_e32 v[18:19], v[16:17], v[82:83]
	v_add_f64_e32 v[72:73], v[20:21], v[24:25]
	s_delay_alu instid0(VALU_DEP_2) | instskip(SKIP_1) | instid1(VALU_DEP_2)
	v_fma_f64 v[18:19], v[14:15], v[80:81], -v[18:19]
	v_mul_f64_e32 v[14:15], v[14:15], v[82:83]
	v_add_f64_e32 v[66:67], v[4:5], v[18:19]
	s_delay_alu instid0(VALU_DEP_2)
	v_fmac_f64_e32 v[14:15], v[16:17], v[80:81]
	ds_load_b128 v[18:21], v87 offset:1536
	s_wait_dscnt 0x0
	v_mul_f64_e32 v[4:5], v[12:13], v[20:21]
	v_add_f64_e32 v[68:69], v[14:15], v[68:69]
	v_mul_f64_e32 v[14:15], v[10:11], v[20:21]
	s_delay_alu instid0(VALU_DEP_3) | instskip(NEXT) | instid1(VALU_DEP_2)
	v_fma_f64 v[4:5], v[10:11], v[18:19], -v[4:5]
	v_fmac_f64_e32 v[14:15], v[12:13], v[18:19]
	s_delay_alu instid0(VALU_DEP_2) | instskip(NEXT) | instid1(VALU_DEP_2)
	v_add_f64_e32 v[22:23], v[84:85], v[4:5]
	v_add_f64_e32 v[24:25], v[14:15], v[74:75]
	ds_load_b128 v[14:17], v87 offset:1792
	ds_load_b128 v[74:77], v86 offset:8240
	s_wait_dscnt 0x1
	v_mul_f64_e32 v[4:5], v[12:13], v[16:17]
	s_delay_alu instid0(VALU_DEP_1) | instskip(SKIP_1) | instid1(VALU_DEP_2)
	v_fma_f64 v[4:5], v[10:11], v[14:15], -v[4:5]
	v_mul_f64_e32 v[10:11], v[10:11], v[16:17]
	v_add_f64_e32 v[4:5], v[90:91], v[4:5]
	s_delay_alu instid0(VALU_DEP_2) | instskip(SKIP_3) | instid1(VALU_DEP_3)
	v_fmac_f64_e32 v[10:11], v[12:13], v[14:15]
	s_wait_dscnt 0x0
	v_mul_f64_e32 v[12:13], v[76:77], v[20:21]
	v_mul_f64_e32 v[20:21], v[74:75], v[20:21]
	v_add_f64_e32 v[10:11], v[10:11], v[92:93]
	s_delay_alu instid0(VALU_DEP_3) | instskip(NEXT) | instid1(VALU_DEP_3)
	v_fma_f64 v[12:13], v[74:75], v[18:19], -v[12:13]
	v_fmac_f64_e32 v[20:21], v[76:77], v[18:19]
	s_delay_alu instid0(VALU_DEP_2) | instskip(NEXT) | instid1(VALU_DEP_2)
	v_add_f64_e32 v[12:13], v[70:71], v[12:13]
	v_add_f64_e32 v[18:19], v[20:21], v[72:73]
	v_mul_f64_e32 v[20:21], v[76:77], v[16:17]
	v_mul_f64_e32 v[16:17], v[74:75], v[16:17]
	s_delay_alu instid0(VALU_DEP_2) | instskip(NEXT) | instid1(VALU_DEP_2)
	v_fma_f64 v[20:21], v[74:75], v[14:15], -v[20:21]
	v_fmac_f64_e32 v[16:17], v[76:77], v[14:15]
	s_delay_alu instid0(VALU_DEP_2) | instskip(NEXT) | instid1(VALU_DEP_2)
	v_add_f64_e32 v[14:15], v[66:67], v[20:21]
	v_add_f64_e32 v[66:67], v[16:17], v[68:69]
	ds_load_b128 v[68:71], v86 offset:64
	ds_load_b128 v[72:75], v87 offset:2048
	s_wait_dscnt 0x0
	v_mul_f64_e32 v[16:17], v[70:71], v[74:75]
	v_mul_f64_e32 v[76:77], v[68:69], v[74:75]
	s_delay_alu instid0(VALU_DEP_2) | instskip(NEXT) | instid1(VALU_DEP_2)
	v_fma_f64 v[16:17], v[68:69], v[72:73], -v[16:17]
	v_fmac_f64_e32 v[76:77], v[70:71], v[72:73]
	s_delay_alu instid0(VALU_DEP_2) | instskip(NEXT) | instid1(VALU_DEP_2)
	v_add_f64_e32 v[20:21], v[22:23], v[16:17]
	v_add_f64_e32 v[22:23], v[76:77], v[24:25]
	ds_load_b128 v[76:79], v87 offset:2304
	s_wait_dscnt 0x0
	v_mul_f64_e32 v[16:17], v[70:71], v[78:79]
	v_mul_f64_e32 v[24:25], v[68:69], v[78:79]
	s_delay_alu instid0(VALU_DEP_2) | instskip(NEXT) | instid1(VALU_DEP_2)
	v_fma_f64 v[16:17], v[68:69], v[76:77], -v[16:17]
	v_fmac_f64_e32 v[24:25], v[70:71], v[76:77]
	ds_load_b128 v[68:71], v86 offset:8256
	v_add_f64_e32 v[4:5], v[4:5], v[16:17]
	v_add_f64_e32 v[10:11], v[24:25], v[10:11]
	s_wait_dscnt 0x0
	v_mul_f64_e32 v[16:17], v[70:71], v[74:75]
	v_mul_f64_e32 v[24:25], v[68:69], v[74:75]
	s_delay_alu instid0(VALU_DEP_2) | instskip(NEXT) | instid1(VALU_DEP_2)
	v_fma_f64 v[16:17], v[68:69], v[72:73], -v[16:17]
	v_fmac_f64_e32 v[24:25], v[70:71], v[72:73]
	s_delay_alu instid0(VALU_DEP_2) | instskip(NEXT) | instid1(VALU_DEP_2)
	v_add_f64_e32 v[16:17], v[12:13], v[16:17]
	v_add_f64_e32 v[18:19], v[24:25], v[18:19]
	v_mul_f64_e32 v[12:13], v[70:71], v[78:79]
	v_mul_f64_e32 v[24:25], v[68:69], v[78:79]
	s_delay_alu instid0(VALU_DEP_2) | instskip(NEXT) | instid1(VALU_DEP_2)
	v_fma_f64 v[12:13], v[68:69], v[76:77], -v[12:13]
	v_fmac_f64_e32 v[24:25], v[70:71], v[76:77]
	s_delay_alu instid0(VALU_DEP_2) | instskip(NEXT) | instid1(VALU_DEP_2)
	v_add_f64_e32 v[12:13], v[14:15], v[12:13]
	v_add_f64_e32 v[14:15], v[24:25], v[66:67]
	ds_load_b128 v[66:69], v86 offset:80
	ds_load_b128 v[70:73], v87 offset:2560
	s_wait_dscnt 0x0
	v_mul_f64_e32 v[74:75], v[66:67], v[72:73]
	v_mul_f64_e32 v[24:25], v[68:69], v[72:73]
	s_delay_alu instid0(VALU_DEP_2) | instskip(NEXT) | instid1(VALU_DEP_2)
	v_fmac_f64_e32 v[74:75], v[68:69], v[70:71]
	v_fma_f64 v[24:25], v[66:67], v[70:71], -v[24:25]
	s_delay_alu instid0(VALU_DEP_2) | instskip(SKIP_4) | instid1(VALU_DEP_1)
	v_add_f64_e32 v[22:23], v[74:75], v[22:23]
	ds_load_b128 v[74:77], v87 offset:2816
	v_add_f64_e32 v[20:21], v[20:21], v[24:25]
	s_wait_dscnt 0x0
	v_mul_f64_e32 v[24:25], v[68:69], v[76:77]
	v_fma_f64 v[24:25], v[66:67], v[74:75], -v[24:25]
	v_mul_f64_e32 v[66:67], v[66:67], v[76:77]
	s_delay_alu instid0(VALU_DEP_2) | instskip(NEXT) | instid1(VALU_DEP_2)
	v_add_f64_e32 v[4:5], v[4:5], v[24:25]
	v_fmac_f64_e32 v[66:67], v[68:69], v[74:75]
	s_delay_alu instid0(VALU_DEP_1) | instskip(SKIP_4) | instid1(VALU_DEP_2)
	v_add_f64_e32 v[10:11], v[66:67], v[10:11]
	ds_load_b128 v[66:69], v86 offset:8272
	s_wait_dscnt 0x0
	v_mul_f64_e32 v[24:25], v[68:69], v[72:73]
	v_mul_f64_e32 v[72:73], v[66:67], v[72:73]
	v_fma_f64 v[24:25], v[66:67], v[70:71], -v[24:25]
	s_delay_alu instid0(VALU_DEP_2) | instskip(NEXT) | instid1(VALU_DEP_2)
	v_fmac_f64_e32 v[72:73], v[68:69], v[70:71]
	v_add_f64_e32 v[16:17], v[16:17], v[24:25]
	v_mul_f64_e32 v[24:25], v[68:69], v[76:77]
	s_delay_alu instid0(VALU_DEP_3) | instskip(NEXT) | instid1(VALU_DEP_2)
	v_add_f64_e32 v[18:19], v[72:73], v[18:19]
	v_fma_f64 v[24:25], v[66:67], v[74:75], -v[24:25]
	v_mul_f64_e32 v[66:67], v[66:67], v[76:77]
	s_delay_alu instid0(VALU_DEP_2) | instskip(NEXT) | instid1(VALU_DEP_2)
	v_add_f64_e32 v[24:25], v[12:13], v[24:25]
	v_fmac_f64_e32 v[66:67], v[68:69], v[74:75]
	s_delay_alu instid0(VALU_DEP_1)
	v_add_f64_e32 v[74:75], v[66:67], v[14:15]
	ds_load_b128 v[12:15], v86 offset:96
	ds_load_b128 v[66:69], v87 offset:3072
	s_wait_dscnt 0x0
	v_mul_f64_e32 v[70:71], v[14:15], v[68:69]
	v_mul_f64_e32 v[72:73], v[12:13], v[68:69]
	s_delay_alu instid0(VALU_DEP_2) | instskip(NEXT) | instid1(VALU_DEP_2)
	v_fma_f64 v[70:71], v[12:13], v[66:67], -v[70:71]
	v_fmac_f64_e32 v[72:73], v[14:15], v[66:67]
	s_delay_alu instid0(VALU_DEP_2) | instskip(NEXT) | instid1(VALU_DEP_2)
	v_add_f64_e32 v[20:21], v[20:21], v[70:71]
	v_add_f64_e32 v[22:23], v[72:73], v[22:23]
	ds_load_b128 v[70:73], v87 offset:3328
	s_wait_dscnt 0x0
	v_mul_f64_e32 v[76:77], v[14:15], v[72:73]
	s_delay_alu instid0(VALU_DEP_1) | instskip(SKIP_1) | instid1(VALU_DEP_2)
	v_fma_f64 v[76:77], v[12:13], v[70:71], -v[76:77]
	v_mul_f64_e32 v[12:13], v[12:13], v[72:73]
	v_add_f64_e32 v[4:5], v[4:5], v[76:77]
	s_delay_alu instid0(VALU_DEP_2) | instskip(NEXT) | instid1(VALU_DEP_1)
	v_fmac_f64_e32 v[12:13], v[14:15], v[70:71]
	v_add_f64_e32 v[78:79], v[12:13], v[10:11]
	ds_load_b128 v[10:13], v86 offset:8288
	s_wait_dscnt 0x0
	v_mul_f64_e32 v[14:15], v[12:13], v[68:69]
	v_mul_f64_e32 v[68:69], v[10:11], v[68:69]
	s_delay_alu instid0(VALU_DEP_2) | instskip(NEXT) | instid1(VALU_DEP_2)
	v_fma_f64 v[14:15], v[10:11], v[66:67], -v[14:15]
	v_fmac_f64_e32 v[68:69], v[12:13], v[66:67]
	s_delay_alu instid0(VALU_DEP_2) | instskip(SKIP_1) | instid1(VALU_DEP_3)
	v_add_f64_e32 v[16:17], v[16:17], v[14:15]
	v_mul_f64_e32 v[14:15], v[12:13], v[72:73]
	v_add_f64_e32 v[18:19], v[68:69], v[18:19]
	s_delay_alu instid0(VALU_DEP_2) | instskip(SKIP_1) | instid1(VALU_DEP_1)
	v_fma_f64 v[14:15], v[10:11], v[70:71], -v[14:15]
	v_mul_f64_e32 v[10:11], v[10:11], v[72:73]
	v_fmac_f64_e32 v[10:11], v[12:13], v[70:71]
	ds_load_b128 v[66:69], v86 offset:112
	ds_load_b128 v[70:73], v87 offset:3584
	v_add_f64_e32 v[12:13], v[24:25], v[14:15]
	s_wait_dscnt 0x0
	v_mul_f64_e32 v[24:25], v[66:67], v[72:73]
	v_add_f64_e32 v[14:15], v[10:11], v[74:75]
	v_mul_f64_e32 v[10:11], v[68:69], v[72:73]
	ds_load_b128 v[74:77], v87 offset:3840
	v_fmac_f64_e32 v[24:25], v[68:69], v[70:71]
	v_fma_f64 v[10:11], v[66:67], v[70:71], -v[10:11]
	s_delay_alu instid0(VALU_DEP_2) | instskip(SKIP_2) | instid1(VALU_DEP_3)
	v_add_f64_e32 v[22:23], v[24:25], v[22:23]
	s_wait_dscnt 0x0
	v_mul_f64_e32 v[24:25], v[66:67], v[76:77]
	v_add_f64_e32 v[20:21], v[20:21], v[10:11]
	v_mul_f64_e32 v[10:11], v[68:69], v[76:77]
	s_delay_alu instid0(VALU_DEP_3) | instskip(NEXT) | instid1(VALU_DEP_2)
	v_fmac_f64_e32 v[24:25], v[68:69], v[74:75]
	v_fma_f64 v[10:11], v[66:67], v[74:75], -v[10:11]
	ds_load_b128 v[66:69], v86 offset:8304
	v_add_f64_e32 v[4:5], v[4:5], v[10:11]
	v_add_f64_e32 v[10:11], v[24:25], v[78:79]
	s_wait_dscnt 0x0
	v_mul_f64_e32 v[24:25], v[68:69], v[72:73]
	v_mul_f64_e32 v[72:73], v[66:67], v[72:73]
	s_delay_alu instid0(VALU_DEP_2) | instskip(NEXT) | instid1(VALU_DEP_2)
	v_fma_f64 v[24:25], v[66:67], v[70:71], -v[24:25]
	v_fmac_f64_e32 v[72:73], v[68:69], v[70:71]
	s_delay_alu instid0(VALU_DEP_2) | instskip(SKIP_1) | instid1(VALU_DEP_3)
	v_add_f64_e32 v[16:17], v[16:17], v[24:25]
	v_mul_f64_e32 v[24:25], v[68:69], v[76:77]
	v_add_f64_e32 v[18:19], v[72:73], v[18:19]
	s_delay_alu instid0(VALU_DEP_2) | instskip(SKIP_1) | instid1(VALU_DEP_2)
	v_fma_f64 v[24:25], v[66:67], v[74:75], -v[24:25]
	v_mul_f64_e32 v[66:67], v[66:67], v[76:77]
	v_add_f64_e32 v[24:25], v[12:13], v[24:25]
	s_delay_alu instid0(VALU_DEP_2) | instskip(NEXT) | instid1(VALU_DEP_1)
	v_fmac_f64_e32 v[66:67], v[68:69], v[74:75]
	v_add_f64_e32 v[74:75], v[66:67], v[14:15]
	ds_load_b128 v[12:15], v86 offset:128
	ds_load_b128 v[66:69], v87 offset:4096
	s_wait_dscnt 0x0
	v_mul_f64_e32 v[70:71], v[14:15], v[68:69]
	v_mul_f64_e32 v[72:73], v[12:13], v[68:69]
	s_delay_alu instid0(VALU_DEP_2) | instskip(NEXT) | instid1(VALU_DEP_2)
	v_fma_f64 v[70:71], v[12:13], v[66:67], -v[70:71]
	v_fmac_f64_e32 v[72:73], v[14:15], v[66:67]
	s_delay_alu instid0(VALU_DEP_2) | instskip(NEXT) | instid1(VALU_DEP_2)
	v_add_f64_e32 v[20:21], v[20:21], v[70:71]
	v_add_f64_e32 v[22:23], v[72:73], v[22:23]
	ds_load_b128 v[70:73], v87 offset:4352
	s_wait_dscnt 0x0
	v_mul_f64_e32 v[76:77], v[14:15], v[72:73]
	s_delay_alu instid0(VALU_DEP_1) | instskip(SKIP_1) | instid1(VALU_DEP_2)
	v_fma_f64 v[76:77], v[12:13], v[70:71], -v[76:77]
	v_mul_f64_e32 v[12:13], v[12:13], v[72:73]
	v_add_f64_e32 v[4:5], v[4:5], v[76:77]
	s_delay_alu instid0(VALU_DEP_2) | instskip(NEXT) | instid1(VALU_DEP_1)
	v_fmac_f64_e32 v[12:13], v[14:15], v[70:71]
	v_add_f64_e32 v[78:79], v[12:13], v[10:11]
	ds_load_b128 v[10:13], v86 offset:8320
	s_wait_dscnt 0x0
	v_mul_f64_e32 v[14:15], v[12:13], v[68:69]
	v_mul_f64_e32 v[68:69], v[10:11], v[68:69]
	s_delay_alu instid0(VALU_DEP_2) | instskip(NEXT) | instid1(VALU_DEP_2)
	v_fma_f64 v[14:15], v[10:11], v[66:67], -v[14:15]
	v_fmac_f64_e32 v[68:69], v[12:13], v[66:67]
	s_delay_alu instid0(VALU_DEP_2) | instskip(SKIP_1) | instid1(VALU_DEP_3)
	v_add_f64_e32 v[16:17], v[16:17], v[14:15]
	v_mul_f64_e32 v[14:15], v[12:13], v[72:73]
	v_add_f64_e32 v[18:19], v[68:69], v[18:19]
	s_delay_alu instid0(VALU_DEP_2) | instskip(SKIP_1) | instid1(VALU_DEP_1)
	v_fma_f64 v[14:15], v[10:11], v[70:71], -v[14:15]
	v_mul_f64_e32 v[10:11], v[10:11], v[72:73]
	v_fmac_f64_e32 v[10:11], v[12:13], v[70:71]
	ds_load_b128 v[66:69], v86 offset:144
	ds_load_b128 v[70:73], v87 offset:4608
	v_add_f64_e32 v[12:13], v[24:25], v[14:15]
	s_wait_dscnt 0x0
	v_mul_f64_e32 v[24:25], v[66:67], v[72:73]
	v_add_f64_e32 v[14:15], v[10:11], v[74:75]
	v_mul_f64_e32 v[10:11], v[68:69], v[72:73]
	ds_load_b128 v[74:77], v87 offset:4864
	v_fmac_f64_e32 v[24:25], v[68:69], v[70:71]
	v_fma_f64 v[10:11], v[66:67], v[70:71], -v[10:11]
	s_delay_alu instid0(VALU_DEP_2) | instskip(SKIP_2) | instid1(VALU_DEP_3)
	v_add_f64_e32 v[22:23], v[24:25], v[22:23]
	s_wait_dscnt 0x0
	v_mul_f64_e32 v[24:25], v[66:67], v[76:77]
	v_add_f64_e32 v[20:21], v[20:21], v[10:11]
	v_mul_f64_e32 v[10:11], v[68:69], v[76:77]
	s_delay_alu instid0(VALU_DEP_3) | instskip(NEXT) | instid1(VALU_DEP_2)
	v_fmac_f64_e32 v[24:25], v[68:69], v[74:75]
	v_fma_f64 v[10:11], v[66:67], v[74:75], -v[10:11]
	ds_load_b128 v[66:69], v86 offset:8336
	v_add_f64_e32 v[4:5], v[4:5], v[10:11]
	v_add_f64_e32 v[10:11], v[24:25], v[78:79]
	s_wait_dscnt 0x0
	v_mul_f64_e32 v[24:25], v[68:69], v[72:73]
	v_mul_f64_e32 v[72:73], v[66:67], v[72:73]
	s_delay_alu instid0(VALU_DEP_2) | instskip(NEXT) | instid1(VALU_DEP_2)
	v_fma_f64 v[24:25], v[66:67], v[70:71], -v[24:25]
	v_fmac_f64_e32 v[72:73], v[68:69], v[70:71]
	s_delay_alu instid0(VALU_DEP_2) | instskip(SKIP_1) | instid1(VALU_DEP_3)
	v_add_f64_e32 v[16:17], v[16:17], v[24:25]
	v_mul_f64_e32 v[24:25], v[68:69], v[76:77]
	v_add_f64_e32 v[18:19], v[72:73], v[18:19]
	s_delay_alu instid0(VALU_DEP_2) | instskip(SKIP_1) | instid1(VALU_DEP_2)
	v_fma_f64 v[24:25], v[66:67], v[74:75], -v[24:25]
	v_mul_f64_e32 v[66:67], v[66:67], v[76:77]
	v_add_f64_e32 v[24:25], v[12:13], v[24:25]
	s_delay_alu instid0(VALU_DEP_2) | instskip(NEXT) | instid1(VALU_DEP_1)
	v_fmac_f64_e32 v[66:67], v[68:69], v[74:75]
	v_add_f64_e32 v[74:75], v[66:67], v[14:15]
	ds_load_b128 v[12:15], v86 offset:160
	ds_load_b128 v[66:69], v87 offset:5120
	s_wait_dscnt 0x0
	v_mul_f64_e32 v[70:71], v[14:15], v[68:69]
	v_mul_f64_e32 v[72:73], v[12:13], v[68:69]
	s_delay_alu instid0(VALU_DEP_2) | instskip(NEXT) | instid1(VALU_DEP_2)
	v_fma_f64 v[70:71], v[12:13], v[66:67], -v[70:71]
	v_fmac_f64_e32 v[72:73], v[14:15], v[66:67]
	s_delay_alu instid0(VALU_DEP_2) | instskip(NEXT) | instid1(VALU_DEP_2)
	v_add_f64_e32 v[20:21], v[20:21], v[70:71]
	v_add_f64_e32 v[22:23], v[72:73], v[22:23]
	ds_load_b128 v[70:73], v87 offset:5376
	s_wait_dscnt 0x0
	v_mul_f64_e32 v[76:77], v[14:15], v[72:73]
	s_delay_alu instid0(VALU_DEP_1) | instskip(SKIP_1) | instid1(VALU_DEP_2)
	v_fma_f64 v[76:77], v[12:13], v[70:71], -v[76:77]
	v_mul_f64_e32 v[12:13], v[12:13], v[72:73]
	v_add_f64_e32 v[4:5], v[4:5], v[76:77]
	s_delay_alu instid0(VALU_DEP_2) | instskip(NEXT) | instid1(VALU_DEP_1)
	v_fmac_f64_e32 v[12:13], v[14:15], v[70:71]
	v_add_f64_e32 v[78:79], v[12:13], v[10:11]
	ds_load_b128 v[10:13], v86 offset:8352
	s_wait_dscnt 0x0
	v_mul_f64_e32 v[14:15], v[12:13], v[68:69]
	v_mul_f64_e32 v[68:69], v[10:11], v[68:69]
	s_delay_alu instid0(VALU_DEP_2) | instskip(NEXT) | instid1(VALU_DEP_2)
	v_fma_f64 v[14:15], v[10:11], v[66:67], -v[14:15]
	v_fmac_f64_e32 v[68:69], v[12:13], v[66:67]
	s_delay_alu instid0(VALU_DEP_2) | instskip(SKIP_1) | instid1(VALU_DEP_3)
	v_add_f64_e32 v[16:17], v[16:17], v[14:15]
	v_mul_f64_e32 v[14:15], v[12:13], v[72:73]
	v_add_f64_e32 v[18:19], v[68:69], v[18:19]
	s_delay_alu instid0(VALU_DEP_2) | instskip(SKIP_1) | instid1(VALU_DEP_1)
	v_fma_f64 v[14:15], v[10:11], v[70:71], -v[14:15]
	v_mul_f64_e32 v[10:11], v[10:11], v[72:73]
	v_fmac_f64_e32 v[10:11], v[12:13], v[70:71]
	ds_load_b128 v[66:69], v86 offset:176
	ds_load_b128 v[70:73], v87 offset:5632
	v_add_f64_e32 v[12:13], v[24:25], v[14:15]
	s_wait_dscnt 0x0
	v_mul_f64_e32 v[24:25], v[66:67], v[72:73]
	v_add_f64_e32 v[14:15], v[10:11], v[74:75]
	v_mul_f64_e32 v[10:11], v[68:69], v[72:73]
	ds_load_b128 v[74:77], v87 offset:5888
	v_fmac_f64_e32 v[24:25], v[68:69], v[70:71]
	v_fma_f64 v[10:11], v[66:67], v[70:71], -v[10:11]
	s_delay_alu instid0(VALU_DEP_2) | instskip(SKIP_2) | instid1(VALU_DEP_3)
	v_add_f64_e32 v[22:23], v[24:25], v[22:23]
	s_wait_dscnt 0x0
	v_mul_f64_e32 v[24:25], v[66:67], v[76:77]
	v_add_f64_e32 v[20:21], v[20:21], v[10:11]
	v_mul_f64_e32 v[10:11], v[68:69], v[76:77]
	s_delay_alu instid0(VALU_DEP_3) | instskip(NEXT) | instid1(VALU_DEP_2)
	v_fmac_f64_e32 v[24:25], v[68:69], v[74:75]
	v_fma_f64 v[10:11], v[66:67], v[74:75], -v[10:11]
	ds_load_b128 v[66:69], v86 offset:8368
	v_add_f64_e32 v[4:5], v[4:5], v[10:11]
	v_add_f64_e32 v[10:11], v[24:25], v[78:79]
	s_wait_dscnt 0x0
	v_mul_f64_e32 v[24:25], v[68:69], v[72:73]
	v_mul_f64_e32 v[72:73], v[66:67], v[72:73]
	s_delay_alu instid0(VALU_DEP_2) | instskip(NEXT) | instid1(VALU_DEP_2)
	v_fma_f64 v[24:25], v[66:67], v[70:71], -v[24:25]
	v_fmac_f64_e32 v[72:73], v[68:69], v[70:71]
	s_delay_alu instid0(VALU_DEP_2) | instskip(SKIP_1) | instid1(VALU_DEP_3)
	v_add_f64_e32 v[16:17], v[16:17], v[24:25]
	v_mul_f64_e32 v[24:25], v[68:69], v[76:77]
	v_add_f64_e32 v[18:19], v[72:73], v[18:19]
	s_delay_alu instid0(VALU_DEP_2) | instskip(SKIP_1) | instid1(VALU_DEP_2)
	v_fma_f64 v[24:25], v[66:67], v[74:75], -v[24:25]
	v_mul_f64_e32 v[66:67], v[66:67], v[76:77]
	v_add_f64_e32 v[24:25], v[12:13], v[24:25]
	s_delay_alu instid0(VALU_DEP_2) | instskip(NEXT) | instid1(VALU_DEP_1)
	v_fmac_f64_e32 v[66:67], v[68:69], v[74:75]
	v_add_f64_e32 v[74:75], v[66:67], v[14:15]
	ds_load_b128 v[12:15], v86 offset:192
	ds_load_b128 v[66:69], v87 offset:6144
	s_wait_dscnt 0x0
	v_mul_f64_e32 v[70:71], v[14:15], v[68:69]
	v_mul_f64_e32 v[72:73], v[12:13], v[68:69]
	s_delay_alu instid0(VALU_DEP_2) | instskip(NEXT) | instid1(VALU_DEP_2)
	v_fma_f64 v[70:71], v[12:13], v[66:67], -v[70:71]
	v_fmac_f64_e32 v[72:73], v[14:15], v[66:67]
	s_delay_alu instid0(VALU_DEP_2) | instskip(NEXT) | instid1(VALU_DEP_2)
	v_add_f64_e32 v[20:21], v[20:21], v[70:71]
	v_add_f64_e32 v[22:23], v[72:73], v[22:23]
	ds_load_b128 v[70:73], v87 offset:6400
	s_wait_dscnt 0x0
	v_mul_f64_e32 v[76:77], v[14:15], v[72:73]
	s_delay_alu instid0(VALU_DEP_1) | instskip(SKIP_1) | instid1(VALU_DEP_2)
	v_fma_f64 v[76:77], v[12:13], v[70:71], -v[76:77]
	v_mul_f64_e32 v[12:13], v[12:13], v[72:73]
	v_add_f64_e32 v[4:5], v[4:5], v[76:77]
	s_delay_alu instid0(VALU_DEP_2) | instskip(NEXT) | instid1(VALU_DEP_1)
	v_fmac_f64_e32 v[12:13], v[14:15], v[70:71]
	v_add_f64_e32 v[78:79], v[12:13], v[10:11]
	ds_load_b128 v[10:13], v86 offset:8384
	s_wait_dscnt 0x0
	v_mul_f64_e32 v[14:15], v[12:13], v[68:69]
	v_mul_f64_e32 v[68:69], v[10:11], v[68:69]
	s_delay_alu instid0(VALU_DEP_2) | instskip(NEXT) | instid1(VALU_DEP_2)
	v_fma_f64 v[14:15], v[10:11], v[66:67], -v[14:15]
	v_fmac_f64_e32 v[68:69], v[12:13], v[66:67]
	s_delay_alu instid0(VALU_DEP_2) | instskip(SKIP_1) | instid1(VALU_DEP_3)
	v_add_f64_e32 v[16:17], v[16:17], v[14:15]
	v_mul_f64_e32 v[14:15], v[12:13], v[72:73]
	v_add_f64_e32 v[18:19], v[68:69], v[18:19]
	s_delay_alu instid0(VALU_DEP_2) | instskip(SKIP_1) | instid1(VALU_DEP_1)
	v_fma_f64 v[14:15], v[10:11], v[70:71], -v[14:15]
	v_mul_f64_e32 v[10:11], v[10:11], v[72:73]
	v_fmac_f64_e32 v[10:11], v[12:13], v[70:71]
	ds_load_b128 v[66:69], v86 offset:208
	ds_load_b128 v[70:73], v87 offset:6656
	v_add_f64_e32 v[12:13], v[24:25], v[14:15]
	s_wait_dscnt 0x0
	v_mul_f64_e32 v[24:25], v[66:67], v[72:73]
	v_add_f64_e32 v[14:15], v[10:11], v[74:75]
	v_mul_f64_e32 v[10:11], v[68:69], v[72:73]
	ds_load_b128 v[74:77], v87 offset:6912
	v_fmac_f64_e32 v[24:25], v[68:69], v[70:71]
	v_fma_f64 v[10:11], v[66:67], v[70:71], -v[10:11]
	s_delay_alu instid0(VALU_DEP_2) | instskip(SKIP_2) | instid1(VALU_DEP_3)
	v_add_f64_e32 v[22:23], v[24:25], v[22:23]
	s_wait_dscnt 0x0
	v_mul_f64_e32 v[24:25], v[66:67], v[76:77]
	v_add_f64_e32 v[20:21], v[20:21], v[10:11]
	v_mul_f64_e32 v[10:11], v[68:69], v[76:77]
	s_delay_alu instid0(VALU_DEP_3) | instskip(NEXT) | instid1(VALU_DEP_2)
	v_fmac_f64_e32 v[24:25], v[68:69], v[74:75]
	v_fma_f64 v[10:11], v[66:67], v[74:75], -v[10:11]
	ds_load_b128 v[66:69], v86 offset:8400
	v_add_f64_e32 v[4:5], v[4:5], v[10:11]
	v_add_f64_e32 v[10:11], v[24:25], v[78:79]
	s_wait_dscnt 0x0
	v_mul_f64_e32 v[24:25], v[68:69], v[72:73]
	v_mul_f64_e32 v[72:73], v[66:67], v[72:73]
	s_delay_alu instid0(VALU_DEP_2) | instskip(NEXT) | instid1(VALU_DEP_2)
	v_fma_f64 v[24:25], v[66:67], v[70:71], -v[24:25]
	v_fmac_f64_e32 v[72:73], v[68:69], v[70:71]
	s_delay_alu instid0(VALU_DEP_2) | instskip(SKIP_1) | instid1(VALU_DEP_3)
	v_add_f64_e32 v[16:17], v[16:17], v[24:25]
	v_mul_f64_e32 v[24:25], v[68:69], v[76:77]
	v_add_f64_e32 v[18:19], v[72:73], v[18:19]
	s_delay_alu instid0(VALU_DEP_2) | instskip(SKIP_1) | instid1(VALU_DEP_2)
	v_fma_f64 v[24:25], v[66:67], v[74:75], -v[24:25]
	v_mul_f64_e32 v[66:67], v[66:67], v[76:77]
	v_add_f64_e32 v[24:25], v[12:13], v[24:25]
	s_delay_alu instid0(VALU_DEP_2) | instskip(NEXT) | instid1(VALU_DEP_1)
	v_fmac_f64_e32 v[66:67], v[68:69], v[74:75]
	v_add_f64_e32 v[74:75], v[66:67], v[14:15]
	ds_load_b128 v[12:15], v86 offset:224
	ds_load_b128 v[66:69], v87 offset:7168
	s_wait_dscnt 0x0
	v_mul_f64_e32 v[70:71], v[14:15], v[68:69]
	v_mul_f64_e32 v[72:73], v[12:13], v[68:69]
	s_delay_alu instid0(VALU_DEP_2) | instskip(NEXT) | instid1(VALU_DEP_2)
	v_fma_f64 v[70:71], v[12:13], v[66:67], -v[70:71]
	v_fmac_f64_e32 v[72:73], v[14:15], v[66:67]
	s_delay_alu instid0(VALU_DEP_2) | instskip(NEXT) | instid1(VALU_DEP_2)
	v_add_f64_e32 v[20:21], v[20:21], v[70:71]
	v_add_f64_e32 v[22:23], v[72:73], v[22:23]
	ds_load_b128 v[70:73], v87 offset:7424
	s_wait_dscnt 0x0
	v_mul_f64_e32 v[76:77], v[14:15], v[72:73]
	s_delay_alu instid0(VALU_DEP_1) | instskip(SKIP_1) | instid1(VALU_DEP_2)
	v_fma_f64 v[76:77], v[12:13], v[70:71], -v[76:77]
	v_mul_f64_e32 v[12:13], v[12:13], v[72:73]
	v_add_f64_e32 v[4:5], v[4:5], v[76:77]
	s_delay_alu instid0(VALU_DEP_2) | instskip(NEXT) | instid1(VALU_DEP_1)
	v_fmac_f64_e32 v[12:13], v[14:15], v[70:71]
	v_add_f64_e32 v[78:79], v[12:13], v[10:11]
	ds_load_b128 v[10:13], v86 offset:8416
	s_wait_dscnt 0x0
	v_mul_f64_e32 v[14:15], v[12:13], v[68:69]
	v_mul_f64_e32 v[68:69], v[10:11], v[68:69]
	s_delay_alu instid0(VALU_DEP_2) | instskip(NEXT) | instid1(VALU_DEP_2)
	v_fma_f64 v[14:15], v[10:11], v[66:67], -v[14:15]
	v_fmac_f64_e32 v[68:69], v[12:13], v[66:67]
	s_delay_alu instid0(VALU_DEP_2) | instskip(SKIP_1) | instid1(VALU_DEP_3)
	v_add_f64_e32 v[16:17], v[16:17], v[14:15]
	v_mul_f64_e32 v[14:15], v[12:13], v[72:73]
	v_add_f64_e32 v[18:19], v[68:69], v[18:19]
	s_delay_alu instid0(VALU_DEP_2) | instskip(SKIP_1) | instid1(VALU_DEP_1)
	v_fma_f64 v[14:15], v[10:11], v[70:71], -v[14:15]
	v_mul_f64_e32 v[10:11], v[10:11], v[72:73]
	v_fmac_f64_e32 v[10:11], v[12:13], v[70:71]
	ds_load_b128 v[66:69], v86 offset:240
	ds_load_b128 v[70:73], v87 offset:7680
	v_add_f64_e32 v[12:13], v[24:25], v[14:15]
	s_wait_dscnt 0x0
	v_mul_f64_e32 v[24:25], v[66:67], v[72:73]
	v_add_f64_e32 v[14:15], v[10:11], v[74:75]
	v_mul_f64_e32 v[10:11], v[68:69], v[72:73]
	ds_load_b128 v[74:77], v87 offset:7936
	v_fmac_f64_e32 v[24:25], v[68:69], v[70:71]
	v_fma_f64 v[10:11], v[66:67], v[70:71], -v[10:11]
	s_delay_alu instid0(VALU_DEP_2) | instskip(SKIP_2) | instid1(VALU_DEP_3)
	v_add_f64_e32 v[22:23], v[24:25], v[22:23]
	s_wait_dscnt 0x0
	v_mul_f64_e32 v[24:25], v[66:67], v[76:77]
	v_add_f64_e32 v[20:21], v[20:21], v[10:11]
	v_mul_f64_e32 v[10:11], v[68:69], v[76:77]
	s_delay_alu instid0(VALU_DEP_3) | instskip(NEXT) | instid1(VALU_DEP_2)
	v_fmac_f64_e32 v[24:25], v[68:69], v[74:75]
	v_fma_f64 v[10:11], v[66:67], v[74:75], -v[10:11]
	ds_load_b128 v[66:69], v86 offset:8432
	v_add_f64_e32 v[4:5], v[4:5], v[10:11]
	v_add_f64_e32 v[10:11], v[24:25], v[78:79]
	s_wait_dscnt 0x0
	v_mul_f64_e32 v[24:25], v[68:69], v[72:73]
	v_mul_f64_e32 v[72:73], v[66:67], v[72:73]
	s_delay_alu instid0(VALU_DEP_2) | instskip(NEXT) | instid1(VALU_DEP_2)
	v_fma_f64 v[24:25], v[66:67], v[70:71], -v[24:25]
	v_fmac_f64_e32 v[72:73], v[68:69], v[70:71]
	s_delay_alu instid0(VALU_DEP_2) | instskip(SKIP_1) | instid1(VALU_DEP_3)
	v_add_f64_e32 v[16:17], v[16:17], v[24:25]
	v_mul_f64_e32 v[24:25], v[68:69], v[76:77]
	v_add_f64_e32 v[18:19], v[72:73], v[18:19]
	s_delay_alu instid0(VALU_DEP_2) | instskip(SKIP_1) | instid1(VALU_DEP_2)
	v_fma_f64 v[24:25], v[66:67], v[74:75], -v[24:25]
	v_mul_f64_e32 v[66:67], v[66:67], v[76:77]
	v_add_f64_e32 v[24:25], v[12:13], v[24:25]
	s_delay_alu instid0(VALU_DEP_2) | instskip(NEXT) | instid1(VALU_DEP_1)
	v_fmac_f64_e32 v[66:67], v[68:69], v[74:75]
	v_add_f64_e32 v[74:75], v[66:67], v[14:15]
	ds_load_b128 v[12:15], v86 offset:256
	ds_load_b128 v[66:69], v87 offset:8192
	s_wait_dscnt 0x0
	v_mul_f64_e32 v[70:71], v[14:15], v[68:69]
	v_mul_f64_e32 v[72:73], v[12:13], v[68:69]
	s_delay_alu instid0(VALU_DEP_2) | instskip(NEXT) | instid1(VALU_DEP_2)
	v_fma_f64 v[70:71], v[12:13], v[66:67], -v[70:71]
	v_fmac_f64_e32 v[72:73], v[14:15], v[66:67]
	s_delay_alu instid0(VALU_DEP_2) | instskip(NEXT) | instid1(VALU_DEP_2)
	v_add_f64_e32 v[20:21], v[20:21], v[70:71]
	v_add_f64_e32 v[22:23], v[72:73], v[22:23]
	ds_load_b128 v[70:73], v87 offset:8448
	s_wait_dscnt 0x0
	v_mul_f64_e32 v[76:77], v[14:15], v[72:73]
	s_delay_alu instid0(VALU_DEP_1) | instskip(SKIP_1) | instid1(VALU_DEP_2)
	v_fma_f64 v[76:77], v[12:13], v[70:71], -v[76:77]
	v_mul_f64_e32 v[12:13], v[12:13], v[72:73]
	v_add_f64_e32 v[4:5], v[4:5], v[76:77]
	s_delay_alu instid0(VALU_DEP_2) | instskip(NEXT) | instid1(VALU_DEP_1)
	v_fmac_f64_e32 v[12:13], v[14:15], v[70:71]
	v_add_f64_e32 v[78:79], v[12:13], v[10:11]
	ds_load_b128 v[10:13], v86 offset:8448
	s_wait_dscnt 0x0
	v_mul_f64_e32 v[14:15], v[12:13], v[68:69]
	v_mul_f64_e32 v[68:69], v[10:11], v[68:69]
	s_delay_alu instid0(VALU_DEP_2) | instskip(NEXT) | instid1(VALU_DEP_2)
	v_fma_f64 v[14:15], v[10:11], v[66:67], -v[14:15]
	v_fmac_f64_e32 v[68:69], v[12:13], v[66:67]
	s_delay_alu instid0(VALU_DEP_2) | instskip(SKIP_1) | instid1(VALU_DEP_3)
	v_add_f64_e32 v[16:17], v[16:17], v[14:15]
	v_mul_f64_e32 v[14:15], v[12:13], v[72:73]
	v_add_f64_e32 v[18:19], v[68:69], v[18:19]
	s_delay_alu instid0(VALU_DEP_2) | instskip(SKIP_1) | instid1(VALU_DEP_1)
	v_fma_f64 v[14:15], v[10:11], v[70:71], -v[14:15]
	v_mul_f64_e32 v[10:11], v[10:11], v[72:73]
	v_fmac_f64_e32 v[10:11], v[12:13], v[70:71]
	ds_load_b128 v[66:69], v86 offset:272
	ds_load_b128 v[70:73], v87 offset:8704
	v_add_f64_e32 v[12:13], v[24:25], v[14:15]
	s_wait_dscnt 0x0
	v_mul_f64_e32 v[24:25], v[66:67], v[72:73]
	v_add_f64_e32 v[14:15], v[10:11], v[74:75]
	v_mul_f64_e32 v[10:11], v[68:69], v[72:73]
	ds_load_b128 v[74:77], v87 offset:8960
	v_fmac_f64_e32 v[24:25], v[68:69], v[70:71]
	v_fma_f64 v[10:11], v[66:67], v[70:71], -v[10:11]
	s_delay_alu instid0(VALU_DEP_2) | instskip(SKIP_2) | instid1(VALU_DEP_3)
	v_add_f64_e32 v[22:23], v[24:25], v[22:23]
	s_wait_dscnt 0x0
	v_mul_f64_e32 v[24:25], v[66:67], v[76:77]
	v_add_f64_e32 v[20:21], v[20:21], v[10:11]
	v_mul_f64_e32 v[10:11], v[68:69], v[76:77]
	s_delay_alu instid0(VALU_DEP_3) | instskip(NEXT) | instid1(VALU_DEP_2)
	v_fmac_f64_e32 v[24:25], v[68:69], v[74:75]
	v_fma_f64 v[10:11], v[66:67], v[74:75], -v[10:11]
	ds_load_b128 v[66:69], v86 offset:8464
	v_add_f64_e32 v[4:5], v[4:5], v[10:11]
	v_add_f64_e32 v[10:11], v[24:25], v[78:79]
	s_wait_dscnt 0x0
	v_mul_f64_e32 v[24:25], v[68:69], v[72:73]
	v_mul_f64_e32 v[72:73], v[66:67], v[72:73]
	s_delay_alu instid0(VALU_DEP_2) | instskip(NEXT) | instid1(VALU_DEP_2)
	v_fma_f64 v[24:25], v[66:67], v[70:71], -v[24:25]
	v_fmac_f64_e32 v[72:73], v[68:69], v[70:71]
	s_delay_alu instid0(VALU_DEP_2) | instskip(SKIP_1) | instid1(VALU_DEP_3)
	v_add_f64_e32 v[16:17], v[16:17], v[24:25]
	v_mul_f64_e32 v[24:25], v[68:69], v[76:77]
	v_add_f64_e32 v[18:19], v[72:73], v[18:19]
	s_delay_alu instid0(VALU_DEP_2) | instskip(SKIP_1) | instid1(VALU_DEP_2)
	v_fma_f64 v[24:25], v[66:67], v[74:75], -v[24:25]
	v_mul_f64_e32 v[66:67], v[66:67], v[76:77]
	v_add_f64_e32 v[24:25], v[12:13], v[24:25]
	s_delay_alu instid0(VALU_DEP_2) | instskip(NEXT) | instid1(VALU_DEP_1)
	v_fmac_f64_e32 v[66:67], v[68:69], v[74:75]
	v_add_f64_e32 v[74:75], v[66:67], v[14:15]
	ds_load_b128 v[12:15], v86 offset:288
	ds_load_b128 v[66:69], v87 offset:9216
	s_wait_dscnt 0x0
	v_mul_f64_e32 v[70:71], v[14:15], v[68:69]
	v_mul_f64_e32 v[72:73], v[12:13], v[68:69]
	s_delay_alu instid0(VALU_DEP_2) | instskip(NEXT) | instid1(VALU_DEP_2)
	v_fma_f64 v[70:71], v[12:13], v[66:67], -v[70:71]
	v_fmac_f64_e32 v[72:73], v[14:15], v[66:67]
	s_delay_alu instid0(VALU_DEP_2) | instskip(NEXT) | instid1(VALU_DEP_2)
	v_add_f64_e32 v[20:21], v[20:21], v[70:71]
	v_add_f64_e32 v[22:23], v[72:73], v[22:23]
	ds_load_b128 v[70:73], v87 offset:9472
	s_wait_dscnt 0x0
	v_mul_f64_e32 v[76:77], v[14:15], v[72:73]
	s_delay_alu instid0(VALU_DEP_1) | instskip(SKIP_1) | instid1(VALU_DEP_2)
	v_fma_f64 v[76:77], v[12:13], v[70:71], -v[76:77]
	v_mul_f64_e32 v[12:13], v[12:13], v[72:73]
	v_add_f64_e32 v[4:5], v[4:5], v[76:77]
	s_delay_alu instid0(VALU_DEP_2) | instskip(NEXT) | instid1(VALU_DEP_1)
	v_fmac_f64_e32 v[12:13], v[14:15], v[70:71]
	v_add_f64_e32 v[78:79], v[12:13], v[10:11]
	ds_load_b128 v[10:13], v86 offset:8480
	s_wait_dscnt 0x0
	v_mul_f64_e32 v[14:15], v[12:13], v[68:69]
	v_mul_f64_e32 v[68:69], v[10:11], v[68:69]
	s_delay_alu instid0(VALU_DEP_2) | instskip(NEXT) | instid1(VALU_DEP_2)
	v_fma_f64 v[14:15], v[10:11], v[66:67], -v[14:15]
	v_fmac_f64_e32 v[68:69], v[12:13], v[66:67]
	s_delay_alu instid0(VALU_DEP_2) | instskip(SKIP_1) | instid1(VALU_DEP_3)
	v_add_f64_e32 v[16:17], v[16:17], v[14:15]
	v_mul_f64_e32 v[14:15], v[12:13], v[72:73]
	v_add_f64_e32 v[18:19], v[68:69], v[18:19]
	s_delay_alu instid0(VALU_DEP_2) | instskip(SKIP_1) | instid1(VALU_DEP_1)
	v_fma_f64 v[14:15], v[10:11], v[70:71], -v[14:15]
	v_mul_f64_e32 v[10:11], v[10:11], v[72:73]
	v_fmac_f64_e32 v[10:11], v[12:13], v[70:71]
	ds_load_b128 v[66:69], v86 offset:304
	ds_load_b128 v[70:73], v87 offset:9728
	v_add_f64_e32 v[12:13], v[24:25], v[14:15]
	s_wait_dscnt 0x0
	v_mul_f64_e32 v[24:25], v[66:67], v[72:73]
	v_add_f64_e32 v[14:15], v[10:11], v[74:75]
	v_mul_f64_e32 v[10:11], v[68:69], v[72:73]
	ds_load_b128 v[74:77], v87 offset:9984
	v_fmac_f64_e32 v[24:25], v[68:69], v[70:71]
	v_fma_f64 v[10:11], v[66:67], v[70:71], -v[10:11]
	s_delay_alu instid0(VALU_DEP_2) | instskip(SKIP_2) | instid1(VALU_DEP_3)
	v_add_f64_e32 v[22:23], v[24:25], v[22:23]
	s_wait_dscnt 0x0
	v_mul_f64_e32 v[24:25], v[66:67], v[76:77]
	v_add_f64_e32 v[20:21], v[20:21], v[10:11]
	v_mul_f64_e32 v[10:11], v[68:69], v[76:77]
	s_delay_alu instid0(VALU_DEP_3) | instskip(NEXT) | instid1(VALU_DEP_2)
	v_fmac_f64_e32 v[24:25], v[68:69], v[74:75]
	v_fma_f64 v[10:11], v[66:67], v[74:75], -v[10:11]
	ds_load_b128 v[66:69], v86 offset:8496
	v_add_f64_e32 v[4:5], v[4:5], v[10:11]
	v_add_f64_e32 v[10:11], v[24:25], v[78:79]
	s_wait_dscnt 0x0
	v_mul_f64_e32 v[24:25], v[68:69], v[72:73]
	v_mul_f64_e32 v[72:73], v[66:67], v[72:73]
	s_delay_alu instid0(VALU_DEP_2) | instskip(NEXT) | instid1(VALU_DEP_2)
	v_fma_f64 v[24:25], v[66:67], v[70:71], -v[24:25]
	v_fmac_f64_e32 v[72:73], v[68:69], v[70:71]
	s_delay_alu instid0(VALU_DEP_2) | instskip(SKIP_1) | instid1(VALU_DEP_3)
	v_add_f64_e32 v[16:17], v[16:17], v[24:25]
	v_mul_f64_e32 v[24:25], v[68:69], v[76:77]
	v_add_f64_e32 v[18:19], v[72:73], v[18:19]
	s_delay_alu instid0(VALU_DEP_2) | instskip(SKIP_1) | instid1(VALU_DEP_2)
	v_fma_f64 v[24:25], v[66:67], v[74:75], -v[24:25]
	v_mul_f64_e32 v[66:67], v[66:67], v[76:77]
	v_add_f64_e32 v[24:25], v[12:13], v[24:25]
	s_delay_alu instid0(VALU_DEP_2) | instskip(NEXT) | instid1(VALU_DEP_1)
	v_fmac_f64_e32 v[66:67], v[68:69], v[74:75]
	v_add_f64_e32 v[74:75], v[66:67], v[14:15]
	ds_load_b128 v[12:15], v86 offset:320
	ds_load_b128 v[66:69], v87 offset:10240
	s_wait_dscnt 0x0
	v_mul_f64_e32 v[70:71], v[14:15], v[68:69]
	v_mul_f64_e32 v[72:73], v[12:13], v[68:69]
	s_delay_alu instid0(VALU_DEP_2) | instskip(NEXT) | instid1(VALU_DEP_2)
	v_fma_f64 v[70:71], v[12:13], v[66:67], -v[70:71]
	v_fmac_f64_e32 v[72:73], v[14:15], v[66:67]
	s_delay_alu instid0(VALU_DEP_2) | instskip(NEXT) | instid1(VALU_DEP_2)
	v_add_f64_e32 v[20:21], v[20:21], v[70:71]
	v_add_f64_e32 v[22:23], v[72:73], v[22:23]
	ds_load_b128 v[70:73], v87 offset:10496
	s_wait_dscnt 0x0
	v_mul_f64_e32 v[76:77], v[14:15], v[72:73]
	s_delay_alu instid0(VALU_DEP_1) | instskip(SKIP_1) | instid1(VALU_DEP_2)
	v_fma_f64 v[76:77], v[12:13], v[70:71], -v[76:77]
	v_mul_f64_e32 v[12:13], v[12:13], v[72:73]
	v_add_f64_e32 v[4:5], v[4:5], v[76:77]
	s_delay_alu instid0(VALU_DEP_2) | instskip(NEXT) | instid1(VALU_DEP_1)
	v_fmac_f64_e32 v[12:13], v[14:15], v[70:71]
	v_add_f64_e32 v[78:79], v[12:13], v[10:11]
	ds_load_b128 v[10:13], v86 offset:8512
	s_wait_dscnt 0x0
	v_mul_f64_e32 v[14:15], v[12:13], v[68:69]
	v_mul_f64_e32 v[68:69], v[10:11], v[68:69]
	s_delay_alu instid0(VALU_DEP_2) | instskip(NEXT) | instid1(VALU_DEP_2)
	v_fma_f64 v[14:15], v[10:11], v[66:67], -v[14:15]
	v_fmac_f64_e32 v[68:69], v[12:13], v[66:67]
	s_delay_alu instid0(VALU_DEP_2) | instskip(SKIP_1) | instid1(VALU_DEP_3)
	v_add_f64_e32 v[16:17], v[16:17], v[14:15]
	v_mul_f64_e32 v[14:15], v[12:13], v[72:73]
	v_add_f64_e32 v[18:19], v[68:69], v[18:19]
	s_delay_alu instid0(VALU_DEP_2) | instskip(SKIP_1) | instid1(VALU_DEP_1)
	v_fma_f64 v[14:15], v[10:11], v[70:71], -v[14:15]
	v_mul_f64_e32 v[10:11], v[10:11], v[72:73]
	v_fmac_f64_e32 v[10:11], v[12:13], v[70:71]
	ds_load_b128 v[66:69], v86 offset:336
	ds_load_b128 v[70:73], v87 offset:10752
	v_add_f64_e32 v[12:13], v[24:25], v[14:15]
	s_wait_dscnt 0x0
	v_mul_f64_e32 v[24:25], v[66:67], v[72:73]
	v_add_f64_e32 v[14:15], v[10:11], v[74:75]
	v_mul_f64_e32 v[10:11], v[68:69], v[72:73]
	ds_load_b128 v[74:77], v87 offset:11008
	v_fmac_f64_e32 v[24:25], v[68:69], v[70:71]
	v_fma_f64 v[10:11], v[66:67], v[70:71], -v[10:11]
	s_delay_alu instid0(VALU_DEP_2) | instskip(SKIP_2) | instid1(VALU_DEP_3)
	v_add_f64_e32 v[22:23], v[24:25], v[22:23]
	s_wait_dscnt 0x0
	v_mul_f64_e32 v[24:25], v[66:67], v[76:77]
	v_add_f64_e32 v[20:21], v[20:21], v[10:11]
	v_mul_f64_e32 v[10:11], v[68:69], v[76:77]
	s_delay_alu instid0(VALU_DEP_3) | instskip(NEXT) | instid1(VALU_DEP_2)
	v_fmac_f64_e32 v[24:25], v[68:69], v[74:75]
	v_fma_f64 v[10:11], v[66:67], v[74:75], -v[10:11]
	ds_load_b128 v[66:69], v86 offset:8528
	v_add_f64_e32 v[4:5], v[4:5], v[10:11]
	v_add_f64_e32 v[10:11], v[24:25], v[78:79]
	s_wait_dscnt 0x0
	v_mul_f64_e32 v[24:25], v[68:69], v[72:73]
	v_mul_f64_e32 v[72:73], v[66:67], v[72:73]
	s_delay_alu instid0(VALU_DEP_2) | instskip(NEXT) | instid1(VALU_DEP_2)
	v_fma_f64 v[24:25], v[66:67], v[70:71], -v[24:25]
	v_fmac_f64_e32 v[72:73], v[68:69], v[70:71]
	s_delay_alu instid0(VALU_DEP_2) | instskip(SKIP_1) | instid1(VALU_DEP_3)
	v_add_f64_e32 v[16:17], v[16:17], v[24:25]
	v_mul_f64_e32 v[24:25], v[68:69], v[76:77]
	v_add_f64_e32 v[18:19], v[72:73], v[18:19]
	s_delay_alu instid0(VALU_DEP_2) | instskip(SKIP_1) | instid1(VALU_DEP_2)
	v_fma_f64 v[24:25], v[66:67], v[74:75], -v[24:25]
	v_mul_f64_e32 v[66:67], v[66:67], v[76:77]
	v_add_f64_e32 v[24:25], v[12:13], v[24:25]
	s_delay_alu instid0(VALU_DEP_2) | instskip(NEXT) | instid1(VALU_DEP_1)
	v_fmac_f64_e32 v[66:67], v[68:69], v[74:75]
	v_add_f64_e32 v[74:75], v[66:67], v[14:15]
	ds_load_b128 v[12:15], v86 offset:352
	ds_load_b128 v[66:69], v87 offset:11264
	s_wait_dscnt 0x0
	v_mul_f64_e32 v[70:71], v[14:15], v[68:69]
	v_mul_f64_e32 v[72:73], v[12:13], v[68:69]
	s_delay_alu instid0(VALU_DEP_2) | instskip(NEXT) | instid1(VALU_DEP_2)
	v_fma_f64 v[70:71], v[12:13], v[66:67], -v[70:71]
	v_fmac_f64_e32 v[72:73], v[14:15], v[66:67]
	s_delay_alu instid0(VALU_DEP_2) | instskip(NEXT) | instid1(VALU_DEP_2)
	v_add_f64_e32 v[20:21], v[20:21], v[70:71]
	v_add_f64_e32 v[22:23], v[72:73], v[22:23]
	ds_load_b128 v[70:73], v87 offset:11520
	s_wait_dscnt 0x0
	v_mul_f64_e32 v[76:77], v[14:15], v[72:73]
	s_delay_alu instid0(VALU_DEP_1) | instskip(SKIP_1) | instid1(VALU_DEP_2)
	v_fma_f64 v[76:77], v[12:13], v[70:71], -v[76:77]
	v_mul_f64_e32 v[12:13], v[12:13], v[72:73]
	v_add_f64_e32 v[4:5], v[4:5], v[76:77]
	s_delay_alu instid0(VALU_DEP_2) | instskip(NEXT) | instid1(VALU_DEP_1)
	v_fmac_f64_e32 v[12:13], v[14:15], v[70:71]
	v_add_f64_e32 v[78:79], v[12:13], v[10:11]
	ds_load_b128 v[10:13], v86 offset:8544
	s_wait_dscnt 0x0
	v_mul_f64_e32 v[14:15], v[12:13], v[68:69]
	v_mul_f64_e32 v[68:69], v[10:11], v[68:69]
	s_delay_alu instid0(VALU_DEP_2) | instskip(NEXT) | instid1(VALU_DEP_2)
	v_fma_f64 v[14:15], v[10:11], v[66:67], -v[14:15]
	v_fmac_f64_e32 v[68:69], v[12:13], v[66:67]
	s_delay_alu instid0(VALU_DEP_2) | instskip(SKIP_1) | instid1(VALU_DEP_3)
	v_add_f64_e32 v[16:17], v[16:17], v[14:15]
	v_mul_f64_e32 v[14:15], v[12:13], v[72:73]
	v_add_f64_e32 v[18:19], v[68:69], v[18:19]
	s_delay_alu instid0(VALU_DEP_2) | instskip(SKIP_1) | instid1(VALU_DEP_1)
	v_fma_f64 v[14:15], v[10:11], v[70:71], -v[14:15]
	v_mul_f64_e32 v[10:11], v[10:11], v[72:73]
	v_fmac_f64_e32 v[10:11], v[12:13], v[70:71]
	ds_load_b128 v[66:69], v86 offset:368
	ds_load_b128 v[70:73], v87 offset:11776
	v_add_f64_e32 v[12:13], v[24:25], v[14:15]
	s_wait_dscnt 0x0
	v_mul_f64_e32 v[24:25], v[66:67], v[72:73]
	v_add_f64_e32 v[14:15], v[10:11], v[74:75]
	v_mul_f64_e32 v[10:11], v[68:69], v[72:73]
	ds_load_b128 v[74:77], v87 offset:12032
	v_fmac_f64_e32 v[24:25], v[68:69], v[70:71]
	v_fma_f64 v[10:11], v[66:67], v[70:71], -v[10:11]
	s_delay_alu instid0(VALU_DEP_2) | instskip(SKIP_2) | instid1(VALU_DEP_3)
	v_add_f64_e32 v[22:23], v[24:25], v[22:23]
	s_wait_dscnt 0x0
	v_mul_f64_e32 v[24:25], v[66:67], v[76:77]
	v_add_f64_e32 v[20:21], v[20:21], v[10:11]
	v_mul_f64_e32 v[10:11], v[68:69], v[76:77]
	s_delay_alu instid0(VALU_DEP_3) | instskip(NEXT) | instid1(VALU_DEP_2)
	v_fmac_f64_e32 v[24:25], v[68:69], v[74:75]
	v_fma_f64 v[10:11], v[66:67], v[74:75], -v[10:11]
	ds_load_b128 v[66:69], v86 offset:8560
	v_add_f64_e32 v[4:5], v[4:5], v[10:11]
	v_add_f64_e32 v[10:11], v[24:25], v[78:79]
	s_wait_dscnt 0x0
	v_mul_f64_e32 v[24:25], v[68:69], v[72:73]
	v_mul_f64_e32 v[72:73], v[66:67], v[72:73]
	s_delay_alu instid0(VALU_DEP_2) | instskip(NEXT) | instid1(VALU_DEP_2)
	v_fma_f64 v[24:25], v[66:67], v[70:71], -v[24:25]
	v_fmac_f64_e32 v[72:73], v[68:69], v[70:71]
	s_delay_alu instid0(VALU_DEP_2) | instskip(SKIP_1) | instid1(VALU_DEP_3)
	v_add_f64_e32 v[16:17], v[16:17], v[24:25]
	v_mul_f64_e32 v[24:25], v[68:69], v[76:77]
	v_add_f64_e32 v[18:19], v[72:73], v[18:19]
	s_delay_alu instid0(VALU_DEP_2) | instskip(SKIP_1) | instid1(VALU_DEP_2)
	v_fma_f64 v[24:25], v[66:67], v[74:75], -v[24:25]
	v_mul_f64_e32 v[66:67], v[66:67], v[76:77]
	v_add_f64_e32 v[24:25], v[12:13], v[24:25]
	s_delay_alu instid0(VALU_DEP_2) | instskip(NEXT) | instid1(VALU_DEP_1)
	v_fmac_f64_e32 v[66:67], v[68:69], v[74:75]
	v_add_f64_e32 v[74:75], v[66:67], v[14:15]
	ds_load_b128 v[66:69], v86 offset:384
	ds_load_b128 v[70:73], v87 offset:12288
	s_wait_dscnt 0x0
	v_mul_f64_e32 v[12:13], v[68:69], v[72:73]
	v_mul_f64_e32 v[14:15], v[66:67], v[72:73]
	s_delay_alu instid0(VALU_DEP_2) | instskip(NEXT) | instid1(VALU_DEP_2)
	v_fma_f64 v[12:13], v[66:67], v[70:71], -v[12:13]
	v_fmac_f64_e32 v[14:15], v[68:69], v[70:71]
	s_delay_alu instid0(VALU_DEP_2) | instskip(NEXT) | instid1(VALU_DEP_2)
	v_add_f64_e32 v[12:13], v[20:21], v[12:13]
	v_add_f64_e32 v[14:15], v[14:15], v[22:23]
	ds_load_b128 v[20:23], v87 offset:12544
	s_wait_dscnt 0x0
	v_mul_f64_e32 v[76:77], v[68:69], v[22:23]
	s_delay_alu instid0(VALU_DEP_1) | instskip(SKIP_1) | instid1(VALU_DEP_2)
	v_fma_f64 v[76:77], v[66:67], v[20:21], -v[76:77]
	v_mul_f64_e32 v[66:67], v[66:67], v[22:23]
	v_add_f64_e32 v[4:5], v[4:5], v[76:77]
	s_delay_alu instid0(VALU_DEP_2) | instskip(NEXT) | instid1(VALU_DEP_1)
	v_fmac_f64_e32 v[66:67], v[68:69], v[20:21]
	v_add_f64_e32 v[10:11], v[66:67], v[10:11]
	ds_load_b128 v[66:69], v86 offset:8576
	s_wait_dscnt 0x0
	v_mul_f64_e32 v[76:77], v[68:69], v[72:73]
	v_mul_f64_e32 v[72:73], v[66:67], v[72:73]
	s_delay_alu instid0(VALU_DEP_2) | instskip(NEXT) | instid1(VALU_DEP_2)
	v_fma_f64 v[76:77], v[66:67], v[70:71], -v[76:77]
	v_fmac_f64_e32 v[72:73], v[68:69], v[70:71]
	v_mul_f64_e32 v[70:71], v[68:69], v[22:23]
	v_mul_f64_e32 v[22:23], v[66:67], v[22:23]
	s_delay_alu instid0(VALU_DEP_4) | instskip(NEXT) | instid1(VALU_DEP_4)
	v_add_f64_e32 v[16:17], v[16:17], v[76:77]
	v_add_f64_e32 v[18:19], v[72:73], v[18:19]
	s_delay_alu instid0(VALU_DEP_4) | instskip(NEXT) | instid1(VALU_DEP_4)
	v_fma_f64 v[70:71], v[66:67], v[20:21], -v[70:71]
	v_fmac_f64_e32 v[22:23], v[68:69], v[20:21]
	s_delay_alu instid0(VALU_DEP_2)
	v_add_f64_e32 v[20:21], v[24:25], v[70:71]
	ds_load_b128 v[66:69], v86 offset:400
	ds_load_b128 v[70:73], v87 offset:12800
	v_add_f64_e32 v[22:23], v[22:23], v[74:75]
	s_wait_dscnt 0x0
	v_mul_f64_e32 v[74:75], v[66:67], v[72:73]
	v_mul_f64_e32 v[24:25], v[68:69], v[72:73]
	s_delay_alu instid0(VALU_DEP_2) | instskip(NEXT) | instid1(VALU_DEP_2)
	v_fmac_f64_e32 v[74:75], v[68:69], v[70:71]
	v_fma_f64 v[24:25], v[66:67], v[70:71], -v[24:25]
	s_delay_alu instid0(VALU_DEP_2) | instskip(SKIP_4) | instid1(VALU_DEP_1)
	v_add_f64_e32 v[14:15], v[74:75], v[14:15]
	ds_load_b128 v[74:77], v87 offset:13056
	v_add_f64_e32 v[12:13], v[12:13], v[24:25]
	s_wait_dscnt 0x0
	v_mul_f64_e32 v[24:25], v[68:69], v[76:77]
	v_fma_f64 v[24:25], v[66:67], v[74:75], -v[24:25]
	v_mul_f64_e32 v[66:67], v[66:67], v[76:77]
	s_delay_alu instid0(VALU_DEP_2) | instskip(NEXT) | instid1(VALU_DEP_2)
	v_add_f64_e32 v[4:5], v[4:5], v[24:25]
	v_fmac_f64_e32 v[66:67], v[68:69], v[74:75]
	s_delay_alu instid0(VALU_DEP_1) | instskip(SKIP_4) | instid1(VALU_DEP_2)
	v_add_f64_e32 v[10:11], v[66:67], v[10:11]
	ds_load_b128 v[66:69], v86 offset:8592
	s_wait_dscnt 0x0
	v_mul_f64_e32 v[24:25], v[68:69], v[72:73]
	v_mul_f64_e32 v[72:73], v[66:67], v[72:73]
	v_fma_f64 v[24:25], v[66:67], v[70:71], -v[24:25]
	s_delay_alu instid0(VALU_DEP_2) | instskip(NEXT) | instid1(VALU_DEP_2)
	v_fmac_f64_e32 v[72:73], v[68:69], v[70:71]
	v_add_f64_e32 v[16:17], v[16:17], v[24:25]
	v_mul_f64_e32 v[24:25], v[68:69], v[76:77]
	s_delay_alu instid0(VALU_DEP_3) | instskip(NEXT) | instid1(VALU_DEP_2)
	v_add_f64_e32 v[18:19], v[72:73], v[18:19]
	v_fma_f64 v[24:25], v[66:67], v[74:75], -v[24:25]
	v_mul_f64_e32 v[66:67], v[66:67], v[76:77]
	s_delay_alu instid0(VALU_DEP_2) | instskip(NEXT) | instid1(VALU_DEP_2)
	v_add_f64_e32 v[20:21], v[20:21], v[24:25]
	v_fmac_f64_e32 v[66:67], v[68:69], v[74:75]
	ds_load_b128 v[68:71], v86 offset:416
	ds_load_b128 v[72:75], v87 offset:13312
	s_wait_dscnt 0x0
	v_mul_f64_e32 v[24:25], v[70:71], v[74:75]
	v_add_f64_e32 v[22:23], v[66:67], v[22:23]
	v_mul_f64_e32 v[66:67], v[68:69], v[74:75]
	s_delay_alu instid0(VALU_DEP_3) | instskip(NEXT) | instid1(VALU_DEP_2)
	v_fma_f64 v[24:25], v[68:69], v[72:73], -v[24:25]
	v_fmac_f64_e32 v[66:67], v[70:71], v[72:73]
	s_delay_alu instid0(VALU_DEP_2) | instskip(NEXT) | instid1(VALU_DEP_2)
	v_add_f64_e32 v[24:25], v[12:13], v[24:25]
	v_add_f64_e32 v[66:67], v[66:67], v[14:15]
	ds_load_b128 v[12:15], v87 offset:13568
	s_wait_dscnt 0x0
	v_mul_f64_e32 v[76:77], v[70:71], v[14:15]
	s_delay_alu instid0(VALU_DEP_1) | instskip(SKIP_1) | instid1(VALU_DEP_2)
	v_fma_f64 v[76:77], v[68:69], v[12:13], -v[76:77]
	v_mul_f64_e32 v[68:69], v[68:69], v[14:15]
	v_add_f64_e32 v[4:5], v[4:5], v[76:77]
	s_delay_alu instid0(VALU_DEP_2) | instskip(NEXT) | instid1(VALU_DEP_1)
	v_fmac_f64_e32 v[68:69], v[70:71], v[12:13]
	v_add_f64_e32 v[10:11], v[68:69], v[10:11]
	ds_load_b128 v[68:71], v86 offset:8608
	s_wait_dscnt 0x0
	v_mul_f64_e32 v[76:77], v[70:71], v[74:75]
	v_mul_f64_e32 v[74:75], v[68:69], v[74:75]
	s_delay_alu instid0(VALU_DEP_2) | instskip(NEXT) | instid1(VALU_DEP_2)
	v_fma_f64 v[76:77], v[68:69], v[72:73], -v[76:77]
	v_fmac_f64_e32 v[74:75], v[70:71], v[72:73]
	v_mul_f64_e32 v[72:73], v[70:71], v[14:15]
	v_mul_f64_e32 v[14:15], v[68:69], v[14:15]
	s_delay_alu instid0(VALU_DEP_4) | instskip(NEXT) | instid1(VALU_DEP_4)
	v_add_f64_e32 v[16:17], v[16:17], v[76:77]
	v_add_f64_e32 v[18:19], v[74:75], v[18:19]
	s_delay_alu instid0(VALU_DEP_4) | instskip(NEXT) | instid1(VALU_DEP_4)
	v_fma_f64 v[72:73], v[68:69], v[12:13], -v[72:73]
	v_fmac_f64_e32 v[14:15], v[70:71], v[12:13]
	s_delay_alu instid0(VALU_DEP_2)
	v_add_f64_e32 v[12:13], v[20:21], v[72:73]
	ds_load_b128 v[68:71], v86 offset:432
	ds_load_b128 v[72:75], v87 offset:13824
	v_add_f64_e32 v[14:15], v[14:15], v[22:23]
	ds_load_b128 v[76:79], v87 offset:14080
	s_wait_dscnt 0x1
	v_mul_f64_e32 v[22:23], v[68:69], v[74:75]
	v_mul_f64_e32 v[20:21], v[70:71], v[74:75]
	s_delay_alu instid0(VALU_DEP_2) | instskip(NEXT) | instid1(VALU_DEP_2)
	v_fmac_f64_e32 v[22:23], v[70:71], v[72:73]
	v_fma_f64 v[20:21], v[68:69], v[72:73], -v[20:21]
	s_delay_alu instid0(VALU_DEP_2) | instskip(SKIP_2) | instid1(VALU_DEP_3)
	v_add_f64_e32 v[22:23], v[22:23], v[66:67]
	s_wait_dscnt 0x0
	v_mul_f64_e32 v[66:67], v[68:69], v[78:79]
	v_add_f64_e32 v[20:21], v[24:25], v[20:21]
	v_mul_f64_e32 v[24:25], v[70:71], v[78:79]
	s_delay_alu instid0(VALU_DEP_3) | instskip(NEXT) | instid1(VALU_DEP_2)
	v_fmac_f64_e32 v[66:67], v[70:71], v[76:77]
	v_fma_f64 v[24:25], v[68:69], v[76:77], -v[24:25]
	s_delay_alu instid0(VALU_DEP_2)
	v_add_f64_e32 v[10:11], v[66:67], v[10:11]
	ds_load_b128 v[66:69], v86 offset:8624
	v_add_f64_e32 v[4:5], v[4:5], v[24:25]
	s_wait_dscnt 0x0
	v_mul_f64_e32 v[24:25], v[68:69], v[74:75]
	v_mul_f64_e32 v[70:71], v[66:67], v[74:75]
	s_delay_alu instid0(VALU_DEP_2) | instskip(NEXT) | instid1(VALU_DEP_2)
	v_fma_f64 v[24:25], v[66:67], v[72:73], -v[24:25]
	v_fmac_f64_e32 v[70:71], v[68:69], v[72:73]
	s_delay_alu instid0(VALU_DEP_2) | instskip(SKIP_1) | instid1(VALU_DEP_3)
	v_add_f64_e32 v[16:17], v[16:17], v[24:25]
	v_mul_f64_e32 v[24:25], v[68:69], v[78:79]
	v_add_f64_e32 v[18:19], v[70:71], v[18:19]
	s_delay_alu instid0(VALU_DEP_2) | instskip(SKIP_1) | instid1(VALU_DEP_2)
	v_fma_f64 v[24:25], v[66:67], v[76:77], -v[24:25]
	v_mul_f64_e32 v[66:67], v[66:67], v[78:79]
	v_add_f64_e32 v[24:25], v[12:13], v[24:25]
	s_delay_alu instid0(VALU_DEP_2)
	v_fmac_f64_e32 v[66:67], v[68:69], v[76:77]
	ds_load_b128 v[68:71], v86 offset:448
	ds_load_b128 v[72:75], v87 offset:14336
	s_wait_dscnt 0x0
	v_mul_f64_e32 v[12:13], v[70:71], v[74:75]
	v_add_f64_e32 v[66:67], v[66:67], v[14:15]
	v_mul_f64_e32 v[14:15], v[68:69], v[74:75]
	s_delay_alu instid0(VALU_DEP_3) | instskip(NEXT) | instid1(VALU_DEP_2)
	v_fma_f64 v[12:13], v[68:69], v[72:73], -v[12:13]
	v_fmac_f64_e32 v[14:15], v[70:71], v[72:73]
	s_delay_alu instid0(VALU_DEP_2) | instskip(NEXT) | instid1(VALU_DEP_2)
	v_add_f64_e32 v[12:13], v[20:21], v[12:13]
	v_add_f64_e32 v[14:15], v[14:15], v[22:23]
	ds_load_b128 v[20:23], v87 offset:14592
	s_wait_dscnt 0x0
	v_mul_f64_e32 v[76:77], v[70:71], v[22:23]
	s_delay_alu instid0(VALU_DEP_1) | instskip(SKIP_1) | instid1(VALU_DEP_2)
	v_fma_f64 v[76:77], v[68:69], v[20:21], -v[76:77]
	v_mul_f64_e32 v[68:69], v[68:69], v[22:23]
	v_add_f64_e32 v[4:5], v[4:5], v[76:77]
	s_delay_alu instid0(VALU_DEP_2) | instskip(NEXT) | instid1(VALU_DEP_1)
	v_fmac_f64_e32 v[68:69], v[70:71], v[20:21]
	v_add_f64_e32 v[10:11], v[68:69], v[10:11]
	ds_load_b128 v[68:71], v86 offset:8640
	s_wait_dscnt 0x0
	v_mul_f64_e32 v[76:77], v[70:71], v[74:75]
	v_mul_f64_e32 v[74:75], v[68:69], v[74:75]
	s_delay_alu instid0(VALU_DEP_2) | instskip(NEXT) | instid1(VALU_DEP_2)
	v_fma_f64 v[76:77], v[68:69], v[72:73], -v[76:77]
	v_fmac_f64_e32 v[74:75], v[70:71], v[72:73]
	v_mul_f64_e32 v[72:73], v[70:71], v[22:23]
	v_mul_f64_e32 v[22:23], v[68:69], v[22:23]
	s_delay_alu instid0(VALU_DEP_4) | instskip(NEXT) | instid1(VALU_DEP_4)
	v_add_f64_e32 v[16:17], v[16:17], v[76:77]
	v_add_f64_e32 v[18:19], v[74:75], v[18:19]
	s_delay_alu instid0(VALU_DEP_4) | instskip(NEXT) | instid1(VALU_DEP_4)
	v_fma_f64 v[72:73], v[68:69], v[20:21], -v[72:73]
	v_fmac_f64_e32 v[22:23], v[70:71], v[20:21]
	s_delay_alu instid0(VALU_DEP_2) | instskip(NEXT) | instid1(VALU_DEP_2)
	v_add_f64_e32 v[20:21], v[24:25], v[72:73]
	v_add_f64_e32 v[22:23], v[22:23], v[66:67]
	ds_load_b128 v[66:69], v86 offset:464
	ds_load_b128 v[70:73], v87 offset:14848
	s_wait_dscnt 0x0
	v_mul_f64_e32 v[74:75], v[66:67], v[72:73]
	v_mul_f64_e32 v[24:25], v[68:69], v[72:73]
	s_delay_alu instid0(VALU_DEP_2) | instskip(NEXT) | instid1(VALU_DEP_2)
	v_fmac_f64_e32 v[74:75], v[68:69], v[70:71]
	v_fma_f64 v[24:25], v[66:67], v[70:71], -v[24:25]
	s_delay_alu instid0(VALU_DEP_2) | instskip(SKIP_4) | instid1(VALU_DEP_1)
	v_add_f64_e32 v[14:15], v[74:75], v[14:15]
	ds_load_b128 v[74:77], v87 offset:15104
	v_add_f64_e32 v[12:13], v[12:13], v[24:25]
	s_wait_dscnt 0x0
	v_mul_f64_e32 v[24:25], v[68:69], v[76:77]
	v_fma_f64 v[24:25], v[66:67], v[74:75], -v[24:25]
	v_mul_f64_e32 v[66:67], v[66:67], v[76:77]
	s_delay_alu instid0(VALU_DEP_2) | instskip(NEXT) | instid1(VALU_DEP_2)
	v_add_f64_e32 v[4:5], v[4:5], v[24:25]
	v_fmac_f64_e32 v[66:67], v[68:69], v[74:75]
	s_delay_alu instid0(VALU_DEP_1) | instskip(SKIP_4) | instid1(VALU_DEP_2)
	v_add_f64_e32 v[10:11], v[66:67], v[10:11]
	ds_load_b128 v[66:69], v86 offset:8656
	s_wait_dscnt 0x0
	v_mul_f64_e32 v[24:25], v[68:69], v[72:73]
	v_mul_f64_e32 v[72:73], v[66:67], v[72:73]
	v_fma_f64 v[24:25], v[66:67], v[70:71], -v[24:25]
	s_delay_alu instid0(VALU_DEP_2) | instskip(NEXT) | instid1(VALU_DEP_2)
	v_fmac_f64_e32 v[72:73], v[68:69], v[70:71]
	v_add_f64_e32 v[16:17], v[16:17], v[24:25]
	v_mul_f64_e32 v[24:25], v[68:69], v[76:77]
	s_delay_alu instid0(VALU_DEP_3) | instskip(NEXT) | instid1(VALU_DEP_2)
	v_add_f64_e32 v[18:19], v[72:73], v[18:19]
	v_fma_f64 v[24:25], v[66:67], v[74:75], -v[24:25]
	v_mul_f64_e32 v[66:67], v[66:67], v[76:77]
	s_delay_alu instid0(VALU_DEP_2) | instskip(NEXT) | instid1(VALU_DEP_2)
	v_add_f64_e32 v[20:21], v[20:21], v[24:25]
	v_fmac_f64_e32 v[66:67], v[68:69], v[74:75]
	s_delay_alu instid0(VALU_DEP_1)
	v_add_f64_e32 v[22:23], v[66:67], v[22:23]
	ds_load_b128 v[66:69], v86 offset:480
	ds_load_b128 v[70:73], v87 offset:15360
	;; [unrolled: 1-line block ×3, first 2 shown]
	s_wait_dscnt 0x1
	v_mul_f64_e32 v[24:25], v[68:69], v[72:73]
	v_mul_f64_e32 v[74:75], v[66:67], v[72:73]
	s_delay_alu instid0(VALU_DEP_2) | instskip(NEXT) | instid1(VALU_DEP_2)
	v_fma_f64 v[24:25], v[66:67], v[70:71], -v[24:25]
	v_fmac_f64_e32 v[74:75], v[68:69], v[70:71]
	s_delay_alu instid0(VALU_DEP_2) | instskip(NEXT) | instid1(VALU_DEP_2)
	v_add_f64_e32 v[12:13], v[12:13], v[24:25]
	v_add_f64_e32 v[24:25], v[74:75], v[14:15]
	s_wait_dscnt 0x0
	v_mul_f64_e32 v[14:15], v[68:69], v[82:83]
	s_delay_alu instid0(VALU_DEP_1) | instskip(SKIP_1) | instid1(VALU_DEP_2)
	v_fma_f64 v[14:15], v[66:67], v[80:81], -v[14:15]
	v_mul_f64_e32 v[66:67], v[66:67], v[82:83]
	v_add_f64_e32 v[76:77], v[4:5], v[14:15]
	s_delay_alu instid0(VALU_DEP_2) | instskip(NEXT) | instid1(VALU_DEP_1)
	v_fmac_f64_e32 v[66:67], v[68:69], v[80:81]
	v_add_f64_e32 v[78:79], v[66:67], v[10:11]
	ds_load_b128 v[66:69], v86 offset:8672
	s_wait_dscnt 0x0
	v_mul_f64_e32 v[4:5], v[68:69], v[72:73]
	v_mul_f64_e32 v[10:11], v[66:67], v[72:73]
	s_delay_alu instid0(VALU_DEP_2) | instskip(NEXT) | instid1(VALU_DEP_2)
	v_fma_f64 v[4:5], v[66:67], v[70:71], -v[4:5]
	v_fmac_f64_e32 v[10:11], v[68:69], v[70:71]
	s_delay_alu instid0(VALU_DEP_2) | instskip(SKIP_1) | instid1(VALU_DEP_3)
	v_add_f64_e32 v[70:71], v[16:17], v[4:5]
	v_mul_f64_e32 v[4:5], v[68:69], v[82:83]
	v_add_f64_e32 v[72:73], v[10:11], v[18:19]
	v_mul_f64_e32 v[10:11], v[66:67], v[82:83]
	s_delay_alu instid0(VALU_DEP_3) | instskip(NEXT) | instid1(VALU_DEP_2)
	v_fma_f64 v[4:5], v[66:67], v[80:81], -v[4:5]
	v_fmac_f64_e32 v[10:11], v[68:69], v[80:81]
	s_delay_alu instid0(VALU_DEP_2)
	v_add_f64_e32 v[4:5], v[20:21], v[4:5]
	ds_load_b128 v[18:21], v86 offset:496
	ds_load_b128 v[14:17], v87 offset:15872
	v_add_f64_e32 v[74:75], v[10:11], v[22:23]
	s_wait_dscnt 0x0
	v_mul_f64_e32 v[10:11], v[20:21], v[16:17]
	v_mul_f64_e32 v[22:23], v[18:19], v[16:17]
	s_delay_alu instid0(VALU_DEP_2) | instskip(NEXT) | instid1(VALU_DEP_2)
	v_fma_f64 v[10:11], v[18:19], v[14:15], -v[10:11]
	v_fmac_f64_e32 v[22:23], v[20:21], v[14:15]
	s_delay_alu instid0(VALU_DEP_2) | instskip(SKIP_4) | instid1(VALU_DEP_1)
	v_add_f64_e32 v[66:67], v[12:13], v[10:11]
	ds_load_b128 v[10:13], v87 offset:16128
	v_add_f64_e32 v[68:69], v[22:23], v[24:25]
	s_wait_dscnt 0x0
	v_mul_f64_e32 v[22:23], v[20:21], v[12:13]
	v_fma_f64 v[22:23], v[18:19], v[10:11], -v[22:23]
	v_mul_f64_e32 v[18:19], v[18:19], v[12:13]
	s_delay_alu instid0(VALU_DEP_2) | instskip(NEXT) | instid1(VALU_DEP_2)
	v_add_f64_e32 v[22:23], v[76:77], v[22:23]
	v_fmac_f64_e32 v[18:19], v[20:21], v[10:11]
	s_delay_alu instid0(VALU_DEP_1)
	v_add_f64_e32 v[24:25], v[18:19], v[78:79]
	ds_load_b128 v[18:21], v86 offset:8688
	s_wait_dscnt 0x0
	s_barrier_signal -1
	s_barrier_wait -1
	v_mul_f64_e32 v[76:77], v[20:21], v[16:17]
	v_mul_f64_e32 v[16:17], v[18:19], v[16:17]
	s_delay_alu instid0(VALU_DEP_2) | instskip(NEXT) | instid1(VALU_DEP_2)
	v_fma_f64 v[76:77], v[18:19], v[14:15], -v[76:77]
	v_fmac_f64_e32 v[16:17], v[20:21], v[14:15]
	v_mul_f64_e32 v[14:15], v[20:21], v[12:13]
	v_mul_f64_e32 v[12:13], v[18:19], v[12:13]
	s_delay_alu instid0(VALU_DEP_4) | instskip(NEXT) | instid1(VALU_DEP_4)
	v_add_f64_e32 v[70:71], v[70:71], v[76:77]
	v_add_f64_e32 v[72:73], v[16:17], v[72:73]
	s_delay_alu instid0(VALU_DEP_4) | instskip(NEXT) | instid1(VALU_DEP_4)
	v_fma_f64 v[14:15], v[18:19], v[10:11], -v[14:15]
	v_fmac_f64_e32 v[12:13], v[20:21], v[10:11]
	s_delay_alu instid0(VALU_DEP_2) | instskip(NEXT) | instid1(VALU_DEP_2)
	v_add_f64_e32 v[76:77], v[4:5], v[14:15]
	v_add_f64_e32 v[74:75], v[12:13], v[74:75]
	s_cbranch_scc1 .LBB124_59
.LBB124_11:                             ;   Parent Loop BB124_4 Depth=1
                                        ;     Parent Loop BB124_8 Depth=2
                                        ; =>    This Inner Loop Header: Depth=3
	v_add_nc_u64_e32 v[12:13], s[36:37], v[26:27]
	v_cmp_eq_u64_e64 s7, s[36:37], v[56:57]
	v_add_nc_u64_e32 v[10:11], v[62:63], v[58:59]
	s_delay_alu instid0(VALU_DEP_3) | instskip(SKIP_3) | instid1(SALU_CYCLE_1)
	v_cmp_gt_i64_e64 s5, v[12:13], v[50:51]
	v_cmp_le_i64_e64 s6, s[40:41], v[12:13]
	s_and_b32 s52, s46, s7
	s_or_b32 s7, vcc_lo, s5
	s_or_b32 s7, s7, s52
	s_delay_alu instid0(SALU_CYCLE_1) | instskip(NEXT) | instid1(SALU_CYCLE_1)
	s_nor_b32 s7, s6, s7
	s_and_saveexec_b32 s8, s7
	s_delay_alu instid0(SALU_CYCLE_1)
	s_xor_b32 s7, exec_lo, s8
	s_cbranch_execz .LBB124_13
; %bb.12:                               ;   in Loop: Header=BB124_11 Depth=3
	global_load_b128 v[14:17], v[10:11], off offset:-256
	s_wait_loadcnt 0x0
	ds_store_2addr_b64 v88, v[14:15], v[16:17] offset1:1
.LBB124_13:                             ;   in Loop: Header=BB124_11 Depth=3
	s_wait_xcnt 0x0
	s_or_saveexec_b32 s7, s7
	s_xor_b32 s51, s52, -1
	s_xor_b32 exec_lo, exec_lo, s7
	s_cbranch_execz .LBB124_19
; %bb.14:                               ;   in Loop: Header=BB124_11 Depth=3
	s_and_saveexec_b32 s8, s51
	s_delay_alu instid0(SALU_CYCLE_1)
	s_xor_b32 s8, exec_lo, s8
; %bb.15:                               ;   in Loop: Header=BB124_11 Depth=3
	v_dual_mov_b32 v14, v2 :: v_dual_mov_b32 v15, v2
	v_dual_mov_b32 v16, v2 :: v_dual_mov_b32 v17, v2
	ds_store_b128 v88, v[14:17]
; %bb.16:                               ;   in Loop: Header=BB124_11 Depth=3
	s_and_not1_saveexec_b32 s8, s8
; %bb.17:                               ;   in Loop: Header=BB124_11 Depth=3
	v_dual_mov_b32 v4, v2 :: v_dual_mov_b32 v5, v2
	ds_store_b128 v88, v[2:5]
; %bb.18:                               ;   in Loop: Header=BB124_11 Depth=3
	s_or_b32 exec_lo, exec_lo, s8
.LBB124_19:                             ;   in Loop: Header=BB124_11 Depth=3
	s_delay_alu instid0(SALU_CYCLE_1) | instskip(SKIP_3) | instid1(VALU_DEP_3)
	s_or_b32 exec_lo, exec_lo, s7
	v_add_nc_u64_e32 v[4:5], 16, v[12:13]
	v_cmp_eq_u64_e64 s8, s[36:37], v[60:61]
	v_add_nc_u64_e32 v[14:15], v[54:55], v[58:59]
	v_cmp_gt_i64_e64 s9, v[4:5], v[50:51]
	v_cmp_le_i64_e64 s7, s[40:41], v[4:5]
	s_and_b32 s53, s46, s8
	s_or_b32 s8, vcc_lo, s9
	s_delay_alu instid0(SALU_CYCLE_1) | instskip(NEXT) | instid1(SALU_CYCLE_1)
	s_or_b32 s8, s8, s53
	s_nor_b32 s8, s7, s8
	s_delay_alu instid0(SALU_CYCLE_1) | instskip(NEXT) | instid1(SALU_CYCLE_1)
	s_and_saveexec_b32 s9, s8
	s_xor_b32 s8, exec_lo, s9
	s_cbranch_execz .LBB124_21
; %bb.20:                               ;   in Loop: Header=BB124_11 Depth=3
	global_load_b128 v[16:19], v[14:15], off
	v_add_nc_u32_e32 v4, 0x100, v88
	s_wait_loadcnt 0x0
	ds_store_2addr_b64 v4, v[16:17], v[18:19] offset1:1
.LBB124_21:                             ;   in Loop: Header=BB124_11 Depth=3
	s_wait_xcnt 0x0
	s_and_not1_saveexec_b32 s8, s8
	s_cbranch_execz .LBB124_27
; %bb.22:                               ;   in Loop: Header=BB124_11 Depth=3
	s_xor_b32 s9, s53, -1
	s_delay_alu instid0(SALU_CYCLE_1) | instskip(NEXT) | instid1(SALU_CYCLE_1)
	s_and_saveexec_b32 s53, s9
	s_xor_b32 s9, exec_lo, s53
; %bb.23:                               ;   in Loop: Header=BB124_11 Depth=3
	v_dual_mov_b32 v16, v2 :: v_dual_mov_b32 v17, v2
	v_dual_mov_b32 v18, v2 :: v_dual_mov_b32 v19, v2
	ds_store_b128 v88, v[16:19] offset:256
; %bb.24:                               ;   in Loop: Header=BB124_11 Depth=3
	s_and_not1_saveexec_b32 s9, s9
; %bb.25:                               ;   in Loop: Header=BB124_11 Depth=3
	v_dual_mov_b32 v4, v2 :: v_dual_mov_b32 v5, v2
	ds_store_b128 v88, v[2:5] offset:256
; %bb.26:                               ;   in Loop: Header=BB124_11 Depth=3
	s_or_b32 exec_lo, exec_lo, s9
.LBB124_27:                             ;   in Loop: Header=BB124_11 Depth=3
	s_delay_alu instid0(SALU_CYCLE_1) | instskip(SKIP_2) | instid1(VALU_DEP_2)
	s_or_b32 exec_lo, exec_lo, s8
	v_add_nc_u64_e32 v[4:5], 16, v[56:57]
	v_cmp_gt_i64_e64 s9, v[12:13], v[52:53]
	v_cmp_eq_u64_e64 s8, s[36:37], v[4:5]
	s_or_b32 s9, s4, s9
	s_and_b32 s8, s46, s8
	s_delay_alu instid0(SALU_CYCLE_1) | instskip(NEXT) | instid1(SALU_CYCLE_1)
	s_or_b32 s9, s9, s8
	s_nor_b32 s6, s6, s9
	s_delay_alu instid0(SALU_CYCLE_1) | instskip(NEXT) | instid1(SALU_CYCLE_1)
	s_and_saveexec_b32 s9, s6
	s_xor_b32 s6, exec_lo, s9
	s_cbranch_execz .LBB124_29
; %bb.28:                               ;   in Loop: Header=BB124_11 Depth=3
	global_load_b128 v[10:13], v[10:11], off
	v_add_nc_u32_e32 v4, 0x2000, v88
	s_wait_loadcnt 0x0
	ds_store_2addr_b64 v4, v[10:11], v[12:13] offset1:1
.LBB124_29:                             ;   in Loop: Header=BB124_11 Depth=3
	s_wait_xcnt 0x0
	s_and_not1_saveexec_b32 s6, s6
	s_cbranch_execz .LBB124_35
; %bb.30:                               ;   in Loop: Header=BB124_11 Depth=3
	s_xor_b32 s8, s8, -1
	s_delay_alu instid0(SALU_CYCLE_1) | instskip(NEXT) | instid1(SALU_CYCLE_1)
	s_and_saveexec_b32 s9, s8
	s_xor_b32 s8, exec_lo, s9
; %bb.31:                               ;   in Loop: Header=BB124_11 Depth=3
	v_dual_mov_b32 v10, v2 :: v_dual_mov_b32 v11, v2
	v_dual_mov_b32 v12, v2 :: v_dual_mov_b32 v13, v2
	ds_store_b128 v88, v[10:13] offset:8192
; %bb.32:                               ;   in Loop: Header=BB124_11 Depth=3
	s_and_not1_saveexec_b32 s8, s8
; %bb.33:                               ;   in Loop: Header=BB124_11 Depth=3
	v_dual_mov_b32 v4, v2 :: v_dual_mov_b32 v5, v2
	ds_store_b128 v88, v[2:5] offset:8192
; %bb.34:                               ;   in Loop: Header=BB124_11 Depth=3
	s_or_b32 exec_lo, exec_lo, s8
.LBB124_35:                             ;   in Loop: Header=BB124_11 Depth=3
	s_delay_alu instid0(SALU_CYCLE_1) | instskip(SKIP_1) | instid1(SALU_CYCLE_1)
	s_or_b32 exec_lo, exec_lo, s6
	s_or_b32 s5, s4, s5
	s_or_b32 s5, s5, s52
	s_delay_alu instid0(SALU_CYCLE_1) | instskip(NEXT) | instid1(SALU_CYCLE_1)
	s_nor_b32 s5, s7, s5
	s_and_saveexec_b32 s6, s5
	s_delay_alu instid0(SALU_CYCLE_1)
	s_xor_b32 s5, exec_lo, s6
	s_cbranch_execz .LBB124_37
; %bb.36:                               ;   in Loop: Header=BB124_11 Depth=3
	global_load_b128 v[10:13], v[14:15], off offset:256
	v_add_nc_u32_e32 v4, 0x2100, v88
	s_wait_loadcnt 0x0
	ds_store_2addr_b64 v4, v[10:11], v[12:13] offset1:1
.LBB124_37:                             ;   in Loop: Header=BB124_11 Depth=3
	s_wait_xcnt 0x0
	s_and_not1_saveexec_b32 s5, s5
	s_cbranch_execz .LBB124_43
; %bb.38:                               ;   in Loop: Header=BB124_11 Depth=3
	s_and_saveexec_b32 s6, s51
	s_delay_alu instid0(SALU_CYCLE_1)
	s_xor_b32 s6, exec_lo, s6
; %bb.39:                               ;   in Loop: Header=BB124_11 Depth=3
	v_dual_mov_b32 v10, v2 :: v_dual_mov_b32 v11, v2
	v_dual_mov_b32 v12, v2 :: v_dual_mov_b32 v13, v2
	ds_store_b128 v88, v[10:13] offset:8448
; %bb.40:                               ;   in Loop: Header=BB124_11 Depth=3
	s_and_not1_saveexec_b32 s6, s6
; %bb.41:                               ;   in Loop: Header=BB124_11 Depth=3
	v_dual_mov_b32 v4, v2 :: v_dual_mov_b32 v5, v2
	ds_store_b128 v88, v[2:5] offset:8448
; %bb.42:                               ;   in Loop: Header=BB124_11 Depth=3
	s_or_b32 exec_lo, exec_lo, s6
.LBB124_43:                             ;   in Loop: Header=BB124_11 Depth=3
	s_delay_alu instid0(SALU_CYCLE_1) | instskip(SKIP_2) | instid1(VALU_DEP_2)
	s_or_b32 exec_lo, exec_lo, s5
	v_add_nc_u64_e32 v[4:5], s[36:37], v[0:1]
	v_add_nc_u64_e32 v[10:11], v[64:65], v[36:37]
	v_cmp_le_i64_e64 s5, s[40:41], v[4:5]
	s_nor_b32 s6, s5, s0
	s_delay_alu instid0(SALU_CYCLE_1) | instskip(NEXT) | instid1(SALU_CYCLE_1)
	s_and_saveexec_b32 s7, s6
	s_xor_b32 s6, exec_lo, s7
	s_cbranch_execz .LBB124_45
; %bb.44:                               ;   in Loop: Header=BB124_11 Depth=3
	global_load_b128 v[12:15], v[10:11], off offset:-256
	s_wait_loadcnt 0x0
	ds_store_2addr_b64 v89, v[12:13], v[14:15] offset1:1
.LBB124_45:                             ;   in Loop: Header=BB124_11 Depth=3
	s_wait_xcnt 0x0
	s_and_not1_saveexec_b32 s6, s6
; %bb.46:                               ;   in Loop: Header=BB124_11 Depth=3
	v_dual_mov_b32 v12, v2 :: v_dual_mov_b32 v13, v2
	v_dual_mov_b32 v14, v2 :: v_dual_mov_b32 v15, v2
	ds_store_b128 v89, v[12:15]
; %bb.47:                               ;   in Loop: Header=BB124_11 Depth=3
	s_or_b32 exec_lo, exec_lo, s6
	s_nor_b32 s5, s5, s1
	s_delay_alu instid0(SALU_CYCLE_1) | instskip(NEXT) | instid1(SALU_CYCLE_1)
	s_and_saveexec_b32 s6, s5
	s_xor_b32 s5, exec_lo, s6
	s_cbranch_execz .LBB124_49
; %bb.48:                               ;   in Loop: Header=BB124_11 Depth=3
	global_load_b128 v[10:13], v[10:11], off
	v_add_nc_u32_e32 v14, 0x100, v89
	s_wait_loadcnt 0x0
	ds_store_2addr_b64 v14, v[10:11], v[12:13] offset1:1
.LBB124_49:                             ;   in Loop: Header=BB124_11 Depth=3
	s_wait_xcnt 0x0
	s_and_not1_saveexec_b32 s5, s5
; %bb.50:                               ;   in Loop: Header=BB124_11 Depth=3
	v_dual_mov_b32 v10, v2 :: v_dual_mov_b32 v11, v2
	v_dual_mov_b32 v12, v2 :: v_dual_mov_b32 v13, v2
	ds_store_b128 v89, v[10:13] offset:256
; %bb.51:                               ;   in Loop: Header=BB124_11 Depth=3
	s_or_b32 exec_lo, exec_lo, s5
	v_cmp_le_i64_e64 s5, s[20:21], v[4:5]
	v_add_nc_u64_e32 v[4:5], v[64:65], v[30:31]
	s_nor_b32 s6, s5, s0
	s_delay_alu instid0(SALU_CYCLE_1) | instskip(NEXT) | instid1(SALU_CYCLE_1)
	s_and_saveexec_b32 s7, s6
	s_xor_b32 s6, exec_lo, s7
	s_cbranch_execz .LBB124_53
; %bb.52:                               ;   in Loop: Header=BB124_11 Depth=3
	global_load_b128 v[10:13], v[4:5], off offset:-256
	v_add_nc_u32_e32 v14, 0x2000, v89
	s_wait_loadcnt 0x0
	ds_store_2addr_b64 v14, v[10:11], v[12:13] offset1:1
.LBB124_53:                             ;   in Loop: Header=BB124_11 Depth=3
	s_wait_xcnt 0x0
	s_and_not1_saveexec_b32 s6, s6
; %bb.54:                               ;   in Loop: Header=BB124_11 Depth=3
	v_dual_mov_b32 v10, v2 :: v_dual_mov_b32 v11, v2
	v_dual_mov_b32 v12, v2 :: v_dual_mov_b32 v13, v2
	ds_store_b128 v89, v[10:13] offset:8192
; %bb.55:                               ;   in Loop: Header=BB124_11 Depth=3
	s_or_b32 exec_lo, exec_lo, s6
	s_nor_b32 s5, s5, s1
	s_delay_alu instid0(SALU_CYCLE_1) | instskip(NEXT) | instid1(SALU_CYCLE_1)
	s_and_saveexec_b32 s6, s5
	s_xor_b32 s5, exec_lo, s6
	s_cbranch_execz .LBB124_57
; %bb.56:                               ;   in Loop: Header=BB124_11 Depth=3
	global_load_b128 v[10:13], v[4:5], off
	s_wait_xcnt 0x0
	v_add_nc_u32_e32 v4, 0x2100, v89
	s_wait_loadcnt 0x0
	ds_store_2addr_b64 v4, v[10:11], v[12:13] offset1:1
.LBB124_57:                             ;   in Loop: Header=BB124_11 Depth=3
	s_and_not1_saveexec_b32 s5, s5
	s_cbranch_execz .LBB124_10
; %bb.58:                               ;   in Loop: Header=BB124_11 Depth=3
	v_dual_mov_b32 v10, v2 :: v_dual_mov_b32 v11, v2
	v_dual_mov_b32 v12, v2 :: v_dual_mov_b32 v13, v2
	ds_store_b128 v89, v[10:13] offset:8448
	s_branch .LBB124_10
.LBB124_59:                             ;   in Loop: Header=BB124_8 Depth=2
	s_delay_alu instid0(VALU_DEP_1) | instskip(SKIP_2) | instid1(VALU_DEP_2)
	v_mul_u64_e32 v[4:5], s[28:29], v[50:51]
	v_cmp_gt_i32_e32 vcc_lo, s38, v50
	s_and_b32 s5, s2, vcc_lo
	v_lshl_add_u64 v[4:5], v[4:5], 4, s[26:27]
	s_and_saveexec_b32 s4, s5
	s_cbranch_execz .LBB124_61
; %bb.60:                               ;   in Loop: Header=BB124_8 Depth=2
	s_delay_alu instid0(VALU_DEP_1)
	v_lshl_add_u64 v[14:15], v[28:29], 4, v[4:5]
	v_mul_f64_e32 v[16:17], v[8:9], v[68:69]
	v_mul_f64_e32 v[18:19], v[6:7], v[68:69]
	global_load_b128 v[10:13], v[14:15], off
	v_fma_f64 v[16:17], v[6:7], v[66:67], -v[16:17]
	v_fmac_f64_e32 v[18:19], v[8:9], v[66:67]
	s_wait_loadcnt 0x0
	s_delay_alu instid0(VALU_DEP_2) | instskip(NEXT) | instid1(VALU_DEP_2)
	v_add_f64_e32 v[10:11], v[10:11], v[16:17]
	v_add_f64_e32 v[12:13], v[18:19], v[12:13]
	global_store_b128 v[14:15], v[10:13], off
.LBB124_61:                             ;   in Loop: Header=BB124_8 Depth=2
	s_wait_xcnt 0x0
	s_or_b32 exec_lo, exec_lo, s4
	s_and_b32 s5, s3, vcc_lo
	s_delay_alu instid0(SALU_CYCLE_1)
	s_and_saveexec_b32 s4, s5
	s_cbranch_execz .LBB124_63
; %bb.62:                               ;   in Loop: Header=BB124_8 Depth=2
	v_lshl_add_u64 v[4:5], v[34:35], 4, v[4:5]
	v_mul_f64_e32 v[14:15], v[8:9], v[24:25]
	v_mul_f64_e32 v[16:17], v[6:7], v[24:25]
	global_load_b128 v[10:13], v[4:5], off
	v_fma_f64 v[14:15], v[6:7], v[22:23], -v[14:15]
	v_fmac_f64_e32 v[16:17], v[8:9], v[22:23]
	s_wait_loadcnt 0x0
	s_delay_alu instid0(VALU_DEP_2) | instskip(NEXT) | instid1(VALU_DEP_2)
	v_add_f64_e32 v[10:11], v[10:11], v[14:15]
	v_add_f64_e32 v[12:13], v[16:17], v[12:13]
	global_store_b128 v[4:5], v[10:13], off
.LBB124_63:                             ;   in Loop: Header=BB124_8 Depth=2
	s_wait_xcnt 0x0
	s_or_b32 exec_lo, exec_lo, s4
	v_add_nc_u32_e32 v4, 16, v50
	s_delay_alu instid0(VALU_DEP_1) | instskip(SKIP_1) | instid1(VALU_DEP_2)
	v_ashrrev_i32_e32 v5, 31, v4
	v_cmp_gt_i32_e32 vcc_lo, s38, v4
	v_mul_u64_e32 v[10:11], s[28:29], v[4:5]
	s_and_b32 s5, s2, vcc_lo
	s_delay_alu instid0(VALU_DEP_1)
	v_lshl_add_u64 v[4:5], v[10:11], 4, s[26:27]
	s_and_saveexec_b32 s4, s5
	s_cbranch_execz .LBB124_65
; %bb.64:                               ;   in Loop: Header=BB124_8 Depth=2
	s_delay_alu instid0(VALU_DEP_1)
	v_lshl_add_u64 v[14:15], v[28:29], 4, v[4:5]
	v_mul_f64_e32 v[16:17], v[8:9], v[72:73]
	v_mul_f64_e32 v[18:19], v[6:7], v[72:73]
	global_load_b128 v[10:13], v[14:15], off
	v_fma_f64 v[16:17], v[6:7], v[70:71], -v[16:17]
	v_fmac_f64_e32 v[18:19], v[8:9], v[70:71]
	s_wait_loadcnt 0x0
	s_delay_alu instid0(VALU_DEP_2) | instskip(NEXT) | instid1(VALU_DEP_2)
	v_add_f64_e32 v[10:11], v[10:11], v[16:17]
	v_add_f64_e32 v[12:13], v[18:19], v[12:13]
	global_store_b128 v[14:15], v[10:13], off
.LBB124_65:                             ;   in Loop: Header=BB124_8 Depth=2
	s_wait_xcnt 0x0
	s_or_b32 exec_lo, exec_lo, s4
	s_and_b32 s5, s3, vcc_lo
	s_delay_alu instid0(SALU_CYCLE_1)
	s_and_saveexec_b32 s4, s5
	s_cbranch_execz .LBB124_7
; %bb.66:                               ;   in Loop: Header=BB124_8 Depth=2
	v_lshl_add_u64 v[4:5], v[34:35], 4, v[4:5]
	v_mul_f64_e32 v[14:15], v[8:9], v[74:75]
	v_mul_f64_e32 v[16:17], v[6:7], v[74:75]
	global_load_b128 v[10:13], v[4:5], off
	v_fma_f64 v[14:15], v[6:7], v[76:77], -v[14:15]
	v_fmac_f64_e32 v[16:17], v[8:9], v[76:77]
	s_wait_loadcnt 0x0
	s_delay_alu instid0(VALU_DEP_2) | instskip(NEXT) | instid1(VALU_DEP_2)
	v_add_f64_e32 v[10:11], v[10:11], v[14:15]
	v_add_f64_e32 v[12:13], v[16:17], v[12:13]
	global_store_b128 v[4:5], v[10:13], off
	s_branch .LBB124_7
.LBB124_67:
	s_sendmsg sendmsg(MSG_DEALLOC_VGPRS)
	s_endpgm
	.section	.rodata,"a",@progbits
	.p2align	6, 0x0
	.amdhsa_kernel _ZL30rocblas_trmm_outofplace_kernelI19rocblas_complex_numIdELi32ELi2ELb0ELb0ELb1ELb0EPKS1_S2_S1_Ev17rocblas_diagonal_iiT6_lPT7_lllS7_lllPT8_llli
		.amdhsa_group_segment_fixed_size 32768
		.amdhsa_private_segment_fixed_size 0
		.amdhsa_kernarg_size 392
		.amdhsa_user_sgpr_count 2
		.amdhsa_user_sgpr_dispatch_ptr 0
		.amdhsa_user_sgpr_queue_ptr 0
		.amdhsa_user_sgpr_kernarg_segment_ptr 1
		.amdhsa_user_sgpr_dispatch_id 0
		.amdhsa_user_sgpr_kernarg_preload_length 0
		.amdhsa_user_sgpr_kernarg_preload_offset 0
		.amdhsa_user_sgpr_private_segment_size 0
		.amdhsa_wavefront_size32 1
		.amdhsa_uses_dynamic_stack 0
		.amdhsa_enable_private_segment 0
		.amdhsa_system_sgpr_workgroup_id_x 1
		.amdhsa_system_sgpr_workgroup_id_y 1
		.amdhsa_system_sgpr_workgroup_id_z 1
		.amdhsa_system_sgpr_workgroup_info 0
		.amdhsa_system_vgpr_workitem_id 1
		.amdhsa_next_free_vgpr 98
		.amdhsa_next_free_sgpr 54
		.amdhsa_named_barrier_count 0
		.amdhsa_reserve_vcc 1
		.amdhsa_float_round_mode_32 0
		.amdhsa_float_round_mode_16_64 0
		.amdhsa_float_denorm_mode_32 3
		.amdhsa_float_denorm_mode_16_64 3
		.amdhsa_fp16_overflow 0
		.amdhsa_memory_ordered 1
		.amdhsa_forward_progress 1
		.amdhsa_inst_pref_size 65
		.amdhsa_round_robin_scheduling 0
		.amdhsa_exception_fp_ieee_invalid_op 0
		.amdhsa_exception_fp_denorm_src 0
		.amdhsa_exception_fp_ieee_div_zero 0
		.amdhsa_exception_fp_ieee_overflow 0
		.amdhsa_exception_fp_ieee_underflow 0
		.amdhsa_exception_fp_ieee_inexact 0
		.amdhsa_exception_int_div_zero 0
	.end_amdhsa_kernel
	.section	.text._ZL30rocblas_trmm_outofplace_kernelI19rocblas_complex_numIdELi32ELi2ELb0ELb0ELb1ELb0EPKS1_S2_S1_Ev17rocblas_diagonal_iiT6_lPT7_lllS7_lllPT8_llli,"axG",@progbits,_ZL30rocblas_trmm_outofplace_kernelI19rocblas_complex_numIdELi32ELi2ELb0ELb0ELb1ELb0EPKS1_S2_S1_Ev17rocblas_diagonal_iiT6_lPT7_lllS7_lllPT8_llli,comdat
.Lfunc_end124:
	.size	_ZL30rocblas_trmm_outofplace_kernelI19rocblas_complex_numIdELi32ELi2ELb0ELb0ELb1ELb0EPKS1_S2_S1_Ev17rocblas_diagonal_iiT6_lPT7_lllS7_lllPT8_llli, .Lfunc_end124-_ZL30rocblas_trmm_outofplace_kernelI19rocblas_complex_numIdELi32ELi2ELb0ELb0ELb1ELb0EPKS1_S2_S1_Ev17rocblas_diagonal_iiT6_lPT7_lllS7_lllPT8_llli
                                        ; -- End function
	.set _ZL30rocblas_trmm_outofplace_kernelI19rocblas_complex_numIdELi32ELi2ELb0ELb0ELb1ELb0EPKS1_S2_S1_Ev17rocblas_diagonal_iiT6_lPT7_lllS7_lllPT8_llli.num_vgpr, 98
	.set _ZL30rocblas_trmm_outofplace_kernelI19rocblas_complex_numIdELi32ELi2ELb0ELb0ELb1ELb0EPKS1_S2_S1_Ev17rocblas_diagonal_iiT6_lPT7_lllS7_lllPT8_llli.num_agpr, 0
	.set _ZL30rocblas_trmm_outofplace_kernelI19rocblas_complex_numIdELi32ELi2ELb0ELb0ELb1ELb0EPKS1_S2_S1_Ev17rocblas_diagonal_iiT6_lPT7_lllS7_lllPT8_llli.numbered_sgpr, 54
	.set _ZL30rocblas_trmm_outofplace_kernelI19rocblas_complex_numIdELi32ELi2ELb0ELb0ELb1ELb0EPKS1_S2_S1_Ev17rocblas_diagonal_iiT6_lPT7_lllS7_lllPT8_llli.num_named_barrier, 0
	.set _ZL30rocblas_trmm_outofplace_kernelI19rocblas_complex_numIdELi32ELi2ELb0ELb0ELb1ELb0EPKS1_S2_S1_Ev17rocblas_diagonal_iiT6_lPT7_lllS7_lllPT8_llli.private_seg_size, 0
	.set _ZL30rocblas_trmm_outofplace_kernelI19rocblas_complex_numIdELi32ELi2ELb0ELb0ELb1ELb0EPKS1_S2_S1_Ev17rocblas_diagonal_iiT6_lPT7_lllS7_lllPT8_llli.uses_vcc, 1
	.set _ZL30rocblas_trmm_outofplace_kernelI19rocblas_complex_numIdELi32ELi2ELb0ELb0ELb1ELb0EPKS1_S2_S1_Ev17rocblas_diagonal_iiT6_lPT7_lllS7_lllPT8_llli.uses_flat_scratch, 0
	.set _ZL30rocblas_trmm_outofplace_kernelI19rocblas_complex_numIdELi32ELi2ELb0ELb0ELb1ELb0EPKS1_S2_S1_Ev17rocblas_diagonal_iiT6_lPT7_lllS7_lllPT8_llli.has_dyn_sized_stack, 0
	.set _ZL30rocblas_trmm_outofplace_kernelI19rocblas_complex_numIdELi32ELi2ELb0ELb0ELb1ELb0EPKS1_S2_S1_Ev17rocblas_diagonal_iiT6_lPT7_lllS7_lllPT8_llli.has_recursion, 0
	.set _ZL30rocblas_trmm_outofplace_kernelI19rocblas_complex_numIdELi32ELi2ELb0ELb0ELb1ELb0EPKS1_S2_S1_Ev17rocblas_diagonal_iiT6_lPT7_lllS7_lllPT8_llli.has_indirect_call, 0
	.section	.AMDGPU.csdata,"",@progbits
; Kernel info:
; codeLenInByte = 8312
; TotalNumSgprs: 56
; NumVgprs: 98
; ScratchSize: 0
; MemoryBound: 0
; FloatMode: 240
; IeeeMode: 1
; LDSByteSize: 32768 bytes/workgroup (compile time only)
; SGPRBlocks: 0
; VGPRBlocks: 6
; NumSGPRsForWavesPerEU: 56
; NumVGPRsForWavesPerEU: 98
; NamedBarCnt: 0
; Occupancy: 9
; WaveLimiterHint : 0
; COMPUTE_PGM_RSRC2:SCRATCH_EN: 0
; COMPUTE_PGM_RSRC2:USER_SGPR: 2
; COMPUTE_PGM_RSRC2:TRAP_HANDLER: 0
; COMPUTE_PGM_RSRC2:TGID_X_EN: 1
; COMPUTE_PGM_RSRC2:TGID_Y_EN: 1
; COMPUTE_PGM_RSRC2:TGID_Z_EN: 1
; COMPUTE_PGM_RSRC2:TIDIG_COMP_CNT: 1
	.section	.text._ZL30rocblas_trmm_outofplace_kernelI19rocblas_complex_numIdELi32ELi2ELb0ELb0ELb1ELb0ES1_KS1_S1_Ev17rocblas_diagonal_iiT6_lPT7_lllS6_lllPT8_llli,"axG",@progbits,_ZL30rocblas_trmm_outofplace_kernelI19rocblas_complex_numIdELi32ELi2ELb0ELb0ELb1ELb0ES1_KS1_S1_Ev17rocblas_diagonal_iiT6_lPT7_lllS6_lllPT8_llli,comdat
	.globl	_ZL30rocblas_trmm_outofplace_kernelI19rocblas_complex_numIdELi32ELi2ELb0ELb0ELb1ELb0ES1_KS1_S1_Ev17rocblas_diagonal_iiT6_lPT7_lllS6_lllPT8_llli ; -- Begin function _ZL30rocblas_trmm_outofplace_kernelI19rocblas_complex_numIdELi32ELi2ELb0ELb0ELb1ELb0ES1_KS1_S1_Ev17rocblas_diagonal_iiT6_lPT7_lllS6_lllPT8_llli
	.p2align	8
	.type	_ZL30rocblas_trmm_outofplace_kernelI19rocblas_complex_numIdELi32ELi2ELb0ELb0ELb1ELb0ES1_KS1_S1_Ev17rocblas_diagonal_iiT6_lPT7_lllS6_lllPT8_llli,@function
_ZL30rocblas_trmm_outofplace_kernelI19rocblas_complex_numIdELi32ELi2ELb0ELb0ELb1ELb0ES1_KS1_S1_Ev17rocblas_diagonal_iiT6_lPT7_lllS6_lllPT8_llli: ; @_ZL30rocblas_trmm_outofplace_kernelI19rocblas_complex_numIdELi32ELi2ELb0ELb0ELb1ELb0ES1_KS1_S1_Ev17rocblas_diagonal_iiT6_lPT7_lllS6_lllPT8_llli
; %bb.0:
	s_load_b32 s33, s[0:1], 0x88
	s_bfe_u32 s2, ttmp6, 0x40014
	s_lshr_b32 s3, ttmp7, 16
	s_add_co_i32 s2, s2, 1
	s_bfe_u32 s5, ttmp6, 0x40008
	s_mul_i32 s4, s3, s2
	s_getreg_b32 s2, hwreg(HW_REG_IB_STS2, 6, 4)
	s_add_co_i32 s5, s5, s4
	s_cmp_eq_u32 s2, 0
	s_cselect_b32 s34, s3, s5
	s_wait_kmcnt 0x0
	s_cmp_ge_u32 s34, s33
	s_cbranch_scc1 .LBB125_66
; %bb.1:
	s_load_b128 s[28:31], s[0:1], 0x10
	s_wait_kmcnt 0x0
	v_cmp_eq_f64_e64 s3, s[28:29], 0
	v_cmp_eq_f64_e64 s4, s[30:31], 0
	s_and_b32 s3, s3, s4
	s_delay_alu instid0(SALU_CYCLE_1)
	s_and_b32 vcc_lo, exec_lo, s3
	s_cbranch_vccnz .LBB125_66
; %bb.2:
	s_clause 0x1
	s_load_b96 s[36:38], s[0:1], 0x0
	s_load_b512 s[4:19], s[0:1], 0x28
	s_bfe_u32 s39, ttmp6, 0x4000c
	s_bfe_u32 s41, ttmp6, 0x40010
	v_and_b32_e32 v20, 0x3ff, v0
	v_bfe_u32 v0, v0, 10, 10
	v_mov_b32_e32 v2, 0
	s_and_b32 s40, ttmp7, 0xffff
	s_add_co_i32 s39, s39, 1
	s_add_co_i32 s41, s41, 1
	s_and_b32 s3, ttmp6, 15
	s_bfe_u32 s42, ttmp6, 0x40004
	s_mul_i32 s39, ttmp9, s39
	s_mul_i32 s41, s40, s41
	v_dual_mov_b32 v21, v2 :: v_dual_lshlrev_b32 v82, 9, v0
	v_mov_b32_e32 v1, v2
	s_add_co_i32 s3, s3, s39
	s_add_co_i32 s42, s42, s41
	v_dual_lshlrev_b32 v3, 4, v20 :: v_dual_mov_b32 v5, v2
	s_wait_kmcnt 0x0
	s_add_co_i32 s43, s38, -1
	v_mul_u64_e32 v[6:7], s[8:9], v[20:21]
	s_ashr_i32 s44, s43, 31
	v_mul_u64_e32 v[8:9], s[16:17], v[0:1]
	s_lshr_b32 s44, s44, 27
	v_or_b32_e32 v83, 0x4000, v3
	s_add_co_i32 s43, s43, s44
	v_add_nc_u32_e32 v84, v82, v3
	s_ashr_i32 s39, s43, 5
	s_cmp_eq_u32 s2, 0
	v_add_nc_u32_e32 v3, 0x100, v3
	s_cselect_b32 s2, ttmp9, s3
	s_cselect_b32 s46, s40, s42
	v_lshl_add_u32 v22, s2, 5, v20
	v_lshlrev_b32_e32 v4, 4, v0
	s_cmp_le_i32 s46, s39
	s_mov_b32 s2, s37
	s_cselect_b32 s47, -1, 0
	v_ashrrev_i32_e32 v23, 31, v22
	v_add_nc_u64_e32 v[4:5], 0x100, v[4:5]
	s_cmp_eq_u32 s36, 0x84
	s_load_b256 s[20:27], s[0:1], 0x68
	s_cselect_b32 s36, -1, 0
	s_ashr_i32 s3, s37, 31
	s_lshl_b64 s[44:45], s[16:17], 9
	v_add_nc_u32_e32 v28, 16, v22
	v_mul_u64_e32 v[24:25], s[16:17], v[4:5]
	v_sub_nc_u64_e32 v[4:5], s[2:3], v[22:23]
	s_lshl_b64 s[2:3], s[6:7], 4
	s_lshl_b64 s[6:7], s[14:15], 4
	s_add_nc_u64 s[4:5], s[4:5], s[2:3]
	s_add_nc_u64 s[6:7], s[12:13], s[6:7]
	v_mad_nc_u64_u32 v[26:27], s8, v3, s[4:5]
	s_add_nc_u64 s[16:17], s[0:1], 0x90
	s_wait_xcnt 0x0
	v_cmp_gt_i64_e64 s0, 1, v[4:5]
	v_cmp_gt_i64_e64 s1, 17, v[4:5]
	v_lshl_add_u64 v[4:5], v[22:23], 4, s[6:7]
	v_lshl_add_u64 v[6:7], v[6:7], 4, s[4:5]
	v_lshlrev_b64_e32 v[30:31], 4, v[8:9]
	v_add_nc_u32_e32 v85, v83, v82
	v_cmp_gt_i32_e64 s2, s37, v22
	v_add_nc_u64_e32 v[32:33], 0x100, v[4:5]
	v_add_nc_u64_e32 v[34:35], 0x100, v[6:7]
	v_mad_u32 v27, s9, v3, v27
	v_lshl_add_u32 v86, s46, 5, v0
	v_mov_b32_e32 v3, 0x3ff00000
	v_cmp_gt_i32_e64 s3, s37, v28
	v_ashrrev_i32_e32 v29, 31, v28
	s_mov_b32 s40, s38
	s_ashr_i32 s41, s38, 31
	s_wait_kmcnt 0x0
	s_lshl_b64 s[22:23], s[22:23], 4
	s_mov_b32 s35, 0
	s_lshl_b64 s[42:43], s[8:9], 9
	s_add_nc_u64 s[20:21], s[20:21], s[22:23]
	s_add_nc_u64 s[12:13], s[40:41], -16
	s_lshl_b64 s[14:15], s[18:19], 4
	s_lshl_b64 s[10:11], s[10:11], 4
	s_branch .LBB125_4
.LBB125_3:                              ;   in Loop: Header=BB125_4 Depth=1
	s_add_co_i32 s34, s34, 0x10000
	s_delay_alu instid0(SALU_CYCLE_1)
	s_cmp_ge_u32 s34, s33
	s_cbranch_scc1 .LBB125_66
.LBB125_4:                              ; =>This Loop Header: Depth=1
                                        ;     Child Loop BB125_7 Depth 2
                                        ;       Child Loop BB125_10 Depth 3
	s_and_not1_b32 vcc_lo, exec_lo, s47
	s_cbranch_vccnz .LBB125_3
; %bb.5:                                ;   in Loop: Header=BB125_4 Depth=1
	s_load_b32 s37, s[16:17], 0x4
	v_mad_nc_u64_u32 v[36:37], s14, s34, v[32:33]
	v_mad_nc_u64_u32 v[38:39], s10, s34, v[34:35]
	;; [unrolled: 1-line block ×3, first 2 shown]
	s_mul_i32 s6, s11, s34
	s_mul_u64 s[4:5], s[26:27], s[34:35]
	v_mov_b32_e32 v42, v86
	s_lshl_b64 s[4:5], s[4:5], 4
	s_mov_b32 s49, s46
	s_add_nc_u64 s[18:19], s[20:21], s[4:5]
	s_delay_alu instid0(VALU_DEP_4) | instskip(NEXT) | instid1(VALU_DEP_3)
	v_mad_u32 v37, s15, s34, v37
	v_dual_add_nc_u32 v39, s6, v39 :: v_dual_add_nc_u32 v41, s6, v41
	s_wait_kmcnt 0x0
	s_lshl_b32 s48, s37, 5
	s_branch .LBB125_7
.LBB125_6:                              ;   in Loop: Header=BB125_7 Depth=2
	s_wait_xcnt 0x0
	s_or_b32 exec_lo, exec_lo, s4
	v_add_nc_u32_e32 v42, s48, v42
	s_add_co_i32 s49, s37, s49
	s_delay_alu instid0(SALU_CYCLE_1)
	s_cmp_gt_i32 s49, s39
	s_cbranch_scc1 .LBB125_3
.LBB125_7:                              ;   Parent Loop BB125_4 Depth=1
                                        ; =>  This Loop Header: Depth=2
                                        ;       Child Loop BB125_10 Depth 3
	s_lshl_b32 s50, s49, 5
	v_mov_b64_e32 v[62:63], 0
	v_add_nc_u32_e32 v44, s50, v0
	v_mov_b64_e32 v[64:65], 0
	v_mov_b64_e32 v[18:19], 0
	;; [unrolled: 1-line block ×7, first 2 shown]
	v_ashrrev_i32_e32 v45, 31, v44
	s_cmp_lt_i32 s49, 0
	s_cbranch_scc1 .LBB125_58
; %bb.8:                                ;   in Loop: Header=BB125_7 Depth=2
	v_sub_nc_u64_e32 v[4:5], 0, v[20:21]
	v_ashrrev_i32_e32 v43, 31, v42
	v_add_nc_u64_e32 v[46:47], 16, v[44:45]
	v_mov_b64_e32 v[70:71], 0
	v_mov_b64_e32 v[48:49], v[40:41]
	;; [unrolled: 1-line block ×4, first 2 shown]
	v_add_nc_u64_e32 v[50:51], v[4:5], v[42:43]
	v_mov_b64_e32 v[66:67], 0
	v_mov_b64_e32 v[16:17], 0
	v_lshlrev_b64_e32 v[52:53], 4, v[42:43]
	v_cmp_le_i64_e64 s4, s[40:41], v[46:47]
	v_mov_b64_e32 v[18:19], 0
	v_mov_b64_e32 v[64:65], 0
	v_add_nc_u64_e32 v[54:55], 16, v[50:51]
	v_add_nc_u64_e32 v[56:57], -16, v[50:51]
	v_mov_b64_e32 v[62:63], 0
	v_mov_b64_e32 v[58:59], v[38:39]
	;; [unrolled: 1-line block ×3, first 2 shown]
	s_mov_b64 s[22:23], 0
	v_cmp_le_i32_e32 vcc_lo, s38, v44
	s_branch .LBB125_10
.LBB125_9:                              ;   in Loop: Header=BB125_10 Depth=3
	s_or_b32 exec_lo, exec_lo, s5
	s_wait_dscnt 0x0
	s_barrier_signal -1
	s_barrier_wait -1
	ds_load_b128 v[76:79], v82
	ds_load_b128 v[12:15], v82 offset:16
	ds_load_b128 v[8:11], v82 offset:32
	;; [unrolled: 1-line block ×3, first 2 shown]
	ds_load_b128 v[88:91], v83
	v_add_nc_u64_e32 v[60:61], s[44:45], v[60:61]
	v_add_nc_u64_e32 v[58:59], s[42:43], v[58:59]
	;; [unrolled: 1-line block ×3, first 2 shown]
	s_add_nc_u64 s[22:23], s[22:23], 32
	s_delay_alu instid0(SALU_CYCLE_1) | instskip(NEXT) | instid1(SALU_CYCLE_1)
	s_sub_co_i32 s5, s22, 32
	s_cmp_ge_i32 s5, s50
	s_wait_dscnt 0x0
	v_mul_f64_e32 v[72:73], v[78:79], v[90:91]
	v_mul_f64_e32 v[80:81], v[76:77], v[90:91]
	s_delay_alu instid0(VALU_DEP_2) | instskip(NEXT) | instid1(VALU_DEP_2)
	v_fma_f64 v[72:73], v[76:77], v[88:89], -v[72:73]
	v_fmac_f64_e32 v[80:81], v[78:79], v[88:89]
	s_delay_alu instid0(VALU_DEP_2) | instskip(NEXT) | instid1(VALU_DEP_2)
	v_add_f64_e32 v[72:73], v[62:63], v[72:73]
	v_add_f64_e32 v[80:81], v[80:81], v[64:65]
	ds_load_b128 v[62:65], v83 offset:256
	s_wait_dscnt 0x0
	v_mul_f64_e32 v[92:93], v[78:79], v[64:65]
	v_mul_f64_e32 v[94:95], v[76:77], v[64:65]
	s_delay_alu instid0(VALU_DEP_2) | instskip(NEXT) | instid1(VALU_DEP_2)
	v_fma_f64 v[92:93], v[76:77], v[62:63], -v[92:93]
	v_fmac_f64_e32 v[94:95], v[78:79], v[62:63]
	s_delay_alu instid0(VALU_DEP_2) | instskip(NEXT) | instid1(VALU_DEP_2)
	v_add_f64_e32 v[76:77], v[18:19], v[92:93]
	v_add_f64_e32 v[78:79], v[94:95], v[16:17]
	ds_load_b128 v[16:19], v82 offset:8192
	s_wait_dscnt 0x0
	v_mul_f64_e32 v[92:93], v[18:19], v[90:91]
	v_mul_f64_e32 v[90:91], v[16:17], v[90:91]
	s_delay_alu instid0(VALU_DEP_2) | instskip(NEXT) | instid1(VALU_DEP_2)
	v_fma_f64 v[92:93], v[16:17], v[88:89], -v[92:93]
	v_fmac_f64_e32 v[90:91], v[18:19], v[88:89]
	v_mul_f64_e32 v[88:89], v[18:19], v[64:65]
	s_delay_alu instid0(VALU_DEP_3) | instskip(NEXT) | instid1(VALU_DEP_3)
	v_add_f64_e32 v[66:67], v[66:67], v[92:93]
	v_add_f64_e32 v[68:69], v[90:91], v[68:69]
	s_delay_alu instid0(VALU_DEP_3) | instskip(SKIP_1) | instid1(VALU_DEP_1)
	v_fma_f64 v[88:89], v[16:17], v[62:63], -v[88:89]
	v_mul_f64_e32 v[16:17], v[16:17], v[64:65]
	v_fmac_f64_e32 v[16:17], v[18:19], v[62:63]
	s_delay_alu instid0(VALU_DEP_3)
	v_add_f64_e32 v[62:63], v[74:75], v[88:89]
	ds_load_b128 v[88:91], v83 offset:768
	v_add_f64_e32 v[64:65], v[16:17], v[70:71]
	ds_load_b128 v[16:19], v83 offset:512
	s_wait_dscnt 0x0
	v_mul_f64_e32 v[70:71], v[14:15], v[18:19]
	v_mul_f64_e32 v[74:75], v[12:13], v[18:19]
	s_delay_alu instid0(VALU_DEP_2) | instskip(NEXT) | instid1(VALU_DEP_2)
	v_fma_f64 v[70:71], v[12:13], v[16:17], -v[70:71]
	v_fmac_f64_e32 v[74:75], v[14:15], v[16:17]
	s_delay_alu instid0(VALU_DEP_2) | instskip(NEXT) | instid1(VALU_DEP_2)
	v_add_f64_e32 v[70:71], v[72:73], v[70:71]
	v_add_f64_e32 v[72:73], v[74:75], v[80:81]
	v_mul_f64_e32 v[74:75], v[14:15], v[90:91]
	v_mul_f64_e32 v[80:81], v[12:13], v[90:91]
	s_delay_alu instid0(VALU_DEP_2) | instskip(NEXT) | instid1(VALU_DEP_2)
	v_fma_f64 v[74:75], v[12:13], v[88:89], -v[74:75]
	v_fmac_f64_e32 v[80:81], v[14:15], v[88:89]
	s_delay_alu instid0(VALU_DEP_2)
	v_add_f64_e32 v[12:13], v[76:77], v[74:75]
	ds_load_b128 v[74:77], v82 offset:8208
	v_add_f64_e32 v[14:15], v[80:81], v[78:79]
	s_wait_dscnt 0x0
	v_mul_f64_e32 v[78:79], v[76:77], v[18:19]
	v_mul_f64_e32 v[18:19], v[74:75], v[18:19]
	s_delay_alu instid0(VALU_DEP_2) | instskip(NEXT) | instid1(VALU_DEP_2)
	v_fma_f64 v[78:79], v[74:75], v[16:17], -v[78:79]
	v_fmac_f64_e32 v[18:19], v[76:77], v[16:17]
	s_delay_alu instid0(VALU_DEP_2) | instskip(NEXT) | instid1(VALU_DEP_2)
	v_add_f64_e32 v[16:17], v[66:67], v[78:79]
	v_add_f64_e32 v[18:19], v[18:19], v[68:69]
	v_mul_f64_e32 v[66:67], v[76:77], v[90:91]
	v_mul_f64_e32 v[68:69], v[74:75], v[90:91]
	s_delay_alu instid0(VALU_DEP_2) | instskip(NEXT) | instid1(VALU_DEP_2)
	v_fma_f64 v[66:67], v[74:75], v[88:89], -v[66:67]
	v_fmac_f64_e32 v[68:69], v[76:77], v[88:89]
	s_delay_alu instid0(VALU_DEP_2) | instskip(NEXT) | instid1(VALU_DEP_2)
	v_add_f64_e32 v[62:63], v[62:63], v[66:67]
	v_add_f64_e32 v[64:65], v[68:69], v[64:65]
	ds_load_b128 v[66:69], v83 offset:1024
	s_wait_dscnt 0x0
	v_mul_f64_e32 v[74:75], v[10:11], v[68:69]
	v_mul_f64_e32 v[76:77], v[8:9], v[68:69]
	s_delay_alu instid0(VALU_DEP_2) | instskip(NEXT) | instid1(VALU_DEP_2)
	v_fma_f64 v[74:75], v[8:9], v[66:67], -v[74:75]
	v_fmac_f64_e32 v[76:77], v[10:11], v[66:67]
	s_delay_alu instid0(VALU_DEP_2) | instskip(NEXT) | instid1(VALU_DEP_2)
	v_add_f64_e32 v[74:75], v[70:71], v[74:75]
	v_add_f64_e32 v[76:77], v[76:77], v[72:73]
	ds_load_b128 v[70:73], v83 offset:1280
	s_wait_dscnt 0x0
	v_mul_f64_e32 v[78:79], v[10:11], v[72:73]
	s_delay_alu instid0(VALU_DEP_1) | instskip(SKIP_1) | instid1(VALU_DEP_2)
	v_fma_f64 v[78:79], v[8:9], v[70:71], -v[78:79]
	v_mul_f64_e32 v[8:9], v[8:9], v[72:73]
	v_add_f64_e32 v[78:79], v[12:13], v[78:79]
	s_delay_alu instid0(VALU_DEP_2) | instskip(NEXT) | instid1(VALU_DEP_1)
	v_fmac_f64_e32 v[8:9], v[10:11], v[70:71]
	v_add_f64_e32 v[80:81], v[8:9], v[14:15]
	ds_load_b128 v[8:11], v82 offset:8224
	s_wait_dscnt 0x0
	v_mul_f64_e32 v[12:13], v[10:11], v[68:69]
	v_mul_f64_e32 v[14:15], v[8:9], v[68:69]
	s_delay_alu instid0(VALU_DEP_2) | instskip(NEXT) | instid1(VALU_DEP_2)
	v_fma_f64 v[12:13], v[8:9], v[66:67], -v[12:13]
	v_fmac_f64_e32 v[14:15], v[10:11], v[66:67]
	s_delay_alu instid0(VALU_DEP_2) | instskip(SKIP_1) | instid1(VALU_DEP_3)
	v_add_f64_e32 v[66:67], v[16:17], v[12:13]
	v_mul_f64_e32 v[12:13], v[10:11], v[72:73]
	v_add_f64_e32 v[68:69], v[14:15], v[18:19]
	s_delay_alu instid0(VALU_DEP_2) | instskip(SKIP_1) | instid1(VALU_DEP_2)
	v_fma_f64 v[12:13], v[8:9], v[70:71], -v[12:13]
	v_mul_f64_e32 v[8:9], v[8:9], v[72:73]
	v_add_f64_e32 v[62:63], v[62:63], v[12:13]
	s_delay_alu instid0(VALU_DEP_2)
	v_fmac_f64_e32 v[8:9], v[10:11], v[70:71]
	ds_load_b128 v[12:15], v83 offset:1536
	s_wait_dscnt 0x0
	v_mul_f64_e32 v[10:11], v[4:5], v[14:15]
	v_add_f64_e32 v[64:65], v[8:9], v[64:65]
	v_mul_f64_e32 v[8:9], v[6:7], v[14:15]
	s_delay_alu instid0(VALU_DEP_3) | instskip(NEXT) | instid1(VALU_DEP_2)
	v_fmac_f64_e32 v[10:11], v[6:7], v[12:13]
	v_fma_f64 v[8:9], v[4:5], v[12:13], -v[8:9]
	s_delay_alu instid0(VALU_DEP_2) | instskip(NEXT) | instid1(VALU_DEP_2)
	v_add_f64_e32 v[18:19], v[10:11], v[76:77]
	v_add_f64_e32 v[16:17], v[74:75], v[8:9]
	ds_load_b128 v[8:11], v83 offset:1792
	s_wait_dscnt 0x0
	v_mul_f64_e32 v[70:71], v[6:7], v[10:11]
	v_mul_f64_e32 v[72:73], v[4:5], v[10:11]
	s_delay_alu instid0(VALU_DEP_2) | instskip(NEXT) | instid1(VALU_DEP_2)
	v_fma_f64 v[70:71], v[4:5], v[8:9], -v[70:71]
	v_fmac_f64_e32 v[72:73], v[6:7], v[8:9]
	s_delay_alu instid0(VALU_DEP_2) | instskip(NEXT) | instid1(VALU_DEP_2)
	v_add_f64_e32 v[4:5], v[78:79], v[70:71]
	v_add_f64_e32 v[6:7], v[72:73], v[80:81]
	ds_load_b128 v[70:73], v82 offset:8240
	s_wait_dscnt 0x0
	v_mul_f64_e32 v[74:75], v[72:73], v[14:15]
	v_mul_f64_e32 v[14:15], v[70:71], v[14:15]
	s_delay_alu instid0(VALU_DEP_2) | instskip(NEXT) | instid1(VALU_DEP_2)
	v_fma_f64 v[74:75], v[70:71], v[12:13], -v[74:75]
	v_fmac_f64_e32 v[14:15], v[72:73], v[12:13]
	s_delay_alu instid0(VALU_DEP_2) | instskip(SKIP_2) | instid1(VALU_DEP_4)
	v_add_f64_e32 v[12:13], v[66:67], v[74:75]
	v_mul_f64_e32 v[66:67], v[72:73], v[10:11]
	v_mul_f64_e32 v[10:11], v[70:71], v[10:11]
	v_add_f64_e32 v[14:15], v[14:15], v[68:69]
	s_delay_alu instid0(VALU_DEP_3) | instskip(NEXT) | instid1(VALU_DEP_3)
	v_fma_f64 v[66:67], v[70:71], v[8:9], -v[66:67]
	v_fmac_f64_e32 v[10:11], v[72:73], v[8:9]
	s_delay_alu instid0(VALU_DEP_2) | instskip(NEXT) | instid1(VALU_DEP_2)
	v_add_f64_e32 v[8:9], v[62:63], v[66:67]
	v_add_f64_e32 v[10:11], v[10:11], v[64:65]
	ds_load_b128 v[62:65], v82 offset:64
	ds_load_b128 v[66:69], v83 offset:2048
	s_wait_dscnt 0x0
	v_mul_f64_e32 v[70:71], v[64:65], v[68:69]
	v_mul_f64_e32 v[72:73], v[62:63], v[68:69]
	s_delay_alu instid0(VALU_DEP_2) | instskip(NEXT) | instid1(VALU_DEP_2)
	v_fma_f64 v[70:71], v[62:63], v[66:67], -v[70:71]
	v_fmac_f64_e32 v[72:73], v[64:65], v[66:67]
	s_delay_alu instid0(VALU_DEP_2) | instskip(NEXT) | instid1(VALU_DEP_2)
	v_add_f64_e32 v[16:17], v[16:17], v[70:71]
	v_add_f64_e32 v[18:19], v[72:73], v[18:19]
	ds_load_b128 v[70:73], v83 offset:2304
	s_wait_dscnt 0x0
	v_mul_f64_e32 v[74:75], v[64:65], v[72:73]
	s_delay_alu instid0(VALU_DEP_1) | instskip(SKIP_1) | instid1(VALU_DEP_2)
	v_fma_f64 v[74:75], v[62:63], v[70:71], -v[74:75]
	v_mul_f64_e32 v[62:63], v[62:63], v[72:73]
	v_add_f64_e32 v[74:75], v[4:5], v[74:75]
	s_delay_alu instid0(VALU_DEP_2) | instskip(NEXT) | instid1(VALU_DEP_1)
	v_fmac_f64_e32 v[62:63], v[64:65], v[70:71]
	v_add_f64_e32 v[76:77], v[62:63], v[6:7]
	ds_load_b128 v[4:7], v82 offset:8256
	s_wait_dscnt 0x0
	v_mul_f64_e32 v[62:63], v[6:7], v[68:69]
	v_mul_f64_e32 v[64:65], v[4:5], v[68:69]
	s_delay_alu instid0(VALU_DEP_2) | instskip(NEXT) | instid1(VALU_DEP_2)
	v_fma_f64 v[62:63], v[4:5], v[66:67], -v[62:63]
	v_fmac_f64_e32 v[64:65], v[6:7], v[66:67]
	s_delay_alu instid0(VALU_DEP_2) | instskip(SKIP_1) | instid1(VALU_DEP_3)
	v_add_f64_e32 v[12:13], v[12:13], v[62:63]
	v_mul_f64_e32 v[62:63], v[6:7], v[72:73]
	v_add_f64_e32 v[14:15], v[64:65], v[14:15]
	s_delay_alu instid0(VALU_DEP_2) | instskip(SKIP_1) | instid1(VALU_DEP_2)
	v_fma_f64 v[62:63], v[4:5], v[70:71], -v[62:63]
	v_mul_f64_e32 v[4:5], v[4:5], v[72:73]
	v_add_f64_e32 v[8:9], v[8:9], v[62:63]
	s_delay_alu instid0(VALU_DEP_2) | instskip(NEXT) | instid1(VALU_DEP_1)
	v_fmac_f64_e32 v[4:5], v[6:7], v[70:71]
	v_add_f64_e32 v[10:11], v[4:5], v[10:11]
	ds_load_b128 v[4:7], v82 offset:80
	ds_load_b128 v[62:65], v83 offset:2560
	s_wait_dscnt 0x0
	v_mul_f64_e32 v[66:67], v[6:7], v[64:65]
	v_mul_f64_e32 v[68:69], v[4:5], v[64:65]
	s_delay_alu instid0(VALU_DEP_2) | instskip(NEXT) | instid1(VALU_DEP_2)
	v_fma_f64 v[66:67], v[4:5], v[62:63], -v[66:67]
	v_fmac_f64_e32 v[68:69], v[6:7], v[62:63]
	s_delay_alu instid0(VALU_DEP_2) | instskip(NEXT) | instid1(VALU_DEP_2)
	v_add_f64_e32 v[16:17], v[16:17], v[66:67]
	v_add_f64_e32 v[18:19], v[68:69], v[18:19]
	ds_load_b128 v[66:69], v83 offset:2816
	s_wait_dscnt 0x0
	v_mul_f64_e32 v[70:71], v[6:7], v[68:69]
	v_mul_f64_e32 v[72:73], v[4:5], v[68:69]
	s_delay_alu instid0(VALU_DEP_2) | instskip(NEXT) | instid1(VALU_DEP_2)
	v_fma_f64 v[70:71], v[4:5], v[66:67], -v[70:71]
	v_fmac_f64_e32 v[72:73], v[6:7], v[66:67]
	s_delay_alu instid0(VALU_DEP_2) | instskip(NEXT) | instid1(VALU_DEP_2)
	v_add_f64_e32 v[4:5], v[74:75], v[70:71]
	v_add_f64_e32 v[6:7], v[72:73], v[76:77]
	ds_load_b128 v[70:73], v82 offset:8272
	s_wait_dscnt 0x0
	v_mul_f64_e32 v[74:75], v[72:73], v[64:65]
	v_mul_f64_e32 v[64:65], v[70:71], v[64:65]
	s_delay_alu instid0(VALU_DEP_2) | instskip(NEXT) | instid1(VALU_DEP_2)
	v_fma_f64 v[74:75], v[70:71], v[62:63], -v[74:75]
	v_fmac_f64_e32 v[64:65], v[72:73], v[62:63]
	v_mul_f64_e32 v[62:63], v[72:73], v[68:69]
	s_delay_alu instid0(VALU_DEP_3) | instskip(NEXT) | instid1(VALU_DEP_3)
	v_add_f64_e32 v[12:13], v[12:13], v[74:75]
	v_add_f64_e32 v[14:15], v[64:65], v[14:15]
	v_mul_f64_e32 v[64:65], v[70:71], v[68:69]
	s_delay_alu instid0(VALU_DEP_4) | instskip(NEXT) | instid1(VALU_DEP_2)
	v_fma_f64 v[62:63], v[70:71], v[66:67], -v[62:63]
	v_fmac_f64_e32 v[64:65], v[72:73], v[66:67]
	s_delay_alu instid0(VALU_DEP_2) | instskip(NEXT) | instid1(VALU_DEP_2)
	v_add_f64_e32 v[70:71], v[8:9], v[62:63]
	v_add_f64_e32 v[72:73], v[64:65], v[10:11]
	ds_load_b128 v[8:11], v82 offset:96
	ds_load_b128 v[62:65], v83 offset:3072
	s_wait_dscnt 0x0
	v_mul_f64_e32 v[66:67], v[10:11], v[64:65]
	v_mul_f64_e32 v[68:69], v[8:9], v[64:65]
	s_delay_alu instid0(VALU_DEP_2) | instskip(NEXT) | instid1(VALU_DEP_2)
	v_fma_f64 v[66:67], v[8:9], v[62:63], -v[66:67]
	v_fmac_f64_e32 v[68:69], v[10:11], v[62:63]
	s_delay_alu instid0(VALU_DEP_2) | instskip(NEXT) | instid1(VALU_DEP_2)
	v_add_f64_e32 v[16:17], v[16:17], v[66:67]
	v_add_f64_e32 v[18:19], v[68:69], v[18:19]
	ds_load_b128 v[66:69], v83 offset:3328
	s_wait_dscnt 0x0
	v_mul_f64_e32 v[74:75], v[10:11], v[68:69]
	s_delay_alu instid0(VALU_DEP_1) | instskip(SKIP_1) | instid1(VALU_DEP_2)
	v_fma_f64 v[74:75], v[8:9], v[66:67], -v[74:75]
	v_mul_f64_e32 v[8:9], v[8:9], v[68:69]
	v_add_f64_e32 v[74:75], v[4:5], v[74:75]
	s_delay_alu instid0(VALU_DEP_2) | instskip(NEXT) | instid1(VALU_DEP_1)
	v_fmac_f64_e32 v[8:9], v[10:11], v[66:67]
	v_add_f64_e32 v[76:77], v[8:9], v[6:7]
	ds_load_b128 v[4:7], v82 offset:8288
	s_wait_dscnt 0x0
	v_mul_f64_e32 v[8:9], v[6:7], v[64:65]
	v_mul_f64_e32 v[10:11], v[4:5], v[64:65]
	s_delay_alu instid0(VALU_DEP_2) | instskip(NEXT) | instid1(VALU_DEP_2)
	v_fma_f64 v[8:9], v[4:5], v[62:63], -v[8:9]
	v_fmac_f64_e32 v[10:11], v[6:7], v[62:63]
	s_delay_alu instid0(VALU_DEP_2) | instskip(SKIP_1) | instid1(VALU_DEP_3)
	v_add_f64_e32 v[12:13], v[12:13], v[8:9]
	v_mul_f64_e32 v[8:9], v[6:7], v[68:69]
	v_add_f64_e32 v[14:15], v[10:11], v[14:15]
	s_delay_alu instid0(VALU_DEP_2) | instskip(SKIP_1) | instid1(VALU_DEP_2)
	v_fma_f64 v[8:9], v[4:5], v[66:67], -v[8:9]
	v_mul_f64_e32 v[4:5], v[4:5], v[68:69]
	v_add_f64_e32 v[8:9], v[70:71], v[8:9]
	s_delay_alu instid0(VALU_DEP_2) | instskip(NEXT) | instid1(VALU_DEP_1)
	v_fmac_f64_e32 v[4:5], v[6:7], v[66:67]
	v_add_f64_e32 v[10:11], v[4:5], v[72:73]
	ds_load_b128 v[4:7], v82 offset:112
	ds_load_b128 v[62:65], v83 offset:3584
	s_wait_dscnt 0x0
	v_mul_f64_e32 v[66:67], v[6:7], v[64:65]
	v_mul_f64_e32 v[68:69], v[4:5], v[64:65]
	s_delay_alu instid0(VALU_DEP_2) | instskip(NEXT) | instid1(VALU_DEP_2)
	v_fma_f64 v[66:67], v[4:5], v[62:63], -v[66:67]
	v_fmac_f64_e32 v[68:69], v[6:7], v[62:63]
	s_delay_alu instid0(VALU_DEP_2) | instskip(NEXT) | instid1(VALU_DEP_2)
	v_add_f64_e32 v[16:17], v[16:17], v[66:67]
	v_add_f64_e32 v[18:19], v[68:69], v[18:19]
	ds_load_b128 v[66:69], v83 offset:3840
	s_wait_dscnt 0x0
	v_mul_f64_e32 v[70:71], v[6:7], v[68:69]
	v_mul_f64_e32 v[72:73], v[4:5], v[68:69]
	s_delay_alu instid0(VALU_DEP_2) | instskip(NEXT) | instid1(VALU_DEP_2)
	v_fma_f64 v[70:71], v[4:5], v[66:67], -v[70:71]
	v_fmac_f64_e32 v[72:73], v[6:7], v[66:67]
	s_delay_alu instid0(VALU_DEP_2) | instskip(NEXT) | instid1(VALU_DEP_2)
	v_add_f64_e32 v[4:5], v[74:75], v[70:71]
	v_add_f64_e32 v[6:7], v[72:73], v[76:77]
	ds_load_b128 v[70:73], v82 offset:8304
	s_wait_dscnt 0x0
	v_mul_f64_e32 v[74:75], v[72:73], v[64:65]
	v_mul_f64_e32 v[64:65], v[70:71], v[64:65]
	s_delay_alu instid0(VALU_DEP_2) | instskip(NEXT) | instid1(VALU_DEP_2)
	v_fma_f64 v[74:75], v[70:71], v[62:63], -v[74:75]
	v_fmac_f64_e32 v[64:65], v[72:73], v[62:63]
	v_mul_f64_e32 v[62:63], v[72:73], v[68:69]
	s_delay_alu instid0(VALU_DEP_3) | instskip(NEXT) | instid1(VALU_DEP_3)
	v_add_f64_e32 v[12:13], v[12:13], v[74:75]
	v_add_f64_e32 v[14:15], v[64:65], v[14:15]
	v_mul_f64_e32 v[64:65], v[70:71], v[68:69]
	s_delay_alu instid0(VALU_DEP_4) | instskip(NEXT) | instid1(VALU_DEP_2)
	v_fma_f64 v[62:63], v[70:71], v[66:67], -v[62:63]
	v_fmac_f64_e32 v[64:65], v[72:73], v[66:67]
	s_delay_alu instid0(VALU_DEP_2) | instskip(NEXT) | instid1(VALU_DEP_2)
	v_add_f64_e32 v[70:71], v[8:9], v[62:63]
	v_add_f64_e32 v[72:73], v[64:65], v[10:11]
	ds_load_b128 v[8:11], v82 offset:128
	ds_load_b128 v[62:65], v83 offset:4096
	s_wait_dscnt 0x0
	v_mul_f64_e32 v[66:67], v[10:11], v[64:65]
	v_mul_f64_e32 v[68:69], v[8:9], v[64:65]
	s_delay_alu instid0(VALU_DEP_2) | instskip(NEXT) | instid1(VALU_DEP_2)
	v_fma_f64 v[66:67], v[8:9], v[62:63], -v[66:67]
	v_fmac_f64_e32 v[68:69], v[10:11], v[62:63]
	s_delay_alu instid0(VALU_DEP_2) | instskip(NEXT) | instid1(VALU_DEP_2)
	v_add_f64_e32 v[16:17], v[16:17], v[66:67]
	v_add_f64_e32 v[18:19], v[68:69], v[18:19]
	ds_load_b128 v[66:69], v83 offset:4352
	s_wait_dscnt 0x0
	v_mul_f64_e32 v[74:75], v[10:11], v[68:69]
	s_delay_alu instid0(VALU_DEP_1) | instskip(SKIP_1) | instid1(VALU_DEP_2)
	v_fma_f64 v[74:75], v[8:9], v[66:67], -v[74:75]
	v_mul_f64_e32 v[8:9], v[8:9], v[68:69]
	v_add_f64_e32 v[74:75], v[4:5], v[74:75]
	s_delay_alu instid0(VALU_DEP_2) | instskip(NEXT) | instid1(VALU_DEP_1)
	v_fmac_f64_e32 v[8:9], v[10:11], v[66:67]
	v_add_f64_e32 v[76:77], v[8:9], v[6:7]
	ds_load_b128 v[4:7], v82 offset:8320
	s_wait_dscnt 0x0
	v_mul_f64_e32 v[8:9], v[6:7], v[64:65]
	v_mul_f64_e32 v[10:11], v[4:5], v[64:65]
	s_delay_alu instid0(VALU_DEP_2) | instskip(NEXT) | instid1(VALU_DEP_2)
	v_fma_f64 v[8:9], v[4:5], v[62:63], -v[8:9]
	v_fmac_f64_e32 v[10:11], v[6:7], v[62:63]
	s_delay_alu instid0(VALU_DEP_2) | instskip(SKIP_1) | instid1(VALU_DEP_3)
	v_add_f64_e32 v[12:13], v[12:13], v[8:9]
	v_mul_f64_e32 v[8:9], v[6:7], v[68:69]
	v_add_f64_e32 v[14:15], v[10:11], v[14:15]
	s_delay_alu instid0(VALU_DEP_2) | instskip(SKIP_1) | instid1(VALU_DEP_2)
	v_fma_f64 v[8:9], v[4:5], v[66:67], -v[8:9]
	v_mul_f64_e32 v[4:5], v[4:5], v[68:69]
	v_add_f64_e32 v[8:9], v[70:71], v[8:9]
	s_delay_alu instid0(VALU_DEP_2) | instskip(NEXT) | instid1(VALU_DEP_1)
	v_fmac_f64_e32 v[4:5], v[6:7], v[66:67]
	v_add_f64_e32 v[10:11], v[4:5], v[72:73]
	ds_load_b128 v[4:7], v82 offset:144
	ds_load_b128 v[62:65], v83 offset:4608
	s_wait_dscnt 0x0
	v_mul_f64_e32 v[66:67], v[6:7], v[64:65]
	v_mul_f64_e32 v[68:69], v[4:5], v[64:65]
	s_delay_alu instid0(VALU_DEP_2) | instskip(NEXT) | instid1(VALU_DEP_2)
	v_fma_f64 v[66:67], v[4:5], v[62:63], -v[66:67]
	v_fmac_f64_e32 v[68:69], v[6:7], v[62:63]
	s_delay_alu instid0(VALU_DEP_2) | instskip(NEXT) | instid1(VALU_DEP_2)
	v_add_f64_e32 v[16:17], v[16:17], v[66:67]
	v_add_f64_e32 v[18:19], v[68:69], v[18:19]
	ds_load_b128 v[66:69], v83 offset:4864
	s_wait_dscnt 0x0
	v_mul_f64_e32 v[70:71], v[6:7], v[68:69]
	v_mul_f64_e32 v[72:73], v[4:5], v[68:69]
	s_delay_alu instid0(VALU_DEP_2) | instskip(NEXT) | instid1(VALU_DEP_2)
	v_fma_f64 v[70:71], v[4:5], v[66:67], -v[70:71]
	v_fmac_f64_e32 v[72:73], v[6:7], v[66:67]
	s_delay_alu instid0(VALU_DEP_2) | instskip(NEXT) | instid1(VALU_DEP_2)
	v_add_f64_e32 v[4:5], v[74:75], v[70:71]
	v_add_f64_e32 v[6:7], v[72:73], v[76:77]
	ds_load_b128 v[70:73], v82 offset:8336
	s_wait_dscnt 0x0
	v_mul_f64_e32 v[74:75], v[72:73], v[64:65]
	v_mul_f64_e32 v[64:65], v[70:71], v[64:65]
	s_delay_alu instid0(VALU_DEP_2) | instskip(NEXT) | instid1(VALU_DEP_2)
	v_fma_f64 v[74:75], v[70:71], v[62:63], -v[74:75]
	v_fmac_f64_e32 v[64:65], v[72:73], v[62:63]
	v_mul_f64_e32 v[62:63], v[72:73], v[68:69]
	s_delay_alu instid0(VALU_DEP_3) | instskip(NEXT) | instid1(VALU_DEP_3)
	v_add_f64_e32 v[12:13], v[12:13], v[74:75]
	v_add_f64_e32 v[14:15], v[64:65], v[14:15]
	v_mul_f64_e32 v[64:65], v[70:71], v[68:69]
	s_delay_alu instid0(VALU_DEP_4) | instskip(NEXT) | instid1(VALU_DEP_2)
	v_fma_f64 v[62:63], v[70:71], v[66:67], -v[62:63]
	v_fmac_f64_e32 v[64:65], v[72:73], v[66:67]
	s_delay_alu instid0(VALU_DEP_2) | instskip(NEXT) | instid1(VALU_DEP_2)
	v_add_f64_e32 v[70:71], v[8:9], v[62:63]
	v_add_f64_e32 v[72:73], v[64:65], v[10:11]
	ds_load_b128 v[8:11], v82 offset:160
	ds_load_b128 v[62:65], v83 offset:5120
	s_wait_dscnt 0x0
	v_mul_f64_e32 v[66:67], v[10:11], v[64:65]
	v_mul_f64_e32 v[68:69], v[8:9], v[64:65]
	s_delay_alu instid0(VALU_DEP_2) | instskip(NEXT) | instid1(VALU_DEP_2)
	v_fma_f64 v[66:67], v[8:9], v[62:63], -v[66:67]
	v_fmac_f64_e32 v[68:69], v[10:11], v[62:63]
	s_delay_alu instid0(VALU_DEP_2) | instskip(NEXT) | instid1(VALU_DEP_2)
	v_add_f64_e32 v[16:17], v[16:17], v[66:67]
	v_add_f64_e32 v[18:19], v[68:69], v[18:19]
	ds_load_b128 v[66:69], v83 offset:5376
	s_wait_dscnt 0x0
	v_mul_f64_e32 v[74:75], v[10:11], v[68:69]
	s_delay_alu instid0(VALU_DEP_1) | instskip(SKIP_1) | instid1(VALU_DEP_2)
	v_fma_f64 v[74:75], v[8:9], v[66:67], -v[74:75]
	v_mul_f64_e32 v[8:9], v[8:9], v[68:69]
	v_add_f64_e32 v[74:75], v[4:5], v[74:75]
	s_delay_alu instid0(VALU_DEP_2) | instskip(NEXT) | instid1(VALU_DEP_1)
	v_fmac_f64_e32 v[8:9], v[10:11], v[66:67]
	v_add_f64_e32 v[76:77], v[8:9], v[6:7]
	ds_load_b128 v[4:7], v82 offset:8352
	s_wait_dscnt 0x0
	v_mul_f64_e32 v[8:9], v[6:7], v[64:65]
	v_mul_f64_e32 v[10:11], v[4:5], v[64:65]
	s_delay_alu instid0(VALU_DEP_2) | instskip(NEXT) | instid1(VALU_DEP_2)
	v_fma_f64 v[8:9], v[4:5], v[62:63], -v[8:9]
	v_fmac_f64_e32 v[10:11], v[6:7], v[62:63]
	s_delay_alu instid0(VALU_DEP_2) | instskip(SKIP_1) | instid1(VALU_DEP_3)
	v_add_f64_e32 v[12:13], v[12:13], v[8:9]
	v_mul_f64_e32 v[8:9], v[6:7], v[68:69]
	v_add_f64_e32 v[14:15], v[10:11], v[14:15]
	s_delay_alu instid0(VALU_DEP_2) | instskip(SKIP_1) | instid1(VALU_DEP_2)
	v_fma_f64 v[8:9], v[4:5], v[66:67], -v[8:9]
	v_mul_f64_e32 v[4:5], v[4:5], v[68:69]
	v_add_f64_e32 v[8:9], v[70:71], v[8:9]
	s_delay_alu instid0(VALU_DEP_2) | instskip(NEXT) | instid1(VALU_DEP_1)
	v_fmac_f64_e32 v[4:5], v[6:7], v[66:67]
	v_add_f64_e32 v[10:11], v[4:5], v[72:73]
	ds_load_b128 v[4:7], v82 offset:176
	ds_load_b128 v[62:65], v83 offset:5632
	s_wait_dscnt 0x0
	v_mul_f64_e32 v[66:67], v[6:7], v[64:65]
	v_mul_f64_e32 v[68:69], v[4:5], v[64:65]
	s_delay_alu instid0(VALU_DEP_2) | instskip(NEXT) | instid1(VALU_DEP_2)
	v_fma_f64 v[66:67], v[4:5], v[62:63], -v[66:67]
	v_fmac_f64_e32 v[68:69], v[6:7], v[62:63]
	s_delay_alu instid0(VALU_DEP_2) | instskip(NEXT) | instid1(VALU_DEP_2)
	v_add_f64_e32 v[16:17], v[16:17], v[66:67]
	v_add_f64_e32 v[18:19], v[68:69], v[18:19]
	ds_load_b128 v[66:69], v83 offset:5888
	s_wait_dscnt 0x0
	v_mul_f64_e32 v[70:71], v[6:7], v[68:69]
	v_mul_f64_e32 v[72:73], v[4:5], v[68:69]
	s_delay_alu instid0(VALU_DEP_2) | instskip(NEXT) | instid1(VALU_DEP_2)
	v_fma_f64 v[70:71], v[4:5], v[66:67], -v[70:71]
	v_fmac_f64_e32 v[72:73], v[6:7], v[66:67]
	s_delay_alu instid0(VALU_DEP_2) | instskip(NEXT) | instid1(VALU_DEP_2)
	v_add_f64_e32 v[4:5], v[74:75], v[70:71]
	v_add_f64_e32 v[6:7], v[72:73], v[76:77]
	ds_load_b128 v[70:73], v82 offset:8368
	s_wait_dscnt 0x0
	v_mul_f64_e32 v[74:75], v[72:73], v[64:65]
	v_mul_f64_e32 v[64:65], v[70:71], v[64:65]
	s_delay_alu instid0(VALU_DEP_2) | instskip(NEXT) | instid1(VALU_DEP_2)
	v_fma_f64 v[74:75], v[70:71], v[62:63], -v[74:75]
	v_fmac_f64_e32 v[64:65], v[72:73], v[62:63]
	v_mul_f64_e32 v[62:63], v[72:73], v[68:69]
	s_delay_alu instid0(VALU_DEP_3) | instskip(NEXT) | instid1(VALU_DEP_3)
	v_add_f64_e32 v[12:13], v[12:13], v[74:75]
	v_add_f64_e32 v[14:15], v[64:65], v[14:15]
	v_mul_f64_e32 v[64:65], v[70:71], v[68:69]
	s_delay_alu instid0(VALU_DEP_4) | instskip(NEXT) | instid1(VALU_DEP_2)
	v_fma_f64 v[62:63], v[70:71], v[66:67], -v[62:63]
	v_fmac_f64_e32 v[64:65], v[72:73], v[66:67]
	s_delay_alu instid0(VALU_DEP_2) | instskip(NEXT) | instid1(VALU_DEP_2)
	v_add_f64_e32 v[70:71], v[8:9], v[62:63]
	v_add_f64_e32 v[72:73], v[64:65], v[10:11]
	ds_load_b128 v[8:11], v82 offset:192
	ds_load_b128 v[62:65], v83 offset:6144
	s_wait_dscnt 0x0
	v_mul_f64_e32 v[66:67], v[10:11], v[64:65]
	v_mul_f64_e32 v[68:69], v[8:9], v[64:65]
	s_delay_alu instid0(VALU_DEP_2) | instskip(NEXT) | instid1(VALU_DEP_2)
	v_fma_f64 v[66:67], v[8:9], v[62:63], -v[66:67]
	v_fmac_f64_e32 v[68:69], v[10:11], v[62:63]
	s_delay_alu instid0(VALU_DEP_2) | instskip(NEXT) | instid1(VALU_DEP_2)
	v_add_f64_e32 v[16:17], v[16:17], v[66:67]
	v_add_f64_e32 v[18:19], v[68:69], v[18:19]
	ds_load_b128 v[66:69], v83 offset:6400
	s_wait_dscnt 0x0
	v_mul_f64_e32 v[74:75], v[10:11], v[68:69]
	s_delay_alu instid0(VALU_DEP_1) | instskip(SKIP_1) | instid1(VALU_DEP_2)
	v_fma_f64 v[74:75], v[8:9], v[66:67], -v[74:75]
	v_mul_f64_e32 v[8:9], v[8:9], v[68:69]
	v_add_f64_e32 v[74:75], v[4:5], v[74:75]
	s_delay_alu instid0(VALU_DEP_2) | instskip(NEXT) | instid1(VALU_DEP_1)
	v_fmac_f64_e32 v[8:9], v[10:11], v[66:67]
	v_add_f64_e32 v[76:77], v[8:9], v[6:7]
	ds_load_b128 v[4:7], v82 offset:8384
	s_wait_dscnt 0x0
	v_mul_f64_e32 v[8:9], v[6:7], v[64:65]
	v_mul_f64_e32 v[10:11], v[4:5], v[64:65]
	s_delay_alu instid0(VALU_DEP_2) | instskip(NEXT) | instid1(VALU_DEP_2)
	v_fma_f64 v[8:9], v[4:5], v[62:63], -v[8:9]
	v_fmac_f64_e32 v[10:11], v[6:7], v[62:63]
	s_delay_alu instid0(VALU_DEP_2) | instskip(SKIP_1) | instid1(VALU_DEP_3)
	v_add_f64_e32 v[12:13], v[12:13], v[8:9]
	v_mul_f64_e32 v[8:9], v[6:7], v[68:69]
	v_add_f64_e32 v[14:15], v[10:11], v[14:15]
	s_delay_alu instid0(VALU_DEP_2) | instskip(SKIP_1) | instid1(VALU_DEP_2)
	v_fma_f64 v[8:9], v[4:5], v[66:67], -v[8:9]
	v_mul_f64_e32 v[4:5], v[4:5], v[68:69]
	v_add_f64_e32 v[8:9], v[70:71], v[8:9]
	s_delay_alu instid0(VALU_DEP_2) | instskip(NEXT) | instid1(VALU_DEP_1)
	v_fmac_f64_e32 v[4:5], v[6:7], v[66:67]
	v_add_f64_e32 v[10:11], v[4:5], v[72:73]
	ds_load_b128 v[4:7], v82 offset:208
	ds_load_b128 v[62:65], v83 offset:6656
	s_wait_dscnt 0x0
	v_mul_f64_e32 v[66:67], v[6:7], v[64:65]
	v_mul_f64_e32 v[68:69], v[4:5], v[64:65]
	s_delay_alu instid0(VALU_DEP_2) | instskip(NEXT) | instid1(VALU_DEP_2)
	v_fma_f64 v[66:67], v[4:5], v[62:63], -v[66:67]
	v_fmac_f64_e32 v[68:69], v[6:7], v[62:63]
	s_delay_alu instid0(VALU_DEP_2) | instskip(NEXT) | instid1(VALU_DEP_2)
	v_add_f64_e32 v[16:17], v[16:17], v[66:67]
	v_add_f64_e32 v[18:19], v[68:69], v[18:19]
	ds_load_b128 v[66:69], v83 offset:6912
	s_wait_dscnt 0x0
	v_mul_f64_e32 v[70:71], v[6:7], v[68:69]
	v_mul_f64_e32 v[72:73], v[4:5], v[68:69]
	s_delay_alu instid0(VALU_DEP_2) | instskip(NEXT) | instid1(VALU_DEP_2)
	v_fma_f64 v[70:71], v[4:5], v[66:67], -v[70:71]
	v_fmac_f64_e32 v[72:73], v[6:7], v[66:67]
	s_delay_alu instid0(VALU_DEP_2) | instskip(NEXT) | instid1(VALU_DEP_2)
	v_add_f64_e32 v[4:5], v[74:75], v[70:71]
	v_add_f64_e32 v[6:7], v[72:73], v[76:77]
	ds_load_b128 v[70:73], v82 offset:8400
	s_wait_dscnt 0x0
	v_mul_f64_e32 v[74:75], v[72:73], v[64:65]
	v_mul_f64_e32 v[64:65], v[70:71], v[64:65]
	s_delay_alu instid0(VALU_DEP_2) | instskip(NEXT) | instid1(VALU_DEP_2)
	v_fma_f64 v[74:75], v[70:71], v[62:63], -v[74:75]
	v_fmac_f64_e32 v[64:65], v[72:73], v[62:63]
	v_mul_f64_e32 v[62:63], v[72:73], v[68:69]
	s_delay_alu instid0(VALU_DEP_3) | instskip(NEXT) | instid1(VALU_DEP_3)
	v_add_f64_e32 v[12:13], v[12:13], v[74:75]
	v_add_f64_e32 v[14:15], v[64:65], v[14:15]
	v_mul_f64_e32 v[64:65], v[70:71], v[68:69]
	s_delay_alu instid0(VALU_DEP_4) | instskip(NEXT) | instid1(VALU_DEP_2)
	v_fma_f64 v[62:63], v[70:71], v[66:67], -v[62:63]
	v_fmac_f64_e32 v[64:65], v[72:73], v[66:67]
	s_delay_alu instid0(VALU_DEP_2) | instskip(NEXT) | instid1(VALU_DEP_2)
	v_add_f64_e32 v[70:71], v[8:9], v[62:63]
	v_add_f64_e32 v[72:73], v[64:65], v[10:11]
	ds_load_b128 v[8:11], v82 offset:224
	ds_load_b128 v[62:65], v83 offset:7168
	s_wait_dscnt 0x0
	v_mul_f64_e32 v[66:67], v[10:11], v[64:65]
	v_mul_f64_e32 v[68:69], v[8:9], v[64:65]
	s_delay_alu instid0(VALU_DEP_2) | instskip(NEXT) | instid1(VALU_DEP_2)
	v_fma_f64 v[66:67], v[8:9], v[62:63], -v[66:67]
	v_fmac_f64_e32 v[68:69], v[10:11], v[62:63]
	s_delay_alu instid0(VALU_DEP_2) | instskip(NEXT) | instid1(VALU_DEP_2)
	v_add_f64_e32 v[16:17], v[16:17], v[66:67]
	v_add_f64_e32 v[18:19], v[68:69], v[18:19]
	ds_load_b128 v[66:69], v83 offset:7424
	s_wait_dscnt 0x0
	v_mul_f64_e32 v[74:75], v[10:11], v[68:69]
	s_delay_alu instid0(VALU_DEP_1) | instskip(SKIP_1) | instid1(VALU_DEP_2)
	v_fma_f64 v[74:75], v[8:9], v[66:67], -v[74:75]
	v_mul_f64_e32 v[8:9], v[8:9], v[68:69]
	v_add_f64_e32 v[74:75], v[4:5], v[74:75]
	s_delay_alu instid0(VALU_DEP_2) | instskip(NEXT) | instid1(VALU_DEP_1)
	v_fmac_f64_e32 v[8:9], v[10:11], v[66:67]
	v_add_f64_e32 v[76:77], v[8:9], v[6:7]
	ds_load_b128 v[4:7], v82 offset:8416
	s_wait_dscnt 0x0
	v_mul_f64_e32 v[8:9], v[6:7], v[64:65]
	v_mul_f64_e32 v[10:11], v[4:5], v[64:65]
	s_delay_alu instid0(VALU_DEP_2) | instskip(NEXT) | instid1(VALU_DEP_2)
	v_fma_f64 v[8:9], v[4:5], v[62:63], -v[8:9]
	v_fmac_f64_e32 v[10:11], v[6:7], v[62:63]
	s_delay_alu instid0(VALU_DEP_2) | instskip(SKIP_1) | instid1(VALU_DEP_3)
	v_add_f64_e32 v[12:13], v[12:13], v[8:9]
	v_mul_f64_e32 v[8:9], v[6:7], v[68:69]
	v_add_f64_e32 v[14:15], v[10:11], v[14:15]
	s_delay_alu instid0(VALU_DEP_2) | instskip(SKIP_1) | instid1(VALU_DEP_2)
	v_fma_f64 v[8:9], v[4:5], v[66:67], -v[8:9]
	v_mul_f64_e32 v[4:5], v[4:5], v[68:69]
	v_add_f64_e32 v[8:9], v[70:71], v[8:9]
	s_delay_alu instid0(VALU_DEP_2) | instskip(NEXT) | instid1(VALU_DEP_1)
	v_fmac_f64_e32 v[4:5], v[6:7], v[66:67]
	v_add_f64_e32 v[10:11], v[4:5], v[72:73]
	ds_load_b128 v[4:7], v82 offset:240
	ds_load_b128 v[62:65], v83 offset:7680
	s_wait_dscnt 0x0
	v_mul_f64_e32 v[66:67], v[6:7], v[64:65]
	v_mul_f64_e32 v[68:69], v[4:5], v[64:65]
	s_delay_alu instid0(VALU_DEP_2) | instskip(NEXT) | instid1(VALU_DEP_2)
	v_fma_f64 v[66:67], v[4:5], v[62:63], -v[66:67]
	v_fmac_f64_e32 v[68:69], v[6:7], v[62:63]
	s_delay_alu instid0(VALU_DEP_2) | instskip(NEXT) | instid1(VALU_DEP_2)
	v_add_f64_e32 v[16:17], v[16:17], v[66:67]
	v_add_f64_e32 v[18:19], v[68:69], v[18:19]
	ds_load_b128 v[66:69], v83 offset:7936
	s_wait_dscnt 0x0
	v_mul_f64_e32 v[70:71], v[6:7], v[68:69]
	v_mul_f64_e32 v[72:73], v[4:5], v[68:69]
	s_delay_alu instid0(VALU_DEP_2) | instskip(NEXT) | instid1(VALU_DEP_2)
	v_fma_f64 v[70:71], v[4:5], v[66:67], -v[70:71]
	v_fmac_f64_e32 v[72:73], v[6:7], v[66:67]
	s_delay_alu instid0(VALU_DEP_2) | instskip(NEXT) | instid1(VALU_DEP_2)
	v_add_f64_e32 v[4:5], v[74:75], v[70:71]
	v_add_f64_e32 v[6:7], v[72:73], v[76:77]
	ds_load_b128 v[70:73], v82 offset:8432
	s_wait_dscnt 0x0
	v_mul_f64_e32 v[74:75], v[72:73], v[64:65]
	v_mul_f64_e32 v[64:65], v[70:71], v[64:65]
	s_delay_alu instid0(VALU_DEP_2) | instskip(NEXT) | instid1(VALU_DEP_2)
	v_fma_f64 v[74:75], v[70:71], v[62:63], -v[74:75]
	v_fmac_f64_e32 v[64:65], v[72:73], v[62:63]
	v_mul_f64_e32 v[62:63], v[72:73], v[68:69]
	s_delay_alu instid0(VALU_DEP_3) | instskip(NEXT) | instid1(VALU_DEP_3)
	v_add_f64_e32 v[12:13], v[12:13], v[74:75]
	v_add_f64_e32 v[14:15], v[64:65], v[14:15]
	v_mul_f64_e32 v[64:65], v[70:71], v[68:69]
	s_delay_alu instid0(VALU_DEP_4) | instskip(NEXT) | instid1(VALU_DEP_2)
	v_fma_f64 v[62:63], v[70:71], v[66:67], -v[62:63]
	v_fmac_f64_e32 v[64:65], v[72:73], v[66:67]
	s_delay_alu instid0(VALU_DEP_2) | instskip(NEXT) | instid1(VALU_DEP_2)
	v_add_f64_e32 v[70:71], v[8:9], v[62:63]
	v_add_f64_e32 v[72:73], v[64:65], v[10:11]
	ds_load_b128 v[8:11], v82 offset:256
	ds_load_b128 v[62:65], v83 offset:8192
	s_wait_dscnt 0x0
	v_mul_f64_e32 v[66:67], v[10:11], v[64:65]
	v_mul_f64_e32 v[68:69], v[8:9], v[64:65]
	s_delay_alu instid0(VALU_DEP_2) | instskip(NEXT) | instid1(VALU_DEP_2)
	v_fma_f64 v[66:67], v[8:9], v[62:63], -v[66:67]
	v_fmac_f64_e32 v[68:69], v[10:11], v[62:63]
	s_delay_alu instid0(VALU_DEP_2) | instskip(NEXT) | instid1(VALU_DEP_2)
	v_add_f64_e32 v[16:17], v[16:17], v[66:67]
	v_add_f64_e32 v[18:19], v[68:69], v[18:19]
	ds_load_b128 v[66:69], v83 offset:8448
	s_wait_dscnt 0x0
	v_mul_f64_e32 v[74:75], v[10:11], v[68:69]
	s_delay_alu instid0(VALU_DEP_1) | instskip(SKIP_1) | instid1(VALU_DEP_2)
	v_fma_f64 v[74:75], v[8:9], v[66:67], -v[74:75]
	v_mul_f64_e32 v[8:9], v[8:9], v[68:69]
	v_add_f64_e32 v[74:75], v[4:5], v[74:75]
	s_delay_alu instid0(VALU_DEP_2) | instskip(NEXT) | instid1(VALU_DEP_1)
	v_fmac_f64_e32 v[8:9], v[10:11], v[66:67]
	v_add_f64_e32 v[76:77], v[8:9], v[6:7]
	ds_load_b128 v[4:7], v82 offset:8448
	s_wait_dscnt 0x0
	v_mul_f64_e32 v[8:9], v[6:7], v[64:65]
	v_mul_f64_e32 v[10:11], v[4:5], v[64:65]
	s_delay_alu instid0(VALU_DEP_2) | instskip(NEXT) | instid1(VALU_DEP_2)
	v_fma_f64 v[8:9], v[4:5], v[62:63], -v[8:9]
	v_fmac_f64_e32 v[10:11], v[6:7], v[62:63]
	s_delay_alu instid0(VALU_DEP_2) | instskip(SKIP_1) | instid1(VALU_DEP_3)
	v_add_f64_e32 v[12:13], v[12:13], v[8:9]
	v_mul_f64_e32 v[8:9], v[6:7], v[68:69]
	v_add_f64_e32 v[14:15], v[10:11], v[14:15]
	s_delay_alu instid0(VALU_DEP_2) | instskip(SKIP_1) | instid1(VALU_DEP_2)
	v_fma_f64 v[8:9], v[4:5], v[66:67], -v[8:9]
	v_mul_f64_e32 v[4:5], v[4:5], v[68:69]
	v_add_f64_e32 v[8:9], v[70:71], v[8:9]
	s_delay_alu instid0(VALU_DEP_2) | instskip(NEXT) | instid1(VALU_DEP_1)
	v_fmac_f64_e32 v[4:5], v[6:7], v[66:67]
	v_add_f64_e32 v[10:11], v[4:5], v[72:73]
	ds_load_b128 v[4:7], v82 offset:272
	ds_load_b128 v[62:65], v83 offset:8704
	s_wait_dscnt 0x0
	v_mul_f64_e32 v[66:67], v[6:7], v[64:65]
	v_mul_f64_e32 v[68:69], v[4:5], v[64:65]
	s_delay_alu instid0(VALU_DEP_2) | instskip(NEXT) | instid1(VALU_DEP_2)
	v_fma_f64 v[66:67], v[4:5], v[62:63], -v[66:67]
	v_fmac_f64_e32 v[68:69], v[6:7], v[62:63]
	s_delay_alu instid0(VALU_DEP_2) | instskip(NEXT) | instid1(VALU_DEP_2)
	v_add_f64_e32 v[16:17], v[16:17], v[66:67]
	v_add_f64_e32 v[18:19], v[68:69], v[18:19]
	ds_load_b128 v[66:69], v83 offset:8960
	s_wait_dscnt 0x0
	v_mul_f64_e32 v[70:71], v[6:7], v[68:69]
	v_mul_f64_e32 v[72:73], v[4:5], v[68:69]
	s_delay_alu instid0(VALU_DEP_2) | instskip(NEXT) | instid1(VALU_DEP_2)
	v_fma_f64 v[70:71], v[4:5], v[66:67], -v[70:71]
	v_fmac_f64_e32 v[72:73], v[6:7], v[66:67]
	s_delay_alu instid0(VALU_DEP_2) | instskip(NEXT) | instid1(VALU_DEP_2)
	v_add_f64_e32 v[4:5], v[74:75], v[70:71]
	v_add_f64_e32 v[6:7], v[72:73], v[76:77]
	ds_load_b128 v[70:73], v82 offset:8464
	s_wait_dscnt 0x0
	v_mul_f64_e32 v[74:75], v[72:73], v[64:65]
	v_mul_f64_e32 v[64:65], v[70:71], v[64:65]
	s_delay_alu instid0(VALU_DEP_2) | instskip(NEXT) | instid1(VALU_DEP_2)
	v_fma_f64 v[74:75], v[70:71], v[62:63], -v[74:75]
	v_fmac_f64_e32 v[64:65], v[72:73], v[62:63]
	v_mul_f64_e32 v[62:63], v[72:73], v[68:69]
	s_delay_alu instid0(VALU_DEP_3) | instskip(NEXT) | instid1(VALU_DEP_3)
	v_add_f64_e32 v[12:13], v[12:13], v[74:75]
	v_add_f64_e32 v[14:15], v[64:65], v[14:15]
	v_mul_f64_e32 v[64:65], v[70:71], v[68:69]
	s_delay_alu instid0(VALU_DEP_4) | instskip(NEXT) | instid1(VALU_DEP_2)
	v_fma_f64 v[62:63], v[70:71], v[66:67], -v[62:63]
	v_fmac_f64_e32 v[64:65], v[72:73], v[66:67]
	s_delay_alu instid0(VALU_DEP_2) | instskip(NEXT) | instid1(VALU_DEP_2)
	v_add_f64_e32 v[70:71], v[8:9], v[62:63]
	v_add_f64_e32 v[72:73], v[64:65], v[10:11]
	ds_load_b128 v[8:11], v82 offset:288
	ds_load_b128 v[62:65], v83 offset:9216
	s_wait_dscnt 0x0
	v_mul_f64_e32 v[66:67], v[10:11], v[64:65]
	v_mul_f64_e32 v[68:69], v[8:9], v[64:65]
	s_delay_alu instid0(VALU_DEP_2) | instskip(NEXT) | instid1(VALU_DEP_2)
	v_fma_f64 v[66:67], v[8:9], v[62:63], -v[66:67]
	v_fmac_f64_e32 v[68:69], v[10:11], v[62:63]
	s_delay_alu instid0(VALU_DEP_2) | instskip(NEXT) | instid1(VALU_DEP_2)
	v_add_f64_e32 v[16:17], v[16:17], v[66:67]
	v_add_f64_e32 v[18:19], v[68:69], v[18:19]
	ds_load_b128 v[66:69], v83 offset:9472
	s_wait_dscnt 0x0
	v_mul_f64_e32 v[74:75], v[10:11], v[68:69]
	s_delay_alu instid0(VALU_DEP_1) | instskip(SKIP_1) | instid1(VALU_DEP_2)
	v_fma_f64 v[74:75], v[8:9], v[66:67], -v[74:75]
	v_mul_f64_e32 v[8:9], v[8:9], v[68:69]
	v_add_f64_e32 v[74:75], v[4:5], v[74:75]
	s_delay_alu instid0(VALU_DEP_2) | instskip(NEXT) | instid1(VALU_DEP_1)
	v_fmac_f64_e32 v[8:9], v[10:11], v[66:67]
	v_add_f64_e32 v[76:77], v[8:9], v[6:7]
	ds_load_b128 v[4:7], v82 offset:8480
	s_wait_dscnt 0x0
	v_mul_f64_e32 v[8:9], v[6:7], v[64:65]
	v_mul_f64_e32 v[10:11], v[4:5], v[64:65]
	s_delay_alu instid0(VALU_DEP_2) | instskip(NEXT) | instid1(VALU_DEP_2)
	v_fma_f64 v[8:9], v[4:5], v[62:63], -v[8:9]
	v_fmac_f64_e32 v[10:11], v[6:7], v[62:63]
	s_delay_alu instid0(VALU_DEP_2) | instskip(SKIP_1) | instid1(VALU_DEP_3)
	v_add_f64_e32 v[12:13], v[12:13], v[8:9]
	v_mul_f64_e32 v[8:9], v[6:7], v[68:69]
	v_add_f64_e32 v[14:15], v[10:11], v[14:15]
	s_delay_alu instid0(VALU_DEP_2) | instskip(SKIP_1) | instid1(VALU_DEP_2)
	v_fma_f64 v[8:9], v[4:5], v[66:67], -v[8:9]
	v_mul_f64_e32 v[4:5], v[4:5], v[68:69]
	v_add_f64_e32 v[8:9], v[70:71], v[8:9]
	s_delay_alu instid0(VALU_DEP_2) | instskip(NEXT) | instid1(VALU_DEP_1)
	v_fmac_f64_e32 v[4:5], v[6:7], v[66:67]
	v_add_f64_e32 v[10:11], v[4:5], v[72:73]
	ds_load_b128 v[4:7], v82 offset:304
	ds_load_b128 v[62:65], v83 offset:9728
	s_wait_dscnt 0x0
	v_mul_f64_e32 v[66:67], v[6:7], v[64:65]
	v_mul_f64_e32 v[68:69], v[4:5], v[64:65]
	s_delay_alu instid0(VALU_DEP_2) | instskip(NEXT) | instid1(VALU_DEP_2)
	v_fma_f64 v[66:67], v[4:5], v[62:63], -v[66:67]
	v_fmac_f64_e32 v[68:69], v[6:7], v[62:63]
	s_delay_alu instid0(VALU_DEP_2) | instskip(NEXT) | instid1(VALU_DEP_2)
	v_add_f64_e32 v[16:17], v[16:17], v[66:67]
	v_add_f64_e32 v[18:19], v[68:69], v[18:19]
	ds_load_b128 v[66:69], v83 offset:9984
	s_wait_dscnt 0x0
	v_mul_f64_e32 v[70:71], v[6:7], v[68:69]
	v_mul_f64_e32 v[72:73], v[4:5], v[68:69]
	s_delay_alu instid0(VALU_DEP_2) | instskip(NEXT) | instid1(VALU_DEP_2)
	v_fma_f64 v[70:71], v[4:5], v[66:67], -v[70:71]
	v_fmac_f64_e32 v[72:73], v[6:7], v[66:67]
	s_delay_alu instid0(VALU_DEP_2) | instskip(NEXT) | instid1(VALU_DEP_2)
	v_add_f64_e32 v[4:5], v[74:75], v[70:71]
	v_add_f64_e32 v[6:7], v[72:73], v[76:77]
	ds_load_b128 v[70:73], v82 offset:8496
	s_wait_dscnt 0x0
	v_mul_f64_e32 v[74:75], v[72:73], v[64:65]
	v_mul_f64_e32 v[64:65], v[70:71], v[64:65]
	s_delay_alu instid0(VALU_DEP_2) | instskip(NEXT) | instid1(VALU_DEP_2)
	v_fma_f64 v[74:75], v[70:71], v[62:63], -v[74:75]
	v_fmac_f64_e32 v[64:65], v[72:73], v[62:63]
	v_mul_f64_e32 v[62:63], v[72:73], v[68:69]
	s_delay_alu instid0(VALU_DEP_3) | instskip(NEXT) | instid1(VALU_DEP_3)
	v_add_f64_e32 v[12:13], v[12:13], v[74:75]
	v_add_f64_e32 v[14:15], v[64:65], v[14:15]
	v_mul_f64_e32 v[64:65], v[70:71], v[68:69]
	s_delay_alu instid0(VALU_DEP_4) | instskip(NEXT) | instid1(VALU_DEP_2)
	v_fma_f64 v[62:63], v[70:71], v[66:67], -v[62:63]
	v_fmac_f64_e32 v[64:65], v[72:73], v[66:67]
	s_delay_alu instid0(VALU_DEP_2) | instskip(NEXT) | instid1(VALU_DEP_2)
	v_add_f64_e32 v[70:71], v[8:9], v[62:63]
	v_add_f64_e32 v[72:73], v[64:65], v[10:11]
	ds_load_b128 v[8:11], v82 offset:320
	ds_load_b128 v[62:65], v83 offset:10240
	s_wait_dscnt 0x0
	v_mul_f64_e32 v[66:67], v[10:11], v[64:65]
	v_mul_f64_e32 v[68:69], v[8:9], v[64:65]
	s_delay_alu instid0(VALU_DEP_2) | instskip(NEXT) | instid1(VALU_DEP_2)
	v_fma_f64 v[66:67], v[8:9], v[62:63], -v[66:67]
	v_fmac_f64_e32 v[68:69], v[10:11], v[62:63]
	s_delay_alu instid0(VALU_DEP_2) | instskip(NEXT) | instid1(VALU_DEP_2)
	v_add_f64_e32 v[16:17], v[16:17], v[66:67]
	v_add_f64_e32 v[18:19], v[68:69], v[18:19]
	ds_load_b128 v[66:69], v83 offset:10496
	s_wait_dscnt 0x0
	v_mul_f64_e32 v[74:75], v[10:11], v[68:69]
	s_delay_alu instid0(VALU_DEP_1) | instskip(SKIP_1) | instid1(VALU_DEP_2)
	v_fma_f64 v[74:75], v[8:9], v[66:67], -v[74:75]
	v_mul_f64_e32 v[8:9], v[8:9], v[68:69]
	v_add_f64_e32 v[74:75], v[4:5], v[74:75]
	s_delay_alu instid0(VALU_DEP_2) | instskip(NEXT) | instid1(VALU_DEP_1)
	v_fmac_f64_e32 v[8:9], v[10:11], v[66:67]
	v_add_f64_e32 v[76:77], v[8:9], v[6:7]
	ds_load_b128 v[4:7], v82 offset:8512
	s_wait_dscnt 0x0
	v_mul_f64_e32 v[8:9], v[6:7], v[64:65]
	v_mul_f64_e32 v[10:11], v[4:5], v[64:65]
	s_delay_alu instid0(VALU_DEP_2) | instskip(NEXT) | instid1(VALU_DEP_2)
	v_fma_f64 v[8:9], v[4:5], v[62:63], -v[8:9]
	v_fmac_f64_e32 v[10:11], v[6:7], v[62:63]
	s_delay_alu instid0(VALU_DEP_2) | instskip(SKIP_1) | instid1(VALU_DEP_3)
	v_add_f64_e32 v[12:13], v[12:13], v[8:9]
	v_mul_f64_e32 v[8:9], v[6:7], v[68:69]
	v_add_f64_e32 v[14:15], v[10:11], v[14:15]
	s_delay_alu instid0(VALU_DEP_2) | instskip(SKIP_1) | instid1(VALU_DEP_2)
	v_fma_f64 v[8:9], v[4:5], v[66:67], -v[8:9]
	v_mul_f64_e32 v[4:5], v[4:5], v[68:69]
	v_add_f64_e32 v[8:9], v[70:71], v[8:9]
	s_delay_alu instid0(VALU_DEP_2) | instskip(NEXT) | instid1(VALU_DEP_1)
	v_fmac_f64_e32 v[4:5], v[6:7], v[66:67]
	v_add_f64_e32 v[10:11], v[4:5], v[72:73]
	ds_load_b128 v[4:7], v82 offset:336
	ds_load_b128 v[62:65], v83 offset:10752
	s_wait_dscnt 0x0
	v_mul_f64_e32 v[66:67], v[6:7], v[64:65]
	v_mul_f64_e32 v[68:69], v[4:5], v[64:65]
	s_delay_alu instid0(VALU_DEP_2) | instskip(NEXT) | instid1(VALU_DEP_2)
	v_fma_f64 v[66:67], v[4:5], v[62:63], -v[66:67]
	v_fmac_f64_e32 v[68:69], v[6:7], v[62:63]
	s_delay_alu instid0(VALU_DEP_2) | instskip(NEXT) | instid1(VALU_DEP_2)
	v_add_f64_e32 v[16:17], v[16:17], v[66:67]
	v_add_f64_e32 v[18:19], v[68:69], v[18:19]
	ds_load_b128 v[66:69], v83 offset:11008
	s_wait_dscnt 0x0
	v_mul_f64_e32 v[70:71], v[6:7], v[68:69]
	v_mul_f64_e32 v[72:73], v[4:5], v[68:69]
	s_delay_alu instid0(VALU_DEP_2) | instskip(NEXT) | instid1(VALU_DEP_2)
	v_fma_f64 v[70:71], v[4:5], v[66:67], -v[70:71]
	v_fmac_f64_e32 v[72:73], v[6:7], v[66:67]
	s_delay_alu instid0(VALU_DEP_2) | instskip(NEXT) | instid1(VALU_DEP_2)
	v_add_f64_e32 v[4:5], v[74:75], v[70:71]
	v_add_f64_e32 v[6:7], v[72:73], v[76:77]
	ds_load_b128 v[70:73], v82 offset:8528
	s_wait_dscnt 0x0
	v_mul_f64_e32 v[74:75], v[72:73], v[64:65]
	v_mul_f64_e32 v[64:65], v[70:71], v[64:65]
	s_delay_alu instid0(VALU_DEP_2) | instskip(NEXT) | instid1(VALU_DEP_2)
	v_fma_f64 v[74:75], v[70:71], v[62:63], -v[74:75]
	v_fmac_f64_e32 v[64:65], v[72:73], v[62:63]
	v_mul_f64_e32 v[62:63], v[72:73], v[68:69]
	s_delay_alu instid0(VALU_DEP_3) | instskip(NEXT) | instid1(VALU_DEP_3)
	v_add_f64_e32 v[12:13], v[12:13], v[74:75]
	v_add_f64_e32 v[14:15], v[64:65], v[14:15]
	v_mul_f64_e32 v[64:65], v[70:71], v[68:69]
	s_delay_alu instid0(VALU_DEP_4) | instskip(NEXT) | instid1(VALU_DEP_2)
	v_fma_f64 v[62:63], v[70:71], v[66:67], -v[62:63]
	v_fmac_f64_e32 v[64:65], v[72:73], v[66:67]
	s_delay_alu instid0(VALU_DEP_2) | instskip(NEXT) | instid1(VALU_DEP_2)
	v_add_f64_e32 v[70:71], v[8:9], v[62:63]
	v_add_f64_e32 v[72:73], v[64:65], v[10:11]
	ds_load_b128 v[8:11], v82 offset:352
	ds_load_b128 v[62:65], v83 offset:11264
	s_wait_dscnt 0x0
	v_mul_f64_e32 v[66:67], v[10:11], v[64:65]
	v_mul_f64_e32 v[68:69], v[8:9], v[64:65]
	s_delay_alu instid0(VALU_DEP_2) | instskip(NEXT) | instid1(VALU_DEP_2)
	v_fma_f64 v[66:67], v[8:9], v[62:63], -v[66:67]
	v_fmac_f64_e32 v[68:69], v[10:11], v[62:63]
	s_delay_alu instid0(VALU_DEP_2) | instskip(NEXT) | instid1(VALU_DEP_2)
	v_add_f64_e32 v[16:17], v[16:17], v[66:67]
	v_add_f64_e32 v[18:19], v[68:69], v[18:19]
	ds_load_b128 v[66:69], v83 offset:11520
	s_wait_dscnt 0x0
	v_mul_f64_e32 v[74:75], v[10:11], v[68:69]
	s_delay_alu instid0(VALU_DEP_1) | instskip(SKIP_1) | instid1(VALU_DEP_2)
	v_fma_f64 v[74:75], v[8:9], v[66:67], -v[74:75]
	v_mul_f64_e32 v[8:9], v[8:9], v[68:69]
	v_add_f64_e32 v[74:75], v[4:5], v[74:75]
	s_delay_alu instid0(VALU_DEP_2) | instskip(NEXT) | instid1(VALU_DEP_1)
	v_fmac_f64_e32 v[8:9], v[10:11], v[66:67]
	v_add_f64_e32 v[76:77], v[8:9], v[6:7]
	ds_load_b128 v[4:7], v82 offset:8544
	s_wait_dscnt 0x0
	v_mul_f64_e32 v[8:9], v[6:7], v[64:65]
	v_mul_f64_e32 v[10:11], v[4:5], v[64:65]
	s_delay_alu instid0(VALU_DEP_2) | instskip(NEXT) | instid1(VALU_DEP_2)
	v_fma_f64 v[8:9], v[4:5], v[62:63], -v[8:9]
	v_fmac_f64_e32 v[10:11], v[6:7], v[62:63]
	s_delay_alu instid0(VALU_DEP_2) | instskip(SKIP_1) | instid1(VALU_DEP_3)
	v_add_f64_e32 v[12:13], v[12:13], v[8:9]
	v_mul_f64_e32 v[8:9], v[6:7], v[68:69]
	v_add_f64_e32 v[14:15], v[10:11], v[14:15]
	s_delay_alu instid0(VALU_DEP_2) | instskip(SKIP_1) | instid1(VALU_DEP_2)
	v_fma_f64 v[8:9], v[4:5], v[66:67], -v[8:9]
	v_mul_f64_e32 v[4:5], v[4:5], v[68:69]
	v_add_f64_e32 v[8:9], v[70:71], v[8:9]
	s_delay_alu instid0(VALU_DEP_2) | instskip(NEXT) | instid1(VALU_DEP_1)
	v_fmac_f64_e32 v[4:5], v[6:7], v[66:67]
	v_add_f64_e32 v[10:11], v[4:5], v[72:73]
	ds_load_b128 v[4:7], v82 offset:368
	ds_load_b128 v[62:65], v83 offset:11776
	s_wait_dscnt 0x0
	v_mul_f64_e32 v[66:67], v[6:7], v[64:65]
	v_mul_f64_e32 v[68:69], v[4:5], v[64:65]
	s_delay_alu instid0(VALU_DEP_2) | instskip(NEXT) | instid1(VALU_DEP_2)
	v_fma_f64 v[66:67], v[4:5], v[62:63], -v[66:67]
	v_fmac_f64_e32 v[68:69], v[6:7], v[62:63]
	s_delay_alu instid0(VALU_DEP_2) | instskip(NEXT) | instid1(VALU_DEP_2)
	v_add_f64_e32 v[16:17], v[16:17], v[66:67]
	v_add_f64_e32 v[18:19], v[68:69], v[18:19]
	ds_load_b128 v[66:69], v83 offset:12032
	s_wait_dscnt 0x0
	v_mul_f64_e32 v[70:71], v[6:7], v[68:69]
	v_mul_f64_e32 v[72:73], v[4:5], v[68:69]
	s_delay_alu instid0(VALU_DEP_2) | instskip(NEXT) | instid1(VALU_DEP_2)
	v_fma_f64 v[70:71], v[4:5], v[66:67], -v[70:71]
	v_fmac_f64_e32 v[72:73], v[6:7], v[66:67]
	s_delay_alu instid0(VALU_DEP_2) | instskip(NEXT) | instid1(VALU_DEP_2)
	v_add_f64_e32 v[4:5], v[74:75], v[70:71]
	v_add_f64_e32 v[6:7], v[72:73], v[76:77]
	ds_load_b128 v[70:73], v82 offset:8560
	s_wait_dscnt 0x0
	v_mul_f64_e32 v[74:75], v[72:73], v[64:65]
	v_mul_f64_e32 v[64:65], v[70:71], v[64:65]
	s_delay_alu instid0(VALU_DEP_2) | instskip(NEXT) | instid1(VALU_DEP_2)
	v_fma_f64 v[74:75], v[70:71], v[62:63], -v[74:75]
	v_fmac_f64_e32 v[64:65], v[72:73], v[62:63]
	v_mul_f64_e32 v[62:63], v[72:73], v[68:69]
	s_delay_alu instid0(VALU_DEP_3) | instskip(NEXT) | instid1(VALU_DEP_3)
	v_add_f64_e32 v[12:13], v[12:13], v[74:75]
	v_add_f64_e32 v[14:15], v[64:65], v[14:15]
	v_mul_f64_e32 v[64:65], v[70:71], v[68:69]
	s_delay_alu instid0(VALU_DEP_4) | instskip(NEXT) | instid1(VALU_DEP_2)
	v_fma_f64 v[62:63], v[70:71], v[66:67], -v[62:63]
	v_fmac_f64_e32 v[64:65], v[72:73], v[66:67]
	s_delay_alu instid0(VALU_DEP_2) | instskip(NEXT) | instid1(VALU_DEP_2)
	v_add_f64_e32 v[70:71], v[8:9], v[62:63]
	v_add_f64_e32 v[72:73], v[64:65], v[10:11]
	ds_load_b128 v[62:65], v82 offset:384
	ds_load_b128 v[66:69], v83 offset:12288
	s_wait_dscnt 0x0
	v_mul_f64_e32 v[8:9], v[64:65], v[68:69]
	v_mul_f64_e32 v[10:11], v[62:63], v[68:69]
	s_delay_alu instid0(VALU_DEP_2) | instskip(NEXT) | instid1(VALU_DEP_2)
	v_fma_f64 v[8:9], v[62:63], v[66:67], -v[8:9]
	v_fmac_f64_e32 v[10:11], v[64:65], v[66:67]
	s_delay_alu instid0(VALU_DEP_2) | instskip(NEXT) | instid1(VALU_DEP_2)
	v_add_f64_e32 v[8:9], v[16:17], v[8:9]
	v_add_f64_e32 v[10:11], v[10:11], v[18:19]
	ds_load_b128 v[16:19], v83 offset:12544
	s_wait_dscnt 0x0
	v_mul_f64_e32 v[74:75], v[64:65], v[18:19]
	s_delay_alu instid0(VALU_DEP_1) | instskip(SKIP_1) | instid1(VALU_DEP_2)
	v_fma_f64 v[74:75], v[62:63], v[16:17], -v[74:75]
	v_mul_f64_e32 v[62:63], v[62:63], v[18:19]
	v_add_f64_e32 v[74:75], v[4:5], v[74:75]
	s_delay_alu instid0(VALU_DEP_2) | instskip(NEXT) | instid1(VALU_DEP_1)
	v_fmac_f64_e32 v[62:63], v[64:65], v[16:17]
	v_add_f64_e32 v[76:77], v[62:63], v[6:7]
	ds_load_b128 v[4:7], v82 offset:8576
	s_wait_dscnt 0x0
	v_mul_f64_e32 v[62:63], v[6:7], v[68:69]
	v_mul_f64_e32 v[64:65], v[4:5], v[68:69]
	s_delay_alu instid0(VALU_DEP_2) | instskip(NEXT) | instid1(VALU_DEP_2)
	v_fma_f64 v[62:63], v[4:5], v[66:67], -v[62:63]
	v_fmac_f64_e32 v[64:65], v[6:7], v[66:67]
	s_delay_alu instid0(VALU_DEP_2) | instskip(SKIP_1) | instid1(VALU_DEP_3)
	v_add_f64_e32 v[12:13], v[12:13], v[62:63]
	v_mul_f64_e32 v[62:63], v[6:7], v[18:19]
	v_add_f64_e32 v[14:15], v[64:65], v[14:15]
	s_delay_alu instid0(VALU_DEP_2) | instskip(SKIP_1) | instid1(VALU_DEP_1)
	v_fma_f64 v[62:63], v[4:5], v[16:17], -v[62:63]
	v_mul_f64_e32 v[4:5], v[4:5], v[18:19]
	v_fmac_f64_e32 v[4:5], v[6:7], v[16:17]
	s_delay_alu instid0(VALU_DEP_3) | instskip(NEXT) | instid1(VALU_DEP_2)
	v_add_f64_e32 v[16:17], v[70:71], v[62:63]
	v_add_f64_e32 v[18:19], v[4:5], v[72:73]
	ds_load_b128 v[4:7], v82 offset:400
	ds_load_b128 v[62:65], v83 offset:12800
	s_wait_dscnt 0x0
	v_mul_f64_e32 v[66:67], v[6:7], v[64:65]
	v_mul_f64_e32 v[68:69], v[4:5], v[64:65]
	s_delay_alu instid0(VALU_DEP_2) | instskip(NEXT) | instid1(VALU_DEP_2)
	v_fma_f64 v[66:67], v[4:5], v[62:63], -v[66:67]
	v_fmac_f64_e32 v[68:69], v[6:7], v[62:63]
	s_delay_alu instid0(VALU_DEP_2) | instskip(NEXT) | instid1(VALU_DEP_2)
	v_add_f64_e32 v[8:9], v[8:9], v[66:67]
	v_add_f64_e32 v[10:11], v[68:69], v[10:11]
	ds_load_b128 v[66:69], v83 offset:13056
	s_wait_dscnt 0x0
	v_mul_f64_e32 v[70:71], v[6:7], v[68:69]
	v_mul_f64_e32 v[72:73], v[4:5], v[68:69]
	s_delay_alu instid0(VALU_DEP_2) | instskip(NEXT) | instid1(VALU_DEP_2)
	v_fma_f64 v[70:71], v[4:5], v[66:67], -v[70:71]
	v_fmac_f64_e32 v[72:73], v[6:7], v[66:67]
	s_delay_alu instid0(VALU_DEP_2) | instskip(NEXT) | instid1(VALU_DEP_2)
	v_add_f64_e32 v[4:5], v[74:75], v[70:71]
	v_add_f64_e32 v[6:7], v[72:73], v[76:77]
	ds_load_b128 v[70:73], v82 offset:8592
	s_wait_dscnt 0x0
	v_mul_f64_e32 v[74:75], v[72:73], v[64:65]
	v_mul_f64_e32 v[64:65], v[70:71], v[64:65]
	s_delay_alu instid0(VALU_DEP_2) | instskip(NEXT) | instid1(VALU_DEP_2)
	v_fma_f64 v[74:75], v[70:71], v[62:63], -v[74:75]
	v_fmac_f64_e32 v[64:65], v[72:73], v[62:63]
	v_mul_f64_e32 v[62:63], v[72:73], v[68:69]
	s_delay_alu instid0(VALU_DEP_3) | instskip(NEXT) | instid1(VALU_DEP_3)
	v_add_f64_e32 v[12:13], v[12:13], v[74:75]
	v_add_f64_e32 v[14:15], v[64:65], v[14:15]
	v_mul_f64_e32 v[64:65], v[70:71], v[68:69]
	s_delay_alu instid0(VALU_DEP_4) | instskip(NEXT) | instid1(VALU_DEP_2)
	v_fma_f64 v[62:63], v[70:71], v[66:67], -v[62:63]
	v_fmac_f64_e32 v[64:65], v[72:73], v[66:67]
	ds_load_b128 v[66:69], v82 offset:416
	ds_load_b128 v[70:73], v83 offset:13312
	v_add_f64_e32 v[16:17], v[16:17], v[62:63]
	s_wait_dscnt 0x0
	v_mul_f64_e32 v[62:63], v[68:69], v[72:73]
	v_add_f64_e32 v[18:19], v[64:65], v[18:19]
	v_mul_f64_e32 v[64:65], v[66:67], v[72:73]
	s_delay_alu instid0(VALU_DEP_3) | instskip(NEXT) | instid1(VALU_DEP_2)
	v_fma_f64 v[62:63], v[66:67], v[70:71], -v[62:63]
	v_fmac_f64_e32 v[64:65], v[68:69], v[70:71]
	s_delay_alu instid0(VALU_DEP_2) | instskip(NEXT) | instid1(VALU_DEP_2)
	v_add_f64_e32 v[62:63], v[8:9], v[62:63]
	v_add_f64_e32 v[64:65], v[64:65], v[10:11]
	ds_load_b128 v[8:11], v83 offset:13568
	s_wait_dscnt 0x0
	v_mul_f64_e32 v[74:75], v[68:69], v[10:11]
	s_delay_alu instid0(VALU_DEP_1) | instskip(SKIP_1) | instid1(VALU_DEP_2)
	v_fma_f64 v[74:75], v[66:67], v[8:9], -v[74:75]
	v_mul_f64_e32 v[66:67], v[66:67], v[10:11]
	v_add_f64_e32 v[74:75], v[4:5], v[74:75]
	s_delay_alu instid0(VALU_DEP_2) | instskip(NEXT) | instid1(VALU_DEP_1)
	v_fmac_f64_e32 v[66:67], v[68:69], v[8:9]
	v_add_f64_e32 v[76:77], v[66:67], v[6:7]
	ds_load_b128 v[4:7], v82 offset:8608
	s_wait_dscnt 0x0
	v_mul_f64_e32 v[66:67], v[6:7], v[72:73]
	v_mul_f64_e32 v[68:69], v[4:5], v[72:73]
	s_delay_alu instid0(VALU_DEP_2) | instskip(NEXT) | instid1(VALU_DEP_2)
	v_fma_f64 v[66:67], v[4:5], v[70:71], -v[66:67]
	v_fmac_f64_e32 v[68:69], v[6:7], v[70:71]
	s_delay_alu instid0(VALU_DEP_2) | instskip(SKIP_1) | instid1(VALU_DEP_3)
	v_add_f64_e32 v[12:13], v[12:13], v[66:67]
	v_mul_f64_e32 v[66:67], v[6:7], v[10:11]
	v_add_f64_e32 v[14:15], v[68:69], v[14:15]
	s_delay_alu instid0(VALU_DEP_2) | instskip(SKIP_1) | instid1(VALU_DEP_1)
	v_fma_f64 v[66:67], v[4:5], v[8:9], -v[66:67]
	v_mul_f64_e32 v[4:5], v[4:5], v[10:11]
	v_fmac_f64_e32 v[4:5], v[6:7], v[8:9]
	s_delay_alu instid0(VALU_DEP_3) | instskip(NEXT) | instid1(VALU_DEP_2)
	v_add_f64_e32 v[8:9], v[16:17], v[66:67]
	v_add_f64_e32 v[10:11], v[4:5], v[18:19]
	ds_load_b128 v[4:7], v82 offset:432
	ds_load_b128 v[66:69], v83 offset:13824
	s_wait_dscnt 0x0
	v_mul_f64_e32 v[16:17], v[6:7], v[68:69]
	v_mul_f64_e32 v[18:19], v[4:5], v[68:69]
	s_delay_alu instid0(VALU_DEP_2) | instskip(NEXT) | instid1(VALU_DEP_2)
	v_fma_f64 v[16:17], v[4:5], v[66:67], -v[16:17]
	v_fmac_f64_e32 v[18:19], v[6:7], v[66:67]
	s_delay_alu instid0(VALU_DEP_2) | instskip(NEXT) | instid1(VALU_DEP_2)
	v_add_f64_e32 v[16:17], v[62:63], v[16:17]
	v_add_f64_e32 v[18:19], v[18:19], v[64:65]
	ds_load_b128 v[62:65], v83 offset:14080
	s_wait_dscnt 0x0
	v_mul_f64_e32 v[70:71], v[6:7], v[64:65]
	v_mul_f64_e32 v[72:73], v[4:5], v[64:65]
	s_delay_alu instid0(VALU_DEP_2) | instskip(NEXT) | instid1(VALU_DEP_2)
	v_fma_f64 v[70:71], v[4:5], v[62:63], -v[70:71]
	v_fmac_f64_e32 v[72:73], v[6:7], v[62:63]
	s_delay_alu instid0(VALU_DEP_2) | instskip(NEXT) | instid1(VALU_DEP_2)
	v_add_f64_e32 v[4:5], v[74:75], v[70:71]
	v_add_f64_e32 v[6:7], v[72:73], v[76:77]
	ds_load_b128 v[70:73], v82 offset:8624
	s_wait_dscnt 0x0
	v_mul_f64_e32 v[74:75], v[72:73], v[68:69]
	v_mul_f64_e32 v[68:69], v[70:71], v[68:69]
	s_delay_alu instid0(VALU_DEP_2) | instskip(NEXT) | instid1(VALU_DEP_2)
	v_fma_f64 v[74:75], v[70:71], v[66:67], -v[74:75]
	v_fmac_f64_e32 v[68:69], v[72:73], v[66:67]
	v_mul_f64_e32 v[66:67], v[72:73], v[64:65]
	v_mul_f64_e32 v[64:65], v[70:71], v[64:65]
	s_delay_alu instid0(VALU_DEP_4) | instskip(NEXT) | instid1(VALU_DEP_4)
	v_add_f64_e32 v[12:13], v[12:13], v[74:75]
	v_add_f64_e32 v[14:15], v[68:69], v[14:15]
	s_delay_alu instid0(VALU_DEP_4) | instskip(NEXT) | instid1(VALU_DEP_4)
	v_fma_f64 v[66:67], v[70:71], v[62:63], -v[66:67]
	v_fmac_f64_e32 v[64:65], v[72:73], v[62:63]
	s_delay_alu instid0(VALU_DEP_2)
	v_add_f64_e32 v[62:63], v[8:9], v[66:67]
	ds_load_b128 v[66:69], v82 offset:448
	ds_load_b128 v[70:73], v83 offset:14336
	v_add_f64_e32 v[64:65], v[64:65], v[10:11]
	s_wait_dscnt 0x0
	v_mul_f64_e32 v[8:9], v[68:69], v[72:73]
	v_mul_f64_e32 v[10:11], v[66:67], v[72:73]
	s_delay_alu instid0(VALU_DEP_2) | instskip(NEXT) | instid1(VALU_DEP_2)
	v_fma_f64 v[8:9], v[66:67], v[70:71], -v[8:9]
	v_fmac_f64_e32 v[10:11], v[68:69], v[70:71]
	s_delay_alu instid0(VALU_DEP_2) | instskip(NEXT) | instid1(VALU_DEP_2)
	v_add_f64_e32 v[8:9], v[16:17], v[8:9]
	v_add_f64_e32 v[10:11], v[10:11], v[18:19]
	ds_load_b128 v[16:19], v83 offset:14592
	s_wait_dscnt 0x0
	v_mul_f64_e32 v[74:75], v[68:69], v[18:19]
	s_delay_alu instid0(VALU_DEP_1) | instskip(SKIP_1) | instid1(VALU_DEP_2)
	v_fma_f64 v[74:75], v[66:67], v[16:17], -v[74:75]
	v_mul_f64_e32 v[66:67], v[66:67], v[18:19]
	v_add_f64_e32 v[4:5], v[4:5], v[74:75]
	s_delay_alu instid0(VALU_DEP_2) | instskip(NEXT) | instid1(VALU_DEP_1)
	v_fmac_f64_e32 v[66:67], v[68:69], v[16:17]
	v_add_f64_e32 v[6:7], v[66:67], v[6:7]
	ds_load_b128 v[66:69], v82 offset:8640
	s_wait_dscnt 0x0
	v_mul_f64_e32 v[74:75], v[68:69], v[72:73]
	v_mul_f64_e32 v[72:73], v[66:67], v[72:73]
	s_delay_alu instid0(VALU_DEP_2) | instskip(NEXT) | instid1(VALU_DEP_2)
	v_fma_f64 v[74:75], v[66:67], v[70:71], -v[74:75]
	v_fmac_f64_e32 v[72:73], v[68:69], v[70:71]
	v_mul_f64_e32 v[70:71], v[68:69], v[18:19]
	v_mul_f64_e32 v[18:19], v[66:67], v[18:19]
	s_delay_alu instid0(VALU_DEP_4) | instskip(NEXT) | instid1(VALU_DEP_4)
	v_add_f64_e32 v[12:13], v[12:13], v[74:75]
	v_add_f64_e32 v[14:15], v[72:73], v[14:15]
	s_delay_alu instid0(VALU_DEP_4) | instskip(NEXT) | instid1(VALU_DEP_4)
	v_fma_f64 v[70:71], v[66:67], v[16:17], -v[70:71]
	v_fmac_f64_e32 v[18:19], v[68:69], v[16:17]
	s_delay_alu instid0(VALU_DEP_2) | instskip(NEXT) | instid1(VALU_DEP_2)
	v_add_f64_e32 v[16:17], v[62:63], v[70:71]
	v_add_f64_e32 v[18:19], v[18:19], v[64:65]
	ds_load_b128 v[62:65], v82 offset:464
	ds_load_b128 v[66:69], v83 offset:14848
	s_wait_dscnt 0x0
	v_mul_f64_e32 v[70:71], v[64:65], v[68:69]
	v_mul_f64_e32 v[72:73], v[62:63], v[68:69]
	s_delay_alu instid0(VALU_DEP_2) | instskip(NEXT) | instid1(VALU_DEP_2)
	v_fma_f64 v[70:71], v[62:63], v[66:67], -v[70:71]
	v_fmac_f64_e32 v[72:73], v[64:65], v[66:67]
	s_delay_alu instid0(VALU_DEP_2) | instskip(NEXT) | instid1(VALU_DEP_2)
	v_add_f64_e32 v[8:9], v[8:9], v[70:71]
	v_add_f64_e32 v[10:11], v[72:73], v[10:11]
	ds_load_b128 v[70:73], v83 offset:15104
	s_wait_dscnt 0x0
	v_mul_f64_e32 v[74:75], v[64:65], v[72:73]
	s_delay_alu instid0(VALU_DEP_1) | instskip(SKIP_1) | instid1(VALU_DEP_2)
	v_fma_f64 v[74:75], v[62:63], v[70:71], -v[74:75]
	v_mul_f64_e32 v[62:63], v[62:63], v[72:73]
	v_add_f64_e32 v[4:5], v[4:5], v[74:75]
	s_delay_alu instid0(VALU_DEP_2) | instskip(NEXT) | instid1(VALU_DEP_1)
	v_fmac_f64_e32 v[62:63], v[64:65], v[70:71]
	v_add_f64_e32 v[6:7], v[62:63], v[6:7]
	ds_load_b128 v[62:65], v82 offset:8656
	s_wait_dscnt 0x0
	v_mul_f64_e32 v[74:75], v[64:65], v[68:69]
	v_mul_f64_e32 v[68:69], v[62:63], v[68:69]
	s_delay_alu instid0(VALU_DEP_2) | instskip(NEXT) | instid1(VALU_DEP_2)
	v_fma_f64 v[74:75], v[62:63], v[66:67], -v[74:75]
	v_fmac_f64_e32 v[68:69], v[64:65], v[66:67]
	v_mul_f64_e32 v[66:67], v[64:65], v[72:73]
	s_delay_alu instid0(VALU_DEP_3) | instskip(NEXT) | instid1(VALU_DEP_3)
	v_add_f64_e32 v[12:13], v[12:13], v[74:75]
	v_add_f64_e32 v[14:15], v[68:69], v[14:15]
	s_delay_alu instid0(VALU_DEP_3) | instskip(SKIP_1) | instid1(VALU_DEP_2)
	v_fma_f64 v[66:67], v[62:63], v[70:71], -v[66:67]
	v_mul_f64_e32 v[62:63], v[62:63], v[72:73]
	v_add_f64_e32 v[16:17], v[16:17], v[66:67]
	s_delay_alu instid0(VALU_DEP_2)
	v_fmac_f64_e32 v[62:63], v[64:65], v[70:71]
	ds_load_b128 v[66:69], v82 offset:480
	ds_load_b128 v[70:73], v83 offset:15360
	s_wait_dscnt 0x0
	v_mul_f64_e32 v[64:65], v[66:67], v[72:73]
	v_add_f64_e32 v[18:19], v[62:63], v[18:19]
	v_mul_f64_e32 v[62:63], v[68:69], v[72:73]
	s_delay_alu instid0(VALU_DEP_3) | instskip(NEXT) | instid1(VALU_DEP_2)
	v_fmac_f64_e32 v[64:65], v[68:69], v[70:71]
	v_fma_f64 v[62:63], v[66:67], v[70:71], -v[62:63]
	s_delay_alu instid0(VALU_DEP_2) | instskip(NEXT) | instid1(VALU_DEP_2)
	v_add_f64_e32 v[64:65], v[64:65], v[10:11]
	v_add_f64_e32 v[62:63], v[8:9], v[62:63]
	ds_load_b128 v[8:11], v83 offset:15616
	s_wait_dscnt 0x0
	v_mul_f64_e32 v[74:75], v[68:69], v[10:11]
	s_delay_alu instid0(VALU_DEP_1) | instskip(SKIP_1) | instid1(VALU_DEP_2)
	v_fma_f64 v[74:75], v[66:67], v[8:9], -v[74:75]
	v_mul_f64_e32 v[66:67], v[66:67], v[10:11]
	v_add_f64_e32 v[74:75], v[4:5], v[74:75]
	s_delay_alu instid0(VALU_DEP_2) | instskip(NEXT) | instid1(VALU_DEP_1)
	v_fmac_f64_e32 v[66:67], v[68:69], v[8:9]
	v_add_f64_e32 v[76:77], v[66:67], v[6:7]
	ds_load_b128 v[4:7], v82 offset:8672
	s_wait_dscnt 0x0
	v_mul_f64_e32 v[66:67], v[6:7], v[72:73]
	v_mul_f64_e32 v[68:69], v[4:5], v[72:73]
	s_delay_alu instid0(VALU_DEP_2) | instskip(NEXT) | instid1(VALU_DEP_2)
	v_fma_f64 v[66:67], v[4:5], v[70:71], -v[66:67]
	v_fmac_f64_e32 v[68:69], v[6:7], v[70:71]
	s_delay_alu instid0(VALU_DEP_2) | instskip(SKIP_1) | instid1(VALU_DEP_3)
	v_add_f64_e32 v[66:67], v[12:13], v[66:67]
	v_mul_f64_e32 v[12:13], v[6:7], v[10:11]
	v_add_f64_e32 v[68:69], v[68:69], v[14:15]
	s_delay_alu instid0(VALU_DEP_2) | instskip(SKIP_1) | instid1(VALU_DEP_2)
	v_fma_f64 v[12:13], v[4:5], v[8:9], -v[12:13]
	v_mul_f64_e32 v[4:5], v[4:5], v[10:11]
	v_add_f64_e32 v[70:71], v[16:17], v[12:13]
	s_delay_alu instid0(VALU_DEP_2)
	v_fmac_f64_e32 v[4:5], v[6:7], v[8:9]
	ds_load_b128 v[12:15], v82 offset:496
	ds_load_b128 v[8:11], v83 offset:15872
	s_wait_dscnt 0x0
	v_mul_f64_e32 v[6:7], v[12:13], v[10:11]
	v_add_f64_e32 v[72:73], v[4:5], v[18:19]
	v_mul_f64_e32 v[4:5], v[14:15], v[10:11]
	s_delay_alu instid0(VALU_DEP_3) | instskip(NEXT) | instid1(VALU_DEP_2)
	v_fmac_f64_e32 v[6:7], v[14:15], v[8:9]
	v_fma_f64 v[4:5], v[12:13], v[8:9], -v[4:5]
	s_delay_alu instid0(VALU_DEP_2) | instskip(NEXT) | instid1(VALU_DEP_2)
	v_add_f64_e32 v[64:65], v[6:7], v[64:65]
	v_add_f64_e32 v[62:63], v[62:63], v[4:5]
	ds_load_b128 v[4:7], v83 offset:16128
	s_wait_dscnt 0x0
	v_mul_f64_e32 v[16:17], v[14:15], v[6:7]
	s_delay_alu instid0(VALU_DEP_1) | instskip(SKIP_1) | instid1(VALU_DEP_2)
	v_fma_f64 v[16:17], v[12:13], v[4:5], -v[16:17]
	v_mul_f64_e32 v[12:13], v[12:13], v[6:7]
	v_add_f64_e32 v[18:19], v[74:75], v[16:17]
	s_delay_alu instid0(VALU_DEP_2) | instskip(NEXT) | instid1(VALU_DEP_1)
	v_fmac_f64_e32 v[12:13], v[14:15], v[4:5]
	v_add_f64_e32 v[16:17], v[12:13], v[76:77]
	ds_load_b128 v[12:15], v82 offset:8688
	s_wait_dscnt 0x0
	s_barrier_signal -1
	s_barrier_wait -1
	v_mul_f64_e32 v[74:75], v[14:15], v[10:11]
	v_mul_f64_e32 v[10:11], v[12:13], v[10:11]
	s_delay_alu instid0(VALU_DEP_2) | instskip(NEXT) | instid1(VALU_DEP_2)
	v_fma_f64 v[74:75], v[12:13], v[8:9], -v[74:75]
	v_fmac_f64_e32 v[10:11], v[14:15], v[8:9]
	v_mul_f64_e32 v[8:9], v[14:15], v[6:7]
	v_mul_f64_e32 v[6:7], v[12:13], v[6:7]
	s_delay_alu instid0(VALU_DEP_4) | instskip(NEXT) | instid1(VALU_DEP_4)
	v_add_f64_e32 v[66:67], v[66:67], v[74:75]
	v_add_f64_e32 v[68:69], v[10:11], v[68:69]
	s_delay_alu instid0(VALU_DEP_4) | instskip(NEXT) | instid1(VALU_DEP_4)
	v_fma_f64 v[8:9], v[12:13], v[4:5], -v[8:9]
	v_fmac_f64_e32 v[6:7], v[14:15], v[4:5]
	s_delay_alu instid0(VALU_DEP_2) | instskip(NEXT) | instid1(VALU_DEP_2)
	v_add_f64_e32 v[74:75], v[70:71], v[8:9]
	v_add_f64_e32 v[70:71], v[6:7], v[72:73]
	s_cbranch_scc1 .LBB125_58
.LBB125_10:                             ;   Parent Loop BB125_4 Depth=1
                                        ;     Parent Loop BB125_7 Depth=2
                                        ; =>    This Inner Loop Header: Depth=3
	v_add_nc_u64_e32 v[8:9], s[22:23], v[20:21]
	v_cmp_eq_u64_e64 s7, s[22:23], v[50:51]
	v_add_nc_u64_e32 v[6:7], v[58:59], v[52:53]
	s_delay_alu instid0(VALU_DEP_3) | instskip(SKIP_3) | instid1(SALU_CYCLE_1)
	v_cmp_gt_i64_e64 s5, v[8:9], v[44:45]
	v_cmp_le_i64_e64 s6, s[40:41], v[8:9]
	s_and_b32 s52, s36, s7
	s_or_b32 s7, vcc_lo, s5
	s_or_b32 s7, s7, s52
	s_delay_alu instid0(SALU_CYCLE_1) | instskip(NEXT) | instid1(SALU_CYCLE_1)
	s_nor_b32 s7, s6, s7
	s_and_saveexec_b32 s8, s7
	s_delay_alu instid0(SALU_CYCLE_1)
	s_xor_b32 s7, exec_lo, s8
	s_cbranch_execz .LBB125_12
; %bb.11:                               ;   in Loop: Header=BB125_10 Depth=3
	global_load_b128 v[10:13], v[6:7], off offset:-256
	s_wait_loadcnt 0x0
	ds_store_2addr_b64 v84, v[10:11], v[12:13] offset1:1
.LBB125_12:                             ;   in Loop: Header=BB125_10 Depth=3
	s_wait_xcnt 0x0
	s_or_saveexec_b32 s7, s7
	s_xor_b32 s51, s52, -1
	s_xor_b32 exec_lo, exec_lo, s7
	s_cbranch_execz .LBB125_18
; %bb.13:                               ;   in Loop: Header=BB125_10 Depth=3
	s_and_saveexec_b32 s8, s51
	s_delay_alu instid0(SALU_CYCLE_1)
	s_xor_b32 s8, exec_lo, s8
; %bb.14:                               ;   in Loop: Header=BB125_10 Depth=3
	v_dual_mov_b32 v10, v2 :: v_dual_mov_b32 v11, v2
	v_dual_mov_b32 v12, v2 :: v_dual_mov_b32 v13, v2
	ds_store_b128 v84, v[10:13]
; %bb.15:                               ;   in Loop: Header=BB125_10 Depth=3
	s_and_not1_saveexec_b32 s8, s8
; %bb.16:                               ;   in Loop: Header=BB125_10 Depth=3
	v_dual_mov_b32 v4, v2 :: v_dual_mov_b32 v5, v2
	ds_store_b128 v84, v[2:5]
; %bb.17:                               ;   in Loop: Header=BB125_10 Depth=3
	s_or_b32 exec_lo, exec_lo, s8
.LBB125_18:                             ;   in Loop: Header=BB125_10 Depth=3
	s_delay_alu instid0(SALU_CYCLE_1) | instskip(SKIP_3) | instid1(VALU_DEP_3)
	s_or_b32 exec_lo, exec_lo, s7
	v_add_nc_u64_e32 v[4:5], 16, v[8:9]
	v_cmp_eq_u64_e64 s8, s[22:23], v[56:57]
	v_add_nc_u64_e32 v[10:11], v[48:49], v[52:53]
	v_cmp_gt_i64_e64 s9, v[4:5], v[44:45]
	v_cmp_le_i64_e64 s7, s[40:41], v[4:5]
	s_and_b32 s53, s36, s8
	s_or_b32 s8, vcc_lo, s9
	s_delay_alu instid0(SALU_CYCLE_1) | instskip(NEXT) | instid1(SALU_CYCLE_1)
	s_or_b32 s8, s8, s53
	s_nor_b32 s8, s7, s8
	s_delay_alu instid0(SALU_CYCLE_1) | instskip(NEXT) | instid1(SALU_CYCLE_1)
	s_and_saveexec_b32 s9, s8
	s_xor_b32 s8, exec_lo, s9
	s_cbranch_execz .LBB125_20
; %bb.19:                               ;   in Loop: Header=BB125_10 Depth=3
	global_load_b128 v[12:15], v[10:11], off
	v_add_nc_u32_e32 v4, 0x100, v84
	s_wait_loadcnt 0x0
	ds_store_2addr_b64 v4, v[12:13], v[14:15] offset1:1
.LBB125_20:                             ;   in Loop: Header=BB125_10 Depth=3
	s_wait_xcnt 0x0
	s_and_not1_saveexec_b32 s8, s8
	s_cbranch_execz .LBB125_26
; %bb.21:                               ;   in Loop: Header=BB125_10 Depth=3
	s_xor_b32 s9, s53, -1
	s_delay_alu instid0(SALU_CYCLE_1) | instskip(NEXT) | instid1(SALU_CYCLE_1)
	s_and_saveexec_b32 s53, s9
	s_xor_b32 s9, exec_lo, s53
; %bb.22:                               ;   in Loop: Header=BB125_10 Depth=3
	v_dual_mov_b32 v12, v2 :: v_dual_mov_b32 v13, v2
	v_dual_mov_b32 v14, v2 :: v_dual_mov_b32 v15, v2
	ds_store_b128 v84, v[12:15] offset:256
; %bb.23:                               ;   in Loop: Header=BB125_10 Depth=3
	s_and_not1_saveexec_b32 s9, s9
; %bb.24:                               ;   in Loop: Header=BB125_10 Depth=3
	v_dual_mov_b32 v4, v2 :: v_dual_mov_b32 v5, v2
	ds_store_b128 v84, v[2:5] offset:256
; %bb.25:                               ;   in Loop: Header=BB125_10 Depth=3
	s_or_b32 exec_lo, exec_lo, s9
.LBB125_26:                             ;   in Loop: Header=BB125_10 Depth=3
	s_delay_alu instid0(SALU_CYCLE_1) | instskip(SKIP_4) | instid1(SALU_CYCLE_1)
	s_or_b32 exec_lo, exec_lo, s8
	v_cmp_eq_u64_e64 s8, s[22:23], v[54:55]
	v_cmp_gt_i64_e64 s9, v[8:9], v[46:47]
	s_and_b32 s8, s36, s8
	s_or_b32 s9, s4, s9
	s_or_b32 s9, s9, s8
	s_delay_alu instid0(SALU_CYCLE_1) | instskip(NEXT) | instid1(SALU_CYCLE_1)
	s_nor_b32 s6, s6, s9
	s_and_saveexec_b32 s9, s6
	s_delay_alu instid0(SALU_CYCLE_1)
	s_xor_b32 s6, exec_lo, s9
	s_cbranch_execz .LBB125_28
; %bb.27:                               ;   in Loop: Header=BB125_10 Depth=3
	global_load_b128 v[4:7], v[6:7], off
	v_add_nc_u32_e32 v8, 0x2000, v84
	s_wait_loadcnt 0x0
	ds_store_2addr_b64 v8, v[4:5], v[6:7] offset1:1
.LBB125_28:                             ;   in Loop: Header=BB125_10 Depth=3
	s_wait_xcnt 0x0
	s_and_not1_saveexec_b32 s6, s6
	s_cbranch_execz .LBB125_34
; %bb.29:                               ;   in Loop: Header=BB125_10 Depth=3
	s_xor_b32 s8, s8, -1
	s_delay_alu instid0(SALU_CYCLE_1) | instskip(NEXT) | instid1(SALU_CYCLE_1)
	s_and_saveexec_b32 s9, s8
	s_xor_b32 s8, exec_lo, s9
; %bb.30:                               ;   in Loop: Header=BB125_10 Depth=3
	v_dual_mov_b32 v4, v2 :: v_dual_mov_b32 v5, v2
	v_dual_mov_b32 v6, v2 :: v_dual_mov_b32 v7, v2
	ds_store_b128 v84, v[4:7] offset:8192
; %bb.31:                               ;   in Loop: Header=BB125_10 Depth=3
	s_and_not1_saveexec_b32 s8, s8
; %bb.32:                               ;   in Loop: Header=BB125_10 Depth=3
	v_dual_mov_b32 v4, v2 :: v_dual_mov_b32 v5, v2
	ds_store_b128 v84, v[2:5] offset:8192
; %bb.33:                               ;   in Loop: Header=BB125_10 Depth=3
	s_or_b32 exec_lo, exec_lo, s8
.LBB125_34:                             ;   in Loop: Header=BB125_10 Depth=3
	s_delay_alu instid0(SALU_CYCLE_1) | instskip(SKIP_1) | instid1(SALU_CYCLE_1)
	s_or_b32 exec_lo, exec_lo, s6
	s_or_b32 s5, s4, s5
	s_or_b32 s5, s5, s52
	s_delay_alu instid0(SALU_CYCLE_1) | instskip(NEXT) | instid1(SALU_CYCLE_1)
	s_nor_b32 s5, s7, s5
	s_and_saveexec_b32 s6, s5
	s_delay_alu instid0(SALU_CYCLE_1)
	s_xor_b32 s5, exec_lo, s6
	s_cbranch_execz .LBB125_36
; %bb.35:                               ;   in Loop: Header=BB125_10 Depth=3
	global_load_b128 v[4:7], v[10:11], off offset:256
	v_add_nc_u32_e32 v8, 0x2100, v84
	s_wait_loadcnt 0x0
	ds_store_2addr_b64 v8, v[4:5], v[6:7] offset1:1
.LBB125_36:                             ;   in Loop: Header=BB125_10 Depth=3
	s_wait_xcnt 0x0
	s_and_not1_saveexec_b32 s5, s5
	s_cbranch_execz .LBB125_42
; %bb.37:                               ;   in Loop: Header=BB125_10 Depth=3
	s_and_saveexec_b32 s6, s51
	s_delay_alu instid0(SALU_CYCLE_1)
	s_xor_b32 s6, exec_lo, s6
; %bb.38:                               ;   in Loop: Header=BB125_10 Depth=3
	v_dual_mov_b32 v4, v2 :: v_dual_mov_b32 v5, v2
	v_dual_mov_b32 v6, v2 :: v_dual_mov_b32 v7, v2
	ds_store_b128 v84, v[4:7] offset:8448
; %bb.39:                               ;   in Loop: Header=BB125_10 Depth=3
	s_and_not1_saveexec_b32 s6, s6
; %bb.40:                               ;   in Loop: Header=BB125_10 Depth=3
	v_dual_mov_b32 v4, v2 :: v_dual_mov_b32 v5, v2
	ds_store_b128 v84, v[2:5] offset:8448
; %bb.41:                               ;   in Loop: Header=BB125_10 Depth=3
	s_or_b32 exec_lo, exec_lo, s6
.LBB125_42:                             ;   in Loop: Header=BB125_10 Depth=3
	s_delay_alu instid0(SALU_CYCLE_1) | instskip(SKIP_2) | instid1(VALU_DEP_2)
	s_or_b32 exec_lo, exec_lo, s5
	v_add_nc_u64_e32 v[4:5], s[22:23], v[0:1]
	v_add_nc_u64_e32 v[6:7], v[60:61], v[30:31]
	v_cmp_le_i64_e64 s5, s[40:41], v[4:5]
	s_nor_b32 s6, s5, s0
	s_delay_alu instid0(SALU_CYCLE_1) | instskip(NEXT) | instid1(SALU_CYCLE_1)
	s_and_saveexec_b32 s7, s6
	s_xor_b32 s6, exec_lo, s7
	s_cbranch_execz .LBB125_44
; %bb.43:                               ;   in Loop: Header=BB125_10 Depth=3
	global_load_b128 v[8:11], v[6:7], off offset:-256
	s_wait_loadcnt 0x0
	ds_store_2addr_b64 v85, v[8:9], v[10:11] offset1:1
.LBB125_44:                             ;   in Loop: Header=BB125_10 Depth=3
	s_wait_xcnt 0x0
	s_and_not1_saveexec_b32 s6, s6
; %bb.45:                               ;   in Loop: Header=BB125_10 Depth=3
	v_dual_mov_b32 v8, v2 :: v_dual_mov_b32 v9, v2
	v_dual_mov_b32 v10, v2 :: v_dual_mov_b32 v11, v2
	ds_store_b128 v85, v[8:11]
; %bb.46:                               ;   in Loop: Header=BB125_10 Depth=3
	s_or_b32 exec_lo, exec_lo, s6
	s_nor_b32 s5, s5, s1
	s_delay_alu instid0(SALU_CYCLE_1) | instskip(NEXT) | instid1(SALU_CYCLE_1)
	s_and_saveexec_b32 s6, s5
	s_xor_b32 s5, exec_lo, s6
	s_cbranch_execz .LBB125_48
; %bb.47:                               ;   in Loop: Header=BB125_10 Depth=3
	global_load_b128 v[6:9], v[6:7], off
	v_add_nc_u32_e32 v10, 0x100, v85
	s_wait_loadcnt 0x0
	ds_store_2addr_b64 v10, v[6:7], v[8:9] offset1:1
.LBB125_48:                             ;   in Loop: Header=BB125_10 Depth=3
	s_wait_xcnt 0x0
	s_and_not1_saveexec_b32 s5, s5
; %bb.49:                               ;   in Loop: Header=BB125_10 Depth=3
	v_dual_mov_b32 v6, v2 :: v_dual_mov_b32 v7, v2
	v_dual_mov_b32 v8, v2 :: v_dual_mov_b32 v9, v2
	ds_store_b128 v85, v[6:9] offset:256
; %bb.50:                               ;   in Loop: Header=BB125_10 Depth=3
	s_or_b32 exec_lo, exec_lo, s5
	v_cmp_le_i64_e64 s5, s[12:13], v[4:5]
	v_add_nc_u64_e32 v[4:5], v[60:61], v[24:25]
	s_nor_b32 s6, s5, s0
	s_delay_alu instid0(SALU_CYCLE_1) | instskip(NEXT) | instid1(SALU_CYCLE_1)
	s_and_saveexec_b32 s7, s6
	s_xor_b32 s6, exec_lo, s7
	s_cbranch_execz .LBB125_52
; %bb.51:                               ;   in Loop: Header=BB125_10 Depth=3
	global_load_b128 v[6:9], v[4:5], off offset:-256
	v_add_nc_u32_e32 v10, 0x2000, v85
	s_wait_loadcnt 0x0
	ds_store_2addr_b64 v10, v[6:7], v[8:9] offset1:1
.LBB125_52:                             ;   in Loop: Header=BB125_10 Depth=3
	s_wait_xcnt 0x0
	s_and_not1_saveexec_b32 s6, s6
; %bb.53:                               ;   in Loop: Header=BB125_10 Depth=3
	v_dual_mov_b32 v6, v2 :: v_dual_mov_b32 v7, v2
	v_dual_mov_b32 v8, v2 :: v_dual_mov_b32 v9, v2
	ds_store_b128 v85, v[6:9] offset:8192
; %bb.54:                               ;   in Loop: Header=BB125_10 Depth=3
	s_or_b32 exec_lo, exec_lo, s6
	s_nor_b32 s5, s5, s1
	s_delay_alu instid0(SALU_CYCLE_1) | instskip(NEXT) | instid1(SALU_CYCLE_1)
	s_and_saveexec_b32 s6, s5
	s_xor_b32 s5, exec_lo, s6
	s_cbranch_execz .LBB125_56
; %bb.55:                               ;   in Loop: Header=BB125_10 Depth=3
	global_load_b128 v[4:7], v[4:5], off
	v_add_nc_u32_e32 v8, 0x2100, v85
	s_wait_loadcnt 0x0
	ds_store_2addr_b64 v8, v[4:5], v[6:7] offset1:1
.LBB125_56:                             ;   in Loop: Header=BB125_10 Depth=3
	s_wait_xcnt 0x0
	s_and_not1_saveexec_b32 s5, s5
	s_cbranch_execz .LBB125_9
; %bb.57:                               ;   in Loop: Header=BB125_10 Depth=3
	v_dual_mov_b32 v4, v2 :: v_dual_mov_b32 v5, v2
	v_dual_mov_b32 v6, v2 :: v_dual_mov_b32 v7, v2
	ds_store_b128 v85, v[4:7] offset:8448
	s_branch .LBB125_9
.LBB125_58:                             ;   in Loop: Header=BB125_7 Depth=2
	s_delay_alu instid0(VALU_DEP_1) | instskip(SKIP_2) | instid1(VALU_DEP_2)
	v_mul_u64_e32 v[4:5], s[24:25], v[44:45]
	v_cmp_gt_i32_e32 vcc_lo, s38, v44
	s_and_b32 s5, s2, vcc_lo
	v_lshl_add_u64 v[4:5], v[4:5], 4, s[18:19]
	s_and_saveexec_b32 s4, s5
	s_cbranch_execz .LBB125_60
; %bb.59:                               ;   in Loop: Header=BB125_7 Depth=2
	s_delay_alu instid0(VALU_DEP_1)
	v_lshl_add_u64 v[10:11], v[22:23], 4, v[4:5]
	v_mul_f64_e32 v[12:13], s[30:31], v[64:65]
	v_mul_f64_e32 v[14:15], s[28:29], v[64:65]
	global_load_b128 v[6:9], v[10:11], off
	v_fma_f64 v[12:13], s[28:29], v[62:63], -v[12:13]
	v_fmac_f64_e32 v[14:15], s[30:31], v[62:63]
	s_wait_loadcnt 0x0
	s_delay_alu instid0(VALU_DEP_2) | instskip(NEXT) | instid1(VALU_DEP_2)
	v_add_f64_e32 v[6:7], v[6:7], v[12:13]
	v_add_f64_e32 v[8:9], v[14:15], v[8:9]
	global_store_b128 v[10:11], v[6:9], off
.LBB125_60:                             ;   in Loop: Header=BB125_7 Depth=2
	s_wait_xcnt 0x0
	s_or_b32 exec_lo, exec_lo, s4
	s_and_b32 s5, s3, vcc_lo
	s_delay_alu instid0(SALU_CYCLE_1)
	s_and_saveexec_b32 s4, s5
	s_cbranch_execz .LBB125_62
; %bb.61:                               ;   in Loop: Header=BB125_7 Depth=2
	v_lshl_add_u64 v[8:9], v[28:29], 4, v[4:5]
	v_mul_f64_e32 v[10:11], s[30:31], v[16:17]
	v_mul_f64_e32 v[12:13], s[28:29], v[16:17]
	global_load_b128 v[4:7], v[8:9], off
	v_fma_f64 v[10:11], s[28:29], v[18:19], -v[10:11]
	v_fmac_f64_e32 v[12:13], s[30:31], v[18:19]
	s_wait_loadcnt 0x0
	s_delay_alu instid0(VALU_DEP_2) | instskip(NEXT) | instid1(VALU_DEP_2)
	v_add_f64_e32 v[4:5], v[4:5], v[10:11]
	v_add_f64_e32 v[6:7], v[12:13], v[6:7]
	global_store_b128 v[8:9], v[4:7], off
.LBB125_62:                             ;   in Loop: Header=BB125_7 Depth=2
	s_wait_xcnt 0x0
	s_or_b32 exec_lo, exec_lo, s4
	v_add_nc_u32_e32 v4, 16, v44
	s_delay_alu instid0(VALU_DEP_1) | instskip(SKIP_1) | instid1(VALU_DEP_2)
	v_ashrrev_i32_e32 v5, 31, v4
	v_cmp_gt_i32_e32 vcc_lo, s38, v4
	v_mul_u64_e32 v[6:7], s[24:25], v[4:5]
	s_and_b32 s5, s2, vcc_lo
	s_delay_alu instid0(VALU_DEP_1)
	v_lshl_add_u64 v[4:5], v[6:7], 4, s[18:19]
	s_and_saveexec_b32 s4, s5
	s_cbranch_execz .LBB125_64
; %bb.63:                               ;   in Loop: Header=BB125_7 Depth=2
	s_delay_alu instid0(VALU_DEP_1)
	v_lshl_add_u64 v[10:11], v[22:23], 4, v[4:5]
	v_mul_f64_e32 v[12:13], s[30:31], v[68:69]
	v_mul_f64_e32 v[14:15], s[28:29], v[68:69]
	global_load_b128 v[6:9], v[10:11], off
	v_fma_f64 v[12:13], s[28:29], v[66:67], -v[12:13]
	v_fmac_f64_e32 v[14:15], s[30:31], v[66:67]
	s_wait_loadcnt 0x0
	s_delay_alu instid0(VALU_DEP_2) | instskip(NEXT) | instid1(VALU_DEP_2)
	v_add_f64_e32 v[6:7], v[6:7], v[12:13]
	v_add_f64_e32 v[8:9], v[14:15], v[8:9]
	global_store_b128 v[10:11], v[6:9], off
.LBB125_64:                             ;   in Loop: Header=BB125_7 Depth=2
	s_wait_xcnt 0x0
	s_or_b32 exec_lo, exec_lo, s4
	s_and_b32 s5, s3, vcc_lo
	s_delay_alu instid0(SALU_CYCLE_1)
	s_and_saveexec_b32 s4, s5
	s_cbranch_execz .LBB125_6
; %bb.65:                               ;   in Loop: Header=BB125_7 Depth=2
	v_lshl_add_u64 v[8:9], v[28:29], 4, v[4:5]
	v_mul_f64_e32 v[10:11], s[30:31], v[70:71]
	v_mul_f64_e32 v[12:13], s[28:29], v[70:71]
	global_load_b128 v[4:7], v[8:9], off
	v_fma_f64 v[10:11], s[28:29], v[74:75], -v[10:11]
	v_fmac_f64_e32 v[12:13], s[30:31], v[74:75]
	s_wait_loadcnt 0x0
	s_delay_alu instid0(VALU_DEP_2) | instskip(NEXT) | instid1(VALU_DEP_2)
	v_add_f64_e32 v[4:5], v[4:5], v[10:11]
	v_add_f64_e32 v[6:7], v[12:13], v[6:7]
	global_store_b128 v[8:9], v[4:7], off
	s_branch .LBB125_6
.LBB125_66:
	s_sendmsg sendmsg(MSG_DEALLOC_VGPRS)
	s_endpgm
	.section	.rodata,"a",@progbits
	.p2align	6, 0x0
	.amdhsa_kernel _ZL30rocblas_trmm_outofplace_kernelI19rocblas_complex_numIdELi32ELi2ELb0ELb0ELb1ELb0ES1_KS1_S1_Ev17rocblas_diagonal_iiT6_lPT7_lllS6_lllPT8_llli
		.amdhsa_group_segment_fixed_size 32768
		.amdhsa_private_segment_fixed_size 0
		.amdhsa_kernarg_size 400
		.amdhsa_user_sgpr_count 2
		.amdhsa_user_sgpr_dispatch_ptr 0
		.amdhsa_user_sgpr_queue_ptr 0
		.amdhsa_user_sgpr_kernarg_segment_ptr 1
		.amdhsa_user_sgpr_dispatch_id 0
		.amdhsa_user_sgpr_kernarg_preload_length 0
		.amdhsa_user_sgpr_kernarg_preload_offset 0
		.amdhsa_user_sgpr_private_segment_size 0
		.amdhsa_wavefront_size32 1
		.amdhsa_uses_dynamic_stack 0
		.amdhsa_enable_private_segment 0
		.amdhsa_system_sgpr_workgroup_id_x 1
		.amdhsa_system_sgpr_workgroup_id_y 1
		.amdhsa_system_sgpr_workgroup_id_z 1
		.amdhsa_system_sgpr_workgroup_info 0
		.amdhsa_system_vgpr_workitem_id 1
		.amdhsa_next_free_vgpr 96
		.amdhsa_next_free_sgpr 54
		.amdhsa_named_barrier_count 0
		.amdhsa_reserve_vcc 1
		.amdhsa_float_round_mode_32 0
		.amdhsa_float_round_mode_16_64 0
		.amdhsa_float_denorm_mode_32 3
		.amdhsa_float_denorm_mode_16_64 3
		.amdhsa_fp16_overflow 0
		.amdhsa_memory_ordered 1
		.amdhsa_forward_progress 1
		.amdhsa_inst_pref_size 66
		.amdhsa_round_robin_scheduling 0
		.amdhsa_exception_fp_ieee_invalid_op 0
		.amdhsa_exception_fp_denorm_src 0
		.amdhsa_exception_fp_ieee_div_zero 0
		.amdhsa_exception_fp_ieee_overflow 0
		.amdhsa_exception_fp_ieee_underflow 0
		.amdhsa_exception_fp_ieee_inexact 0
		.amdhsa_exception_int_div_zero 0
	.end_amdhsa_kernel
	.section	.text._ZL30rocblas_trmm_outofplace_kernelI19rocblas_complex_numIdELi32ELi2ELb0ELb0ELb1ELb0ES1_KS1_S1_Ev17rocblas_diagonal_iiT6_lPT7_lllS6_lllPT8_llli,"axG",@progbits,_ZL30rocblas_trmm_outofplace_kernelI19rocblas_complex_numIdELi32ELi2ELb0ELb0ELb1ELb0ES1_KS1_S1_Ev17rocblas_diagonal_iiT6_lPT7_lllS6_lllPT8_llli,comdat
.Lfunc_end125:
	.size	_ZL30rocblas_trmm_outofplace_kernelI19rocblas_complex_numIdELi32ELi2ELb0ELb0ELb1ELb0ES1_KS1_S1_Ev17rocblas_diagonal_iiT6_lPT7_lllS6_lllPT8_llli, .Lfunc_end125-_ZL30rocblas_trmm_outofplace_kernelI19rocblas_complex_numIdELi32ELi2ELb0ELb0ELb1ELb0ES1_KS1_S1_Ev17rocblas_diagonal_iiT6_lPT7_lllS6_lllPT8_llli
                                        ; -- End function
	.set _ZL30rocblas_trmm_outofplace_kernelI19rocblas_complex_numIdELi32ELi2ELb0ELb0ELb1ELb0ES1_KS1_S1_Ev17rocblas_diagonal_iiT6_lPT7_lllS6_lllPT8_llli.num_vgpr, 96
	.set _ZL30rocblas_trmm_outofplace_kernelI19rocblas_complex_numIdELi32ELi2ELb0ELb0ELb1ELb0ES1_KS1_S1_Ev17rocblas_diagonal_iiT6_lPT7_lllS6_lllPT8_llli.num_agpr, 0
	.set _ZL30rocblas_trmm_outofplace_kernelI19rocblas_complex_numIdELi32ELi2ELb0ELb0ELb1ELb0ES1_KS1_S1_Ev17rocblas_diagonal_iiT6_lPT7_lllS6_lllPT8_llli.numbered_sgpr, 54
	.set _ZL30rocblas_trmm_outofplace_kernelI19rocblas_complex_numIdELi32ELi2ELb0ELb0ELb1ELb0ES1_KS1_S1_Ev17rocblas_diagonal_iiT6_lPT7_lllS6_lllPT8_llli.num_named_barrier, 0
	.set _ZL30rocblas_trmm_outofplace_kernelI19rocblas_complex_numIdELi32ELi2ELb0ELb0ELb1ELb0ES1_KS1_S1_Ev17rocblas_diagonal_iiT6_lPT7_lllS6_lllPT8_llli.private_seg_size, 0
	.set _ZL30rocblas_trmm_outofplace_kernelI19rocblas_complex_numIdELi32ELi2ELb0ELb0ELb1ELb0ES1_KS1_S1_Ev17rocblas_diagonal_iiT6_lPT7_lllS6_lllPT8_llli.uses_vcc, 1
	.set _ZL30rocblas_trmm_outofplace_kernelI19rocblas_complex_numIdELi32ELi2ELb0ELb0ELb1ELb0ES1_KS1_S1_Ev17rocblas_diagonal_iiT6_lPT7_lllS6_lllPT8_llli.uses_flat_scratch, 0
	.set _ZL30rocblas_trmm_outofplace_kernelI19rocblas_complex_numIdELi32ELi2ELb0ELb0ELb1ELb0ES1_KS1_S1_Ev17rocblas_diagonal_iiT6_lPT7_lllS6_lllPT8_llli.has_dyn_sized_stack, 0
	.set _ZL30rocblas_trmm_outofplace_kernelI19rocblas_complex_numIdELi32ELi2ELb0ELb0ELb1ELb0ES1_KS1_S1_Ev17rocblas_diagonal_iiT6_lPT7_lllS6_lllPT8_llli.has_recursion, 0
	.set _ZL30rocblas_trmm_outofplace_kernelI19rocblas_complex_numIdELi32ELi2ELb0ELb0ELb1ELb0ES1_KS1_S1_Ev17rocblas_diagonal_iiT6_lPT7_lllS6_lllPT8_llli.has_indirect_call, 0
	.section	.AMDGPU.csdata,"",@progbits
; Kernel info:
; codeLenInByte = 8388
; TotalNumSgprs: 56
; NumVgprs: 96
; ScratchSize: 0
; MemoryBound: 0
; FloatMode: 240
; IeeeMode: 1
; LDSByteSize: 32768 bytes/workgroup (compile time only)
; SGPRBlocks: 0
; VGPRBlocks: 5
; NumSGPRsForWavesPerEU: 56
; NumVGPRsForWavesPerEU: 96
; NamedBarCnt: 0
; Occupancy: 10
; WaveLimiterHint : 0
; COMPUTE_PGM_RSRC2:SCRATCH_EN: 0
; COMPUTE_PGM_RSRC2:USER_SGPR: 2
; COMPUTE_PGM_RSRC2:TRAP_HANDLER: 0
; COMPUTE_PGM_RSRC2:TGID_X_EN: 1
; COMPUTE_PGM_RSRC2:TGID_Y_EN: 1
; COMPUTE_PGM_RSRC2:TGID_Z_EN: 1
; COMPUTE_PGM_RSRC2:TIDIG_COMP_CNT: 1
	.section	.text._ZL30rocblas_trmm_outofplace_kernelI19rocblas_complex_numIdELi32ELi2ELb0ELb1ELb1ELb0EPKS1_S2_S1_Ev17rocblas_diagonal_iiT6_lPT7_lllS7_lllPT8_llli,"axG",@progbits,_ZL30rocblas_trmm_outofplace_kernelI19rocblas_complex_numIdELi32ELi2ELb0ELb1ELb1ELb0EPKS1_S2_S1_Ev17rocblas_diagonal_iiT6_lPT7_lllS7_lllPT8_llli,comdat
	.globl	_ZL30rocblas_trmm_outofplace_kernelI19rocblas_complex_numIdELi32ELi2ELb0ELb1ELb1ELb0EPKS1_S2_S1_Ev17rocblas_diagonal_iiT6_lPT7_lllS7_lllPT8_llli ; -- Begin function _ZL30rocblas_trmm_outofplace_kernelI19rocblas_complex_numIdELi32ELi2ELb0ELb1ELb1ELb0EPKS1_S2_S1_Ev17rocblas_diagonal_iiT6_lPT7_lllS7_lllPT8_llli
	.p2align	8
	.type	_ZL30rocblas_trmm_outofplace_kernelI19rocblas_complex_numIdELi32ELi2ELb0ELb1ELb1ELb0EPKS1_S2_S1_Ev17rocblas_diagonal_iiT6_lPT7_lllS7_lllPT8_llli,@function
_ZL30rocblas_trmm_outofplace_kernelI19rocblas_complex_numIdELi32ELi2ELb0ELb1ELb1ELb0EPKS1_S2_S1_Ev17rocblas_diagonal_iiT6_lPT7_lllS7_lllPT8_llli: ; @_ZL30rocblas_trmm_outofplace_kernelI19rocblas_complex_numIdELi32ELi2ELb0ELb1ELb1ELb0EPKS1_S2_S1_Ev17rocblas_diagonal_iiT6_lPT7_lllS7_lllPT8_llli
; %bb.0:
	s_load_b32 s11, s[0:1], 0x80
	s_bfe_u32 s2, ttmp6, 0x40014
	s_lshr_b32 s3, ttmp7, 16
	s_add_co_i32 s2, s2, 1
	s_bfe_u32 s5, ttmp6, 0x40008
	s_mul_i32 s4, s3, s2
	s_getreg_b32 s2, hwreg(HW_REG_IB_STS2, 6, 4)
	s_add_co_i32 s5, s5, s4
	s_cmp_eq_u32 s2, 0
	s_mov_b32 s35, 0
	s_cselect_b32 s34, s3, s5
	s_wait_kmcnt 0x0
	s_cmp_ge_u32 s34, s11
	s_cbranch_scc1 .LBB126_68
; %bb.1:
	s_clause 0x3
	s_load_b96 s[8:10], s[0:1], 0x0
	s_load_b512 s[12:27], s[0:1], 0x10
	s_load_b128 s[28:31], s[0:1], 0x70
	s_load_b256 s[36:43], s[0:1], 0x50
	s_bfe_u32 s4, ttmp6, 0x4000c
	s_bfe_u32 s6, ttmp6, 0x40010
	s_add_co_i32 s4, s4, 1
	s_and_b32 s3, ttmp6, 15
	s_and_b32 s5, ttmp7, 0xffff
	s_add_nc_u64 s[44:45], s[0:1], 0x88
	s_add_co_i32 s6, s6, 1
	s_wait_xcnt 0x0
	s_mul_i32 s0, ttmp9, s4
	s_bfe_u32 s7, ttmp6, 0x40004
	s_mul_i32 s1, s5, s6
	s_add_co_i32 s3, s3, s0
	s_add_co_i32 s7, s7, s1
	v_and_b32_e32 v2, 0x3ff, v0
	v_bfe_u32 v78, v0, 10, 10
	s_wait_kmcnt 0x0
	s_add_co_i32 s0, s10, -1
	s_delay_alu instid0(SALU_CYCLE_1) | instskip(NEXT) | instid1(SALU_CYCLE_1)
	s_ashr_i32 s1, s0, 31
	s_lshr_b32 s1, s1, 27
	s_delay_alu instid0(SALU_CYCLE_1)
	s_add_co_i32 s4, s0, s1
	s_lshl_b64 s[0:1], s[42:43], 4
	s_ashr_i32 s33, s4, 5
	s_cmp_eq_u32 s2, 0
	s_add_nc_u64 s[40:41], s[40:41], s[0:1]
	s_cselect_b32 s2, ttmp9, s3
	s_cselect_b32 s60, s5, s7
	v_lshl_add_u32 v24, s2, 5, v2
	v_lshlrev_b32_e32 v79, 9, v78
	s_cmp_le_i32 s60, s33
	s_mov_b32 s2, s9
	s_cselect_b32 s61, -1, 0
	v_dual_ashrrev_i32 v25, 31, v24 :: v_dual_lshlrev_b32 v0, 4, v2
	s_cmp_eq_u32 s8, 0x84
	s_mov_b32 s42, s10
	s_cselect_b32 s62, -1, 0
	s_ashr_i32 s3, s9, 31
	v_or_b32_e32 v81, 0x4000, v0
	s_lshl_b32 s6, s60, 5
	s_delay_alu instid0(SALU_CYCLE_1) | instskip(SKIP_1) | instid1(VALU_DEP_2)
	v_dual_add_nc_u32 v26, 16, v24 :: v_dual_add_nc_u32 v87, s6, v2
	s_lshl_b64 s[4:5], s[26:27], 4
	v_dual_add_nc_u32 v82, v81, v79 :: v_dual_add_nc_u32 v80, v79, v0
	s_delay_alu instid0(VALU_DEP_2) | instskip(SKIP_2) | instid1(VALU_DEP_3)
	v_ashrrev_i32_e32 v27, 31, v26
	v_sub_nc_u64_e32 v[0:1], s[2:3], v[24:25]
	s_add_nc_u64 s[4:5], s[24:25], s[4:5]
	v_add_nc_u32_e32 v84, 0x100, v82
	v_lshl_add_u64 v[28:29], v[24:25], 4, s[4:5]
	s_lshl_b64 s[4:5], s[18:19], 4
	v_add_nc_u32_e32 v83, 0x2100, v80
	v_add_nc_u32_e32 v85, 0x2000, v82
	v_cmp_gt_i64_e64 s0, 1, v[0:1]
	v_cmp_gt_i64_e64 s1, 17, v[0:1]
	v_add_nc_u32_e32 v86, 0x2100, v82
	v_cmp_gt_i32_e64 s2, s9, v24
	v_cmp_gt_i32_e64 s3, s9, v26
	v_dual_mov_b32 v1, 0x3ff00000 :: v_dual_add_nc_u32 v88, s6, v78
	v_mov_b32_e32 v0, 0
	s_ashr_i32 s43, s10, 31
	s_add_nc_u64 s[16:17], s[16:17], s[4:5]
	s_lshl_b64 s[46:47], s[20:21], 9
	s_lshl_b64 s[48:49], s[36:37], 9
	s_add_nc_u64 s[50:51], s[42:43], -16
	s_lshl_b64 s[24:25], s[36:37], 4
	s_lshl_b64 s[18:19], s[38:39], 4
	s_add_nc_u64 s[26:27], s[16:17], 0x100
	s_lshl_b64 s[22:23], s[22:23], 4
	s_lshl_b64 s[38:39], s[20:21], 4
	s_branch .LBB126_4
.LBB126_2:                              ;   in Loop: Header=BB126_4 Depth=1
	s_add_co_i32 s34, s34, 0x10000
	s_delay_alu instid0(SALU_CYCLE_1)
	s_cmp_ge_u32 s34, s11
	s_cselect_b32 s4, -1, 0
.LBB126_3:                              ;   in Loop: Header=BB126_4 Depth=1
	s_delay_alu instid0(SALU_CYCLE_1)
	s_and_b32 vcc_lo, exec_lo, s4
	s_cbranch_vccnz .LBB126_68
.LBB126_4:                              ; =>This Loop Header: Depth=1
                                        ;     Child Loop BB126_8 Depth 2
                                        ;       Child Loop BB126_11 Depth 3
	s_mul_u64 s[4:5], s[14:15], s[34:35]
	s_delay_alu instid0(SALU_CYCLE_1) | instskip(NEXT) | instid1(SALU_CYCLE_1)
	s_lshl_b64 s[4:5], s[4:5], 4
	s_add_nc_u64 s[4:5], s[12:13], s[4:5]
	global_load_b128 v[4:7], v0, s[4:5]
	s_wait_loadcnt 0x0
	v_cmp_eq_f64_e32 vcc_lo, 0, v[4:5]
	s_wait_xcnt 0x0
	v_cmp_eq_f64_e64 s4, 0, v[6:7]
	s_and_b32 s4, vcc_lo, s4
	s_delay_alu instid0(SALU_CYCLE_1)
	s_and_b32 vcc_lo, exec_lo, s4
	s_mov_b32 s4, -1
	s_cbranch_vccnz .LBB126_3
; %bb.5:                                ;   in Loop: Header=BB126_4 Depth=1
	s_and_not1_b32 vcc_lo, exec_lo, s61
	s_cbranch_vccnz .LBB126_2
; %bb.6:                                ;   in Loop: Header=BB126_4 Depth=1
	s_load_b32 s63, s[44:45], 0x4
	v_mad_nc_u64_u32 v[30:31], s18, s34, v[28:29]
	s_mul_u64 s[6:7], s[30:31], s[34:35]
	v_dual_mov_b32 v32, v88 :: v_dual_mov_b32 v34, v87
	s_mul_u64 s[4:5], s[22:23], s[34:35]
	s_lshl_b64 s[6:7], s[6:7], 4
	s_add_nc_u64 s[52:53], s[26:27], s[4:5]
	s_add_nc_u64 s[54:55], s[16:17], s[4:5]
	;; [unrolled: 1-line block ×3, first 2 shown]
	s_mov_b32 s65, s60
	s_delay_alu instid0(VALU_DEP_2)
	v_mad_u32 v31, s19, s34, v31
	s_wait_kmcnt 0x0
	s_lshl_b32 s64, s63, 5
	s_branch .LBB126_8
.LBB126_7:                              ;   in Loop: Header=BB126_8 Depth=2
	s_wait_xcnt 0x0
	s_or_b32 exec_lo, exec_lo, s4
	v_dual_add_nc_u32 v34, s64, v34 :: v_dual_add_nc_u32 v32, s64, v32
	s_add_co_i32 s65, s63, s65
	s_delay_alu instid0(SALU_CYCLE_1)
	s_cmp_gt_i32 s65, s33
	s_cbranch_scc1 .LBB126_2
.LBB126_8:                              ;   Parent Loop BB126_4 Depth=1
                                        ; =>  This Loop Header: Depth=2
                                        ;       Child Loop BB126_11 Depth 3
	s_lshl_b32 s4, s65, 5
	s_delay_alu instid0(SALU_CYCLE_1) | instskip(SKIP_2) | instid1(SALU_CYCLE_1)
	v_dual_ashrrev_i32 v33, 31, v32 :: v_dual_add_nc_u32 v36, s4, v78
	v_ashrrev_i32_e32 v35, 31, v34
	s_sub_co_i32 s66, s10, s4
	s_cmp_lt_i32 s66, 1
	s_delay_alu instid0(VALU_DEP_2)
	v_ashrrev_i32_e32 v37, 31, v36
	s_cbranch_scc1 .LBB126_59
; %bb.9:                                ;   in Loop: Header=BB126_8 Depth=2
	v_lshlrev_b64_e32 v[38:39], 4, v[32:33]
	v_lshl_add_u64 v[8:9], v[34:35], 4, 0x100
	v_mad_nc_u64_u32 v[40:41], s24, v32, 0x100
	v_mad_nc_u64_u32 v[42:43], s38, v34, s[52:53]
	v_sub_nc_u64_e32 v[48:49], v[32:33], v[34:35]
	v_add_nc_u64_e32 v[50:51], 16, v[36:37]
	v_mad_nc_u64_u32 v[44:45], s20, v8, s[54:55]
	v_add_nc_u64_e32 v[2:3], 0x100, v[38:39]
	v_mov_b64_e32 v[62:63], 0
	v_mov_b64_e32 v[66:67], 0
	;; [unrolled: 1-line block ×3, first 2 shown]
	v_add_nc_u64_e32 v[52:53], 16, v[48:49]
	v_add_nc_u64_e32 v[54:55], -16, v[48:49]
	v_mad_u32 v10, s25, v32, v41
	v_mad_nc_u64_u32 v[46:47], s36, v2, 0x100
	v_mad_u32 v11, s39, v34, v43
	v_mov_b64_e32 v[68:69], 0
	v_mad_u32 v8, s21, v8, v45
	v_mov_b64_e32 v[22:23], 0
	v_mov_b64_e32 v[20:21], 0
	;; [unrolled: 1-line block ×5, first 2 shown]
	v_cmp_le_i32_e64 s4, s10, v36
	v_mad_u32 v41, s24, v33, v10
	v_mad_u32 v2, s37, v2, v47
	;; [unrolled: 1-line block ×3, first 2 shown]
	s_mov_b64 s[58:59], 0
	v_mad_u32 v45, s20, v9, v8
	v_cmp_le_i64_e32 vcc_lo, s[42:43], v[50:51]
	s_delay_alu instid0(VALU_DEP_4)
	v_mad_u32 v47, s36, v3, v2
	s_branch .LBB126_11
.LBB126_10:                             ;   in Loop: Header=BB126_11 Depth=3
	s_or_b32 exec_lo, exec_lo, s5
	s_wait_dscnt 0x0
	s_barrier_signal -1
	s_barrier_wait -1
	ds_load_b128 v[70:73], v79
	ds_load_b128 v[16:19], v79 offset:16
	ds_load_b128 v[12:15], v79 offset:32
	ds_load_b128 v[8:11], v79 offset:48
	ds_load_b128 v[90:93], v81
	ds_load_b128 v[94:97], v81 offset:256
	v_add_nc_u64_e32 v[56:57], s[48:49], v[56:57]
	v_add_nc_u64_e32 v[42:43], s[46:47], v[42:43]
	;; [unrolled: 1-line block ×3, first 2 shown]
	s_add_nc_u64 s[58:59], s[58:59], 32
	s_delay_alu instid0(SALU_CYCLE_1) | instskip(SKIP_3) | instid1(VALU_DEP_2)
	s_cmp_ge_i32 s58, s66
	s_wait_dscnt 0x1
	v_mul_f64_e32 v[2:3], v[72:73], v[92:93]
	v_mul_f64_e32 v[76:77], v[70:71], v[92:93]
	v_fma_f64 v[2:3], v[70:71], v[90:91], -v[2:3]
	s_delay_alu instid0(VALU_DEP_2) | instskip(NEXT) | instid1(VALU_DEP_2)
	v_fmac_f64_e32 v[76:77], v[72:73], v[90:91]
	v_add_f64_e32 v[74:75], v[58:59], v[2:3]
	s_wait_dscnt 0x0
	v_mul_f64_e32 v[2:3], v[72:73], v[96:97]
	v_mul_f64_e32 v[58:59], v[70:71], v[96:97]
	s_delay_alu instid0(VALU_DEP_4) | instskip(NEXT) | instid1(VALU_DEP_3)
	v_add_f64_e32 v[76:77], v[76:77], v[60:61]
	v_fma_f64 v[2:3], v[70:71], v[94:95], -v[2:3]
	s_delay_alu instid0(VALU_DEP_3) | instskip(NEXT) | instid1(VALU_DEP_2)
	v_fmac_f64_e32 v[58:59], v[72:73], v[94:95]
	v_add_f64_e32 v[70:71], v[20:21], v[2:3]
	s_delay_alu instid0(VALU_DEP_2) | instskip(SKIP_4) | instid1(VALU_DEP_2)
	v_add_f64_e32 v[72:73], v[58:59], v[22:23]
	ds_load_b128 v[20:23], v79 offset:8192
	s_wait_dscnt 0x0
	v_mul_f64_e32 v[2:3], v[22:23], v[92:93]
	v_mul_f64_e32 v[58:59], v[20:21], v[92:93]
	v_fma_f64 v[2:3], v[20:21], v[90:91], -v[2:3]
	s_delay_alu instid0(VALU_DEP_2) | instskip(NEXT) | instid1(VALU_DEP_2)
	v_fmac_f64_e32 v[58:59], v[22:23], v[90:91]
	v_add_f64_e32 v[60:61], v[68:69], v[2:3]
	v_mul_f64_e32 v[2:3], v[22:23], v[96:97]
	s_delay_alu instid0(VALU_DEP_3) | instskip(NEXT) | instid1(VALU_DEP_2)
	v_add_f64_e32 v[64:65], v[58:59], v[64:65]
	v_fma_f64 v[2:3], v[20:21], v[94:95], -v[2:3]
	v_mul_f64_e32 v[20:21], v[20:21], v[96:97]
	s_delay_alu instid0(VALU_DEP_2) | instskip(NEXT) | instid1(VALU_DEP_2)
	v_add_f64_e32 v[2:3], v[66:67], v[2:3]
	v_fmac_f64_e32 v[20:21], v[22:23], v[94:95]
	s_delay_alu instid0(VALU_DEP_1) | instskip(SKIP_4) | instid1(VALU_DEP_2)
	v_add_f64_e32 v[58:59], v[20:21], v[62:63]
	ds_load_b128 v[20:23], v81 offset:512
	s_wait_dscnt 0x0
	v_mul_f64_e32 v[62:63], v[18:19], v[22:23]
	v_mul_f64_e32 v[66:67], v[16:17], v[22:23]
	v_fma_f64 v[62:63], v[16:17], v[20:21], -v[62:63]
	s_delay_alu instid0(VALU_DEP_2) | instskip(NEXT) | instid1(VALU_DEP_2)
	v_fmac_f64_e32 v[66:67], v[18:19], v[20:21]
	v_add_f64_e32 v[62:63], v[74:75], v[62:63]
	s_delay_alu instid0(VALU_DEP_2) | instskip(SKIP_4) | instid1(VALU_DEP_2)
	v_add_f64_e32 v[66:67], v[66:67], v[76:77]
	ds_load_b128 v[74:77], v81 offset:768
	s_wait_dscnt 0x0
	v_mul_f64_e32 v[68:69], v[18:19], v[76:77]
	v_mul_f64_e32 v[90:91], v[16:17], v[76:77]
	v_fma_f64 v[68:69], v[16:17], v[74:75], -v[68:69]
	s_delay_alu instid0(VALU_DEP_2) | instskip(NEXT) | instid1(VALU_DEP_2)
	v_fmac_f64_e32 v[90:91], v[18:19], v[74:75]
	v_add_f64_e32 v[16:17], v[70:71], v[68:69]
	ds_load_b128 v[68:71], v79 offset:8208
	v_add_f64_e32 v[18:19], v[90:91], v[72:73]
	s_wait_dscnt 0x0
	v_mul_f64_e32 v[72:73], v[70:71], v[22:23]
	v_mul_f64_e32 v[22:23], v[68:69], v[22:23]
	s_delay_alu instid0(VALU_DEP_2) | instskip(NEXT) | instid1(VALU_DEP_2)
	v_fma_f64 v[72:73], v[68:69], v[20:21], -v[72:73]
	v_fmac_f64_e32 v[22:23], v[70:71], v[20:21]
	s_delay_alu instid0(VALU_DEP_2) | instskip(NEXT) | instid1(VALU_DEP_2)
	v_add_f64_e32 v[20:21], v[60:61], v[72:73]
	v_add_f64_e32 v[22:23], v[22:23], v[64:65]
	v_mul_f64_e32 v[60:61], v[70:71], v[76:77]
	v_mul_f64_e32 v[64:65], v[68:69], v[76:77]
	s_delay_alu instid0(VALU_DEP_2) | instskip(NEXT) | instid1(VALU_DEP_2)
	v_fma_f64 v[60:61], v[68:69], v[74:75], -v[60:61]
	v_fmac_f64_e32 v[64:65], v[70:71], v[74:75]
	ds_load_b128 v[68:71], v81 offset:1024
	ds_load_b128 v[72:75], v81 offset:1280
	v_add_f64_e32 v[2:3], v[2:3], v[60:61]
	v_add_f64_e32 v[60:61], v[64:65], v[58:59]
	s_wait_dscnt 0x1
	v_mul_f64_e32 v[58:59], v[14:15], v[70:71]
	v_mul_f64_e32 v[64:65], v[12:13], v[70:71]
	s_delay_alu instid0(VALU_DEP_2) | instskip(NEXT) | instid1(VALU_DEP_2)
	v_fma_f64 v[58:59], v[12:13], v[68:69], -v[58:59]
	v_fmac_f64_e32 v[64:65], v[14:15], v[68:69]
	s_delay_alu instid0(VALU_DEP_2) | instskip(SKIP_2) | instid1(VALU_DEP_3)
	v_add_f64_e32 v[76:77], v[62:63], v[58:59]
	s_wait_dscnt 0x0
	v_mul_f64_e32 v[58:59], v[14:15], v[74:75]
	v_add_f64_e32 v[66:67], v[64:65], v[66:67]
	s_delay_alu instid0(VALU_DEP_2) | instskip(SKIP_1) | instid1(VALU_DEP_2)
	v_fma_f64 v[58:59], v[12:13], v[72:73], -v[58:59]
	v_mul_f64_e32 v[12:13], v[12:13], v[74:75]
	v_add_f64_e32 v[90:91], v[16:17], v[58:59]
	s_delay_alu instid0(VALU_DEP_2) | instskip(NEXT) | instid1(VALU_DEP_1)
	v_fmac_f64_e32 v[12:13], v[14:15], v[72:73]
	v_add_f64_e32 v[92:93], v[12:13], v[18:19]
	ds_load_b128 v[12:15], v79 offset:8224
	s_wait_dscnt 0x0
	v_mul_f64_e32 v[16:17], v[14:15], v[70:71]
	v_mul_f64_e32 v[18:19], v[12:13], v[70:71]
	s_delay_alu instid0(VALU_DEP_2) | instskip(NEXT) | instid1(VALU_DEP_2)
	v_fma_f64 v[16:17], v[12:13], v[68:69], -v[16:17]
	v_fmac_f64_e32 v[18:19], v[14:15], v[68:69]
	s_delay_alu instid0(VALU_DEP_2) | instskip(SKIP_1) | instid1(VALU_DEP_3)
	v_add_f64_e32 v[62:63], v[20:21], v[16:17]
	v_mul_f64_e32 v[16:17], v[14:15], v[74:75]
	v_add_f64_e32 v[64:65], v[18:19], v[22:23]
	s_delay_alu instid0(VALU_DEP_2) | instskip(SKIP_1) | instid1(VALU_DEP_2)
	v_fma_f64 v[16:17], v[12:13], v[72:73], -v[16:17]
	v_mul_f64_e32 v[12:13], v[12:13], v[74:75]
	v_add_f64_e32 v[58:59], v[2:3], v[16:17]
	s_delay_alu instid0(VALU_DEP_2)
	v_fmac_f64_e32 v[12:13], v[14:15], v[72:73]
	ds_load_b128 v[16:19], v81 offset:1536
	s_wait_dscnt 0x0
	v_mul_f64_e32 v[2:3], v[10:11], v[18:19]
	v_add_f64_e32 v[60:61], v[12:13], v[60:61]
	v_mul_f64_e32 v[12:13], v[8:9], v[18:19]
	s_delay_alu instid0(VALU_DEP_3) | instskip(NEXT) | instid1(VALU_DEP_2)
	v_fma_f64 v[2:3], v[8:9], v[16:17], -v[2:3]
	v_fmac_f64_e32 v[12:13], v[10:11], v[16:17]
	s_delay_alu instid0(VALU_DEP_2) | instskip(NEXT) | instid1(VALU_DEP_2)
	v_add_f64_e32 v[20:21], v[76:77], v[2:3]
	v_add_f64_e32 v[22:23], v[12:13], v[66:67]
	ds_load_b128 v[12:15], v81 offset:1792
	ds_load_b128 v[66:69], v79 offset:8240
	s_wait_dscnt 0x1
	v_mul_f64_e32 v[2:3], v[10:11], v[14:15]
	s_delay_alu instid0(VALU_DEP_1) | instskip(SKIP_1) | instid1(VALU_DEP_2)
	v_fma_f64 v[2:3], v[8:9], v[12:13], -v[2:3]
	v_mul_f64_e32 v[8:9], v[8:9], v[14:15]
	v_add_f64_e32 v[2:3], v[90:91], v[2:3]
	s_delay_alu instid0(VALU_DEP_2) | instskip(SKIP_3) | instid1(VALU_DEP_3)
	v_fmac_f64_e32 v[8:9], v[10:11], v[12:13]
	s_wait_dscnt 0x0
	v_mul_f64_e32 v[10:11], v[68:69], v[18:19]
	v_mul_f64_e32 v[18:19], v[66:67], v[18:19]
	v_add_f64_e32 v[8:9], v[8:9], v[92:93]
	s_delay_alu instid0(VALU_DEP_3) | instskip(NEXT) | instid1(VALU_DEP_3)
	v_fma_f64 v[10:11], v[66:67], v[16:17], -v[10:11]
	v_fmac_f64_e32 v[18:19], v[68:69], v[16:17]
	s_delay_alu instid0(VALU_DEP_2) | instskip(NEXT) | instid1(VALU_DEP_2)
	v_add_f64_e32 v[10:11], v[62:63], v[10:11]
	v_add_f64_e32 v[16:17], v[18:19], v[64:65]
	v_mul_f64_e32 v[18:19], v[68:69], v[14:15]
	v_mul_f64_e32 v[14:15], v[66:67], v[14:15]
	s_delay_alu instid0(VALU_DEP_2) | instskip(NEXT) | instid1(VALU_DEP_2)
	v_fma_f64 v[18:19], v[66:67], v[12:13], -v[18:19]
	v_fmac_f64_e32 v[14:15], v[68:69], v[12:13]
	s_delay_alu instid0(VALU_DEP_2) | instskip(NEXT) | instid1(VALU_DEP_2)
	v_add_f64_e32 v[70:71], v[58:59], v[18:19]
	v_add_f64_e32 v[72:73], v[14:15], v[60:61]
	ds_load_b128 v[12:15], v79 offset:64
	ds_load_b128 v[58:61], v81 offset:2048
	;; [unrolled: 1-line block ×3, first 2 shown]
	s_wait_dscnt 0x1
	v_mul_f64_e32 v[18:19], v[14:15], v[60:61]
	v_mul_f64_e32 v[62:63], v[12:13], v[60:61]
	s_delay_alu instid0(VALU_DEP_2) | instskip(NEXT) | instid1(VALU_DEP_2)
	v_fma_f64 v[18:19], v[12:13], v[58:59], -v[18:19]
	v_fmac_f64_e32 v[62:63], v[14:15], v[58:59]
	s_delay_alu instid0(VALU_DEP_2) | instskip(NEXT) | instid1(VALU_DEP_2)
	v_add_f64_e32 v[18:19], v[20:21], v[18:19]
	v_add_f64_e32 v[20:21], v[62:63], v[22:23]
	ds_load_b128 v[62:65], v81 offset:2304
	s_wait_dscnt 0x0
	v_mul_f64_e32 v[22:23], v[14:15], v[64:65]
	s_delay_alu instid0(VALU_DEP_1) | instskip(SKIP_1) | instid1(VALU_DEP_2)
	v_fma_f64 v[22:23], v[12:13], v[62:63], -v[22:23]
	v_mul_f64_e32 v[12:13], v[12:13], v[64:65]
	v_add_f64_e32 v[2:3], v[2:3], v[22:23]
	s_delay_alu instid0(VALU_DEP_2) | instskip(SKIP_1) | instid1(VALU_DEP_2)
	v_fmac_f64_e32 v[12:13], v[14:15], v[62:63]
	v_mul_f64_e32 v[22:23], v[66:67], v[60:61]
	v_add_f64_e32 v[8:9], v[12:13], v[8:9]
	v_mul_f64_e32 v[12:13], v[68:69], v[60:61]
	s_delay_alu instid0(VALU_DEP_3) | instskip(NEXT) | instid1(VALU_DEP_2)
	v_fmac_f64_e32 v[22:23], v[68:69], v[58:59]
	v_fma_f64 v[12:13], v[66:67], v[58:59], -v[12:13]
	s_delay_alu instid0(VALU_DEP_2) | instskip(NEXT) | instid1(VALU_DEP_2)
	v_add_f64_e32 v[16:17], v[22:23], v[16:17]
	v_add_f64_e32 v[14:15], v[10:11], v[12:13]
	v_mul_f64_e32 v[10:11], v[68:69], v[64:65]
	v_mul_f64_e32 v[12:13], v[66:67], v[64:65]
	s_delay_alu instid0(VALU_DEP_2) | instskip(NEXT) | instid1(VALU_DEP_2)
	v_fma_f64 v[10:11], v[66:67], v[62:63], -v[10:11]
	v_fmac_f64_e32 v[12:13], v[68:69], v[62:63]
	ds_load_b128 v[58:61], v79 offset:80
	ds_load_b128 v[62:65], v81 offset:2560
	s_wait_dscnt 0x0
	v_mul_f64_e32 v[66:67], v[58:59], v[64:65]
	v_mul_f64_e32 v[22:23], v[60:61], v[64:65]
	v_add_f64_e32 v[10:11], v[70:71], v[10:11]
	v_add_f64_e32 v[12:13], v[12:13], v[72:73]
	s_delay_alu instid0(VALU_DEP_4) | instskip(NEXT) | instid1(VALU_DEP_4)
	v_fmac_f64_e32 v[66:67], v[60:61], v[62:63]
	v_fma_f64 v[22:23], v[58:59], v[62:63], -v[22:23]
	s_delay_alu instid0(VALU_DEP_2) | instskip(SKIP_4) | instid1(VALU_DEP_1)
	v_add_f64_e32 v[20:21], v[66:67], v[20:21]
	ds_load_b128 v[66:69], v81 offset:2816
	v_add_f64_e32 v[18:19], v[18:19], v[22:23]
	s_wait_dscnt 0x0
	v_mul_f64_e32 v[22:23], v[60:61], v[68:69]
	v_fma_f64 v[22:23], v[58:59], v[66:67], -v[22:23]
	v_mul_f64_e32 v[58:59], v[58:59], v[68:69]
	s_delay_alu instid0(VALU_DEP_2) | instskip(NEXT) | instid1(VALU_DEP_2)
	v_add_f64_e32 v[2:3], v[2:3], v[22:23]
	v_fmac_f64_e32 v[58:59], v[60:61], v[66:67]
	s_delay_alu instid0(VALU_DEP_1) | instskip(SKIP_4) | instid1(VALU_DEP_2)
	v_add_f64_e32 v[8:9], v[58:59], v[8:9]
	ds_load_b128 v[58:61], v79 offset:8272
	s_wait_dscnt 0x0
	v_mul_f64_e32 v[22:23], v[60:61], v[64:65]
	v_mul_f64_e32 v[64:65], v[58:59], v[64:65]
	v_fma_f64 v[22:23], v[58:59], v[62:63], -v[22:23]
	s_delay_alu instid0(VALU_DEP_2) | instskip(NEXT) | instid1(VALU_DEP_2)
	v_fmac_f64_e32 v[64:65], v[60:61], v[62:63]
	v_add_f64_e32 v[14:15], v[14:15], v[22:23]
	v_mul_f64_e32 v[22:23], v[60:61], v[68:69]
	s_delay_alu instid0(VALU_DEP_3) | instskip(NEXT) | instid1(VALU_DEP_2)
	v_add_f64_e32 v[16:17], v[64:65], v[16:17]
	v_fma_f64 v[22:23], v[58:59], v[66:67], -v[22:23]
	v_mul_f64_e32 v[58:59], v[58:59], v[68:69]
	s_delay_alu instid0(VALU_DEP_2) | instskip(NEXT) | instid1(VALU_DEP_2)
	v_add_f64_e32 v[22:23], v[10:11], v[22:23]
	v_fmac_f64_e32 v[58:59], v[60:61], v[66:67]
	s_delay_alu instid0(VALU_DEP_1)
	v_add_f64_e32 v[66:67], v[58:59], v[12:13]
	ds_load_b128 v[10:13], v79 offset:96
	ds_load_b128 v[58:61], v81 offset:3072
	s_wait_dscnt 0x0
	v_mul_f64_e32 v[62:63], v[12:13], v[60:61]
	v_mul_f64_e32 v[64:65], v[10:11], v[60:61]
	s_delay_alu instid0(VALU_DEP_2) | instskip(NEXT) | instid1(VALU_DEP_2)
	v_fma_f64 v[62:63], v[10:11], v[58:59], -v[62:63]
	v_fmac_f64_e32 v[64:65], v[12:13], v[58:59]
	s_delay_alu instid0(VALU_DEP_2) | instskip(NEXT) | instid1(VALU_DEP_2)
	v_add_f64_e32 v[18:19], v[18:19], v[62:63]
	v_add_f64_e32 v[20:21], v[64:65], v[20:21]
	ds_load_b128 v[62:65], v81 offset:3328
	s_wait_dscnt 0x0
	v_mul_f64_e32 v[68:69], v[12:13], v[64:65]
	s_delay_alu instid0(VALU_DEP_1) | instskip(SKIP_1) | instid1(VALU_DEP_2)
	v_fma_f64 v[68:69], v[10:11], v[62:63], -v[68:69]
	v_mul_f64_e32 v[10:11], v[10:11], v[64:65]
	v_add_f64_e32 v[2:3], v[2:3], v[68:69]
	s_delay_alu instid0(VALU_DEP_2) | instskip(NEXT) | instid1(VALU_DEP_1)
	v_fmac_f64_e32 v[10:11], v[12:13], v[62:63]
	v_add_f64_e32 v[70:71], v[10:11], v[8:9]
	ds_load_b128 v[8:11], v79 offset:8288
	s_wait_dscnt 0x0
	v_mul_f64_e32 v[12:13], v[10:11], v[60:61]
	v_mul_f64_e32 v[60:61], v[8:9], v[60:61]
	s_delay_alu instid0(VALU_DEP_2) | instskip(NEXT) | instid1(VALU_DEP_2)
	v_fma_f64 v[12:13], v[8:9], v[58:59], -v[12:13]
	v_fmac_f64_e32 v[60:61], v[10:11], v[58:59]
	s_delay_alu instid0(VALU_DEP_2) | instskip(SKIP_1) | instid1(VALU_DEP_3)
	v_add_f64_e32 v[14:15], v[14:15], v[12:13]
	v_mul_f64_e32 v[12:13], v[10:11], v[64:65]
	v_add_f64_e32 v[16:17], v[60:61], v[16:17]
	s_delay_alu instid0(VALU_DEP_2) | instskip(SKIP_1) | instid1(VALU_DEP_1)
	v_fma_f64 v[12:13], v[8:9], v[62:63], -v[12:13]
	v_mul_f64_e32 v[8:9], v[8:9], v[64:65]
	v_fmac_f64_e32 v[8:9], v[10:11], v[62:63]
	ds_load_b128 v[58:61], v79 offset:112
	ds_load_b128 v[62:65], v81 offset:3584
	v_add_f64_e32 v[10:11], v[22:23], v[12:13]
	s_wait_dscnt 0x0
	v_mul_f64_e32 v[22:23], v[58:59], v[64:65]
	v_add_f64_e32 v[12:13], v[8:9], v[66:67]
	v_mul_f64_e32 v[8:9], v[60:61], v[64:65]
	ds_load_b128 v[66:69], v81 offset:3840
	v_fmac_f64_e32 v[22:23], v[60:61], v[62:63]
	v_fma_f64 v[8:9], v[58:59], v[62:63], -v[8:9]
	s_delay_alu instid0(VALU_DEP_2) | instskip(SKIP_2) | instid1(VALU_DEP_3)
	v_add_f64_e32 v[20:21], v[22:23], v[20:21]
	s_wait_dscnt 0x0
	v_mul_f64_e32 v[22:23], v[58:59], v[68:69]
	v_add_f64_e32 v[18:19], v[18:19], v[8:9]
	v_mul_f64_e32 v[8:9], v[60:61], v[68:69]
	s_delay_alu instid0(VALU_DEP_3) | instskip(NEXT) | instid1(VALU_DEP_2)
	v_fmac_f64_e32 v[22:23], v[60:61], v[66:67]
	v_fma_f64 v[8:9], v[58:59], v[66:67], -v[8:9]
	ds_load_b128 v[58:61], v79 offset:8304
	v_add_f64_e32 v[2:3], v[2:3], v[8:9]
	v_add_f64_e32 v[8:9], v[22:23], v[70:71]
	s_wait_dscnt 0x0
	v_mul_f64_e32 v[22:23], v[60:61], v[64:65]
	v_mul_f64_e32 v[64:65], v[58:59], v[64:65]
	s_delay_alu instid0(VALU_DEP_2) | instskip(NEXT) | instid1(VALU_DEP_2)
	v_fma_f64 v[22:23], v[58:59], v[62:63], -v[22:23]
	v_fmac_f64_e32 v[64:65], v[60:61], v[62:63]
	s_delay_alu instid0(VALU_DEP_2) | instskip(SKIP_1) | instid1(VALU_DEP_3)
	v_add_f64_e32 v[14:15], v[14:15], v[22:23]
	v_mul_f64_e32 v[22:23], v[60:61], v[68:69]
	v_add_f64_e32 v[16:17], v[64:65], v[16:17]
	s_delay_alu instid0(VALU_DEP_2) | instskip(SKIP_1) | instid1(VALU_DEP_2)
	v_fma_f64 v[22:23], v[58:59], v[66:67], -v[22:23]
	v_mul_f64_e32 v[58:59], v[58:59], v[68:69]
	v_add_f64_e32 v[22:23], v[10:11], v[22:23]
	s_delay_alu instid0(VALU_DEP_2) | instskip(NEXT) | instid1(VALU_DEP_1)
	v_fmac_f64_e32 v[58:59], v[60:61], v[66:67]
	v_add_f64_e32 v[66:67], v[58:59], v[12:13]
	ds_load_b128 v[10:13], v79 offset:128
	ds_load_b128 v[58:61], v81 offset:4096
	s_wait_dscnt 0x0
	v_mul_f64_e32 v[62:63], v[12:13], v[60:61]
	v_mul_f64_e32 v[64:65], v[10:11], v[60:61]
	s_delay_alu instid0(VALU_DEP_2) | instskip(NEXT) | instid1(VALU_DEP_2)
	v_fma_f64 v[62:63], v[10:11], v[58:59], -v[62:63]
	v_fmac_f64_e32 v[64:65], v[12:13], v[58:59]
	s_delay_alu instid0(VALU_DEP_2) | instskip(NEXT) | instid1(VALU_DEP_2)
	v_add_f64_e32 v[18:19], v[18:19], v[62:63]
	v_add_f64_e32 v[20:21], v[64:65], v[20:21]
	ds_load_b128 v[62:65], v81 offset:4352
	s_wait_dscnt 0x0
	v_mul_f64_e32 v[68:69], v[12:13], v[64:65]
	s_delay_alu instid0(VALU_DEP_1) | instskip(SKIP_1) | instid1(VALU_DEP_2)
	v_fma_f64 v[68:69], v[10:11], v[62:63], -v[68:69]
	v_mul_f64_e32 v[10:11], v[10:11], v[64:65]
	v_add_f64_e32 v[2:3], v[2:3], v[68:69]
	s_delay_alu instid0(VALU_DEP_2) | instskip(NEXT) | instid1(VALU_DEP_1)
	v_fmac_f64_e32 v[10:11], v[12:13], v[62:63]
	v_add_f64_e32 v[70:71], v[10:11], v[8:9]
	ds_load_b128 v[8:11], v79 offset:8320
	s_wait_dscnt 0x0
	v_mul_f64_e32 v[12:13], v[10:11], v[60:61]
	v_mul_f64_e32 v[60:61], v[8:9], v[60:61]
	s_delay_alu instid0(VALU_DEP_2) | instskip(NEXT) | instid1(VALU_DEP_2)
	v_fma_f64 v[12:13], v[8:9], v[58:59], -v[12:13]
	v_fmac_f64_e32 v[60:61], v[10:11], v[58:59]
	s_delay_alu instid0(VALU_DEP_2) | instskip(SKIP_1) | instid1(VALU_DEP_3)
	v_add_f64_e32 v[14:15], v[14:15], v[12:13]
	v_mul_f64_e32 v[12:13], v[10:11], v[64:65]
	v_add_f64_e32 v[16:17], v[60:61], v[16:17]
	s_delay_alu instid0(VALU_DEP_2) | instskip(SKIP_1) | instid1(VALU_DEP_1)
	v_fma_f64 v[12:13], v[8:9], v[62:63], -v[12:13]
	v_mul_f64_e32 v[8:9], v[8:9], v[64:65]
	v_fmac_f64_e32 v[8:9], v[10:11], v[62:63]
	ds_load_b128 v[58:61], v79 offset:144
	ds_load_b128 v[62:65], v81 offset:4608
	v_add_f64_e32 v[10:11], v[22:23], v[12:13]
	s_wait_dscnt 0x0
	v_mul_f64_e32 v[22:23], v[58:59], v[64:65]
	v_add_f64_e32 v[12:13], v[8:9], v[66:67]
	v_mul_f64_e32 v[8:9], v[60:61], v[64:65]
	ds_load_b128 v[66:69], v81 offset:4864
	v_fmac_f64_e32 v[22:23], v[60:61], v[62:63]
	v_fma_f64 v[8:9], v[58:59], v[62:63], -v[8:9]
	s_delay_alu instid0(VALU_DEP_2) | instskip(SKIP_2) | instid1(VALU_DEP_3)
	v_add_f64_e32 v[20:21], v[22:23], v[20:21]
	s_wait_dscnt 0x0
	v_mul_f64_e32 v[22:23], v[58:59], v[68:69]
	v_add_f64_e32 v[18:19], v[18:19], v[8:9]
	v_mul_f64_e32 v[8:9], v[60:61], v[68:69]
	s_delay_alu instid0(VALU_DEP_3) | instskip(NEXT) | instid1(VALU_DEP_2)
	v_fmac_f64_e32 v[22:23], v[60:61], v[66:67]
	v_fma_f64 v[8:9], v[58:59], v[66:67], -v[8:9]
	ds_load_b128 v[58:61], v79 offset:8336
	v_add_f64_e32 v[2:3], v[2:3], v[8:9]
	v_add_f64_e32 v[8:9], v[22:23], v[70:71]
	s_wait_dscnt 0x0
	v_mul_f64_e32 v[22:23], v[60:61], v[64:65]
	v_mul_f64_e32 v[64:65], v[58:59], v[64:65]
	s_delay_alu instid0(VALU_DEP_2) | instskip(NEXT) | instid1(VALU_DEP_2)
	v_fma_f64 v[22:23], v[58:59], v[62:63], -v[22:23]
	v_fmac_f64_e32 v[64:65], v[60:61], v[62:63]
	s_delay_alu instid0(VALU_DEP_2) | instskip(SKIP_1) | instid1(VALU_DEP_3)
	v_add_f64_e32 v[14:15], v[14:15], v[22:23]
	v_mul_f64_e32 v[22:23], v[60:61], v[68:69]
	v_add_f64_e32 v[16:17], v[64:65], v[16:17]
	s_delay_alu instid0(VALU_DEP_2) | instskip(SKIP_1) | instid1(VALU_DEP_2)
	v_fma_f64 v[22:23], v[58:59], v[66:67], -v[22:23]
	v_mul_f64_e32 v[58:59], v[58:59], v[68:69]
	v_add_f64_e32 v[22:23], v[10:11], v[22:23]
	s_delay_alu instid0(VALU_DEP_2) | instskip(NEXT) | instid1(VALU_DEP_1)
	v_fmac_f64_e32 v[58:59], v[60:61], v[66:67]
	v_add_f64_e32 v[66:67], v[58:59], v[12:13]
	ds_load_b128 v[10:13], v79 offset:160
	ds_load_b128 v[58:61], v81 offset:5120
	s_wait_dscnt 0x0
	v_mul_f64_e32 v[62:63], v[12:13], v[60:61]
	v_mul_f64_e32 v[64:65], v[10:11], v[60:61]
	s_delay_alu instid0(VALU_DEP_2) | instskip(NEXT) | instid1(VALU_DEP_2)
	v_fma_f64 v[62:63], v[10:11], v[58:59], -v[62:63]
	v_fmac_f64_e32 v[64:65], v[12:13], v[58:59]
	s_delay_alu instid0(VALU_DEP_2) | instskip(NEXT) | instid1(VALU_DEP_2)
	v_add_f64_e32 v[18:19], v[18:19], v[62:63]
	v_add_f64_e32 v[20:21], v[64:65], v[20:21]
	ds_load_b128 v[62:65], v81 offset:5376
	s_wait_dscnt 0x0
	v_mul_f64_e32 v[68:69], v[12:13], v[64:65]
	s_delay_alu instid0(VALU_DEP_1) | instskip(SKIP_1) | instid1(VALU_DEP_2)
	v_fma_f64 v[68:69], v[10:11], v[62:63], -v[68:69]
	v_mul_f64_e32 v[10:11], v[10:11], v[64:65]
	v_add_f64_e32 v[2:3], v[2:3], v[68:69]
	s_delay_alu instid0(VALU_DEP_2) | instskip(NEXT) | instid1(VALU_DEP_1)
	v_fmac_f64_e32 v[10:11], v[12:13], v[62:63]
	v_add_f64_e32 v[70:71], v[10:11], v[8:9]
	ds_load_b128 v[8:11], v79 offset:8352
	s_wait_dscnt 0x0
	v_mul_f64_e32 v[12:13], v[10:11], v[60:61]
	v_mul_f64_e32 v[60:61], v[8:9], v[60:61]
	s_delay_alu instid0(VALU_DEP_2) | instskip(NEXT) | instid1(VALU_DEP_2)
	v_fma_f64 v[12:13], v[8:9], v[58:59], -v[12:13]
	v_fmac_f64_e32 v[60:61], v[10:11], v[58:59]
	s_delay_alu instid0(VALU_DEP_2) | instskip(SKIP_1) | instid1(VALU_DEP_3)
	v_add_f64_e32 v[14:15], v[14:15], v[12:13]
	v_mul_f64_e32 v[12:13], v[10:11], v[64:65]
	v_add_f64_e32 v[16:17], v[60:61], v[16:17]
	s_delay_alu instid0(VALU_DEP_2) | instskip(SKIP_1) | instid1(VALU_DEP_1)
	v_fma_f64 v[12:13], v[8:9], v[62:63], -v[12:13]
	v_mul_f64_e32 v[8:9], v[8:9], v[64:65]
	v_fmac_f64_e32 v[8:9], v[10:11], v[62:63]
	ds_load_b128 v[58:61], v79 offset:176
	ds_load_b128 v[62:65], v81 offset:5632
	v_add_f64_e32 v[10:11], v[22:23], v[12:13]
	s_wait_dscnt 0x0
	v_mul_f64_e32 v[22:23], v[58:59], v[64:65]
	v_add_f64_e32 v[12:13], v[8:9], v[66:67]
	v_mul_f64_e32 v[8:9], v[60:61], v[64:65]
	ds_load_b128 v[66:69], v81 offset:5888
	v_fmac_f64_e32 v[22:23], v[60:61], v[62:63]
	v_fma_f64 v[8:9], v[58:59], v[62:63], -v[8:9]
	s_delay_alu instid0(VALU_DEP_2) | instskip(SKIP_2) | instid1(VALU_DEP_3)
	v_add_f64_e32 v[20:21], v[22:23], v[20:21]
	s_wait_dscnt 0x0
	v_mul_f64_e32 v[22:23], v[58:59], v[68:69]
	v_add_f64_e32 v[18:19], v[18:19], v[8:9]
	v_mul_f64_e32 v[8:9], v[60:61], v[68:69]
	s_delay_alu instid0(VALU_DEP_3) | instskip(NEXT) | instid1(VALU_DEP_2)
	v_fmac_f64_e32 v[22:23], v[60:61], v[66:67]
	v_fma_f64 v[8:9], v[58:59], v[66:67], -v[8:9]
	ds_load_b128 v[58:61], v79 offset:8368
	v_add_f64_e32 v[2:3], v[2:3], v[8:9]
	v_add_f64_e32 v[8:9], v[22:23], v[70:71]
	s_wait_dscnt 0x0
	v_mul_f64_e32 v[22:23], v[60:61], v[64:65]
	v_mul_f64_e32 v[64:65], v[58:59], v[64:65]
	s_delay_alu instid0(VALU_DEP_2) | instskip(NEXT) | instid1(VALU_DEP_2)
	v_fma_f64 v[22:23], v[58:59], v[62:63], -v[22:23]
	v_fmac_f64_e32 v[64:65], v[60:61], v[62:63]
	s_delay_alu instid0(VALU_DEP_2) | instskip(SKIP_1) | instid1(VALU_DEP_3)
	v_add_f64_e32 v[14:15], v[14:15], v[22:23]
	v_mul_f64_e32 v[22:23], v[60:61], v[68:69]
	v_add_f64_e32 v[16:17], v[64:65], v[16:17]
	s_delay_alu instid0(VALU_DEP_2) | instskip(SKIP_1) | instid1(VALU_DEP_2)
	v_fma_f64 v[22:23], v[58:59], v[66:67], -v[22:23]
	v_mul_f64_e32 v[58:59], v[58:59], v[68:69]
	v_add_f64_e32 v[22:23], v[10:11], v[22:23]
	s_delay_alu instid0(VALU_DEP_2) | instskip(NEXT) | instid1(VALU_DEP_1)
	v_fmac_f64_e32 v[58:59], v[60:61], v[66:67]
	v_add_f64_e32 v[66:67], v[58:59], v[12:13]
	ds_load_b128 v[10:13], v79 offset:192
	ds_load_b128 v[58:61], v81 offset:6144
	s_wait_dscnt 0x0
	v_mul_f64_e32 v[62:63], v[12:13], v[60:61]
	v_mul_f64_e32 v[64:65], v[10:11], v[60:61]
	s_delay_alu instid0(VALU_DEP_2) | instskip(NEXT) | instid1(VALU_DEP_2)
	v_fma_f64 v[62:63], v[10:11], v[58:59], -v[62:63]
	v_fmac_f64_e32 v[64:65], v[12:13], v[58:59]
	s_delay_alu instid0(VALU_DEP_2) | instskip(NEXT) | instid1(VALU_DEP_2)
	v_add_f64_e32 v[18:19], v[18:19], v[62:63]
	v_add_f64_e32 v[20:21], v[64:65], v[20:21]
	ds_load_b128 v[62:65], v81 offset:6400
	s_wait_dscnt 0x0
	v_mul_f64_e32 v[68:69], v[12:13], v[64:65]
	s_delay_alu instid0(VALU_DEP_1) | instskip(SKIP_1) | instid1(VALU_DEP_2)
	v_fma_f64 v[68:69], v[10:11], v[62:63], -v[68:69]
	v_mul_f64_e32 v[10:11], v[10:11], v[64:65]
	v_add_f64_e32 v[2:3], v[2:3], v[68:69]
	s_delay_alu instid0(VALU_DEP_2) | instskip(NEXT) | instid1(VALU_DEP_1)
	v_fmac_f64_e32 v[10:11], v[12:13], v[62:63]
	v_add_f64_e32 v[70:71], v[10:11], v[8:9]
	ds_load_b128 v[8:11], v79 offset:8384
	s_wait_dscnt 0x0
	v_mul_f64_e32 v[12:13], v[10:11], v[60:61]
	v_mul_f64_e32 v[60:61], v[8:9], v[60:61]
	s_delay_alu instid0(VALU_DEP_2) | instskip(NEXT) | instid1(VALU_DEP_2)
	v_fma_f64 v[12:13], v[8:9], v[58:59], -v[12:13]
	v_fmac_f64_e32 v[60:61], v[10:11], v[58:59]
	s_delay_alu instid0(VALU_DEP_2) | instskip(SKIP_1) | instid1(VALU_DEP_3)
	v_add_f64_e32 v[14:15], v[14:15], v[12:13]
	v_mul_f64_e32 v[12:13], v[10:11], v[64:65]
	v_add_f64_e32 v[16:17], v[60:61], v[16:17]
	s_delay_alu instid0(VALU_DEP_2) | instskip(SKIP_1) | instid1(VALU_DEP_1)
	v_fma_f64 v[12:13], v[8:9], v[62:63], -v[12:13]
	v_mul_f64_e32 v[8:9], v[8:9], v[64:65]
	v_fmac_f64_e32 v[8:9], v[10:11], v[62:63]
	ds_load_b128 v[58:61], v79 offset:208
	ds_load_b128 v[62:65], v81 offset:6656
	v_add_f64_e32 v[10:11], v[22:23], v[12:13]
	s_wait_dscnt 0x0
	v_mul_f64_e32 v[22:23], v[58:59], v[64:65]
	v_add_f64_e32 v[12:13], v[8:9], v[66:67]
	v_mul_f64_e32 v[8:9], v[60:61], v[64:65]
	ds_load_b128 v[66:69], v81 offset:6912
	v_fmac_f64_e32 v[22:23], v[60:61], v[62:63]
	v_fma_f64 v[8:9], v[58:59], v[62:63], -v[8:9]
	s_delay_alu instid0(VALU_DEP_2) | instskip(SKIP_2) | instid1(VALU_DEP_3)
	v_add_f64_e32 v[20:21], v[22:23], v[20:21]
	s_wait_dscnt 0x0
	v_mul_f64_e32 v[22:23], v[58:59], v[68:69]
	v_add_f64_e32 v[18:19], v[18:19], v[8:9]
	v_mul_f64_e32 v[8:9], v[60:61], v[68:69]
	s_delay_alu instid0(VALU_DEP_3) | instskip(NEXT) | instid1(VALU_DEP_2)
	v_fmac_f64_e32 v[22:23], v[60:61], v[66:67]
	v_fma_f64 v[8:9], v[58:59], v[66:67], -v[8:9]
	ds_load_b128 v[58:61], v79 offset:8400
	v_add_f64_e32 v[2:3], v[2:3], v[8:9]
	v_add_f64_e32 v[8:9], v[22:23], v[70:71]
	s_wait_dscnt 0x0
	v_mul_f64_e32 v[22:23], v[60:61], v[64:65]
	v_mul_f64_e32 v[64:65], v[58:59], v[64:65]
	s_delay_alu instid0(VALU_DEP_2) | instskip(NEXT) | instid1(VALU_DEP_2)
	v_fma_f64 v[22:23], v[58:59], v[62:63], -v[22:23]
	v_fmac_f64_e32 v[64:65], v[60:61], v[62:63]
	s_delay_alu instid0(VALU_DEP_2) | instskip(SKIP_1) | instid1(VALU_DEP_3)
	v_add_f64_e32 v[14:15], v[14:15], v[22:23]
	v_mul_f64_e32 v[22:23], v[60:61], v[68:69]
	v_add_f64_e32 v[16:17], v[64:65], v[16:17]
	s_delay_alu instid0(VALU_DEP_2) | instskip(SKIP_1) | instid1(VALU_DEP_2)
	v_fma_f64 v[22:23], v[58:59], v[66:67], -v[22:23]
	v_mul_f64_e32 v[58:59], v[58:59], v[68:69]
	v_add_f64_e32 v[22:23], v[10:11], v[22:23]
	s_delay_alu instid0(VALU_DEP_2) | instskip(NEXT) | instid1(VALU_DEP_1)
	v_fmac_f64_e32 v[58:59], v[60:61], v[66:67]
	v_add_f64_e32 v[66:67], v[58:59], v[12:13]
	ds_load_b128 v[10:13], v79 offset:224
	ds_load_b128 v[58:61], v81 offset:7168
	s_wait_dscnt 0x0
	v_mul_f64_e32 v[62:63], v[12:13], v[60:61]
	v_mul_f64_e32 v[64:65], v[10:11], v[60:61]
	s_delay_alu instid0(VALU_DEP_2) | instskip(NEXT) | instid1(VALU_DEP_2)
	v_fma_f64 v[62:63], v[10:11], v[58:59], -v[62:63]
	v_fmac_f64_e32 v[64:65], v[12:13], v[58:59]
	s_delay_alu instid0(VALU_DEP_2) | instskip(NEXT) | instid1(VALU_DEP_2)
	v_add_f64_e32 v[18:19], v[18:19], v[62:63]
	v_add_f64_e32 v[20:21], v[64:65], v[20:21]
	ds_load_b128 v[62:65], v81 offset:7424
	s_wait_dscnt 0x0
	v_mul_f64_e32 v[68:69], v[12:13], v[64:65]
	s_delay_alu instid0(VALU_DEP_1) | instskip(SKIP_1) | instid1(VALU_DEP_2)
	v_fma_f64 v[68:69], v[10:11], v[62:63], -v[68:69]
	v_mul_f64_e32 v[10:11], v[10:11], v[64:65]
	v_add_f64_e32 v[2:3], v[2:3], v[68:69]
	s_delay_alu instid0(VALU_DEP_2) | instskip(NEXT) | instid1(VALU_DEP_1)
	v_fmac_f64_e32 v[10:11], v[12:13], v[62:63]
	v_add_f64_e32 v[70:71], v[10:11], v[8:9]
	ds_load_b128 v[8:11], v79 offset:8416
	s_wait_dscnt 0x0
	v_mul_f64_e32 v[12:13], v[10:11], v[60:61]
	v_mul_f64_e32 v[60:61], v[8:9], v[60:61]
	s_delay_alu instid0(VALU_DEP_2) | instskip(NEXT) | instid1(VALU_DEP_2)
	v_fma_f64 v[12:13], v[8:9], v[58:59], -v[12:13]
	v_fmac_f64_e32 v[60:61], v[10:11], v[58:59]
	s_delay_alu instid0(VALU_DEP_2) | instskip(SKIP_1) | instid1(VALU_DEP_3)
	v_add_f64_e32 v[14:15], v[14:15], v[12:13]
	v_mul_f64_e32 v[12:13], v[10:11], v[64:65]
	v_add_f64_e32 v[16:17], v[60:61], v[16:17]
	s_delay_alu instid0(VALU_DEP_2) | instskip(SKIP_1) | instid1(VALU_DEP_1)
	v_fma_f64 v[12:13], v[8:9], v[62:63], -v[12:13]
	v_mul_f64_e32 v[8:9], v[8:9], v[64:65]
	v_fmac_f64_e32 v[8:9], v[10:11], v[62:63]
	ds_load_b128 v[58:61], v79 offset:240
	ds_load_b128 v[62:65], v81 offset:7680
	v_add_f64_e32 v[10:11], v[22:23], v[12:13]
	s_wait_dscnt 0x0
	v_mul_f64_e32 v[22:23], v[58:59], v[64:65]
	v_add_f64_e32 v[12:13], v[8:9], v[66:67]
	v_mul_f64_e32 v[8:9], v[60:61], v[64:65]
	ds_load_b128 v[66:69], v81 offset:7936
	v_fmac_f64_e32 v[22:23], v[60:61], v[62:63]
	v_fma_f64 v[8:9], v[58:59], v[62:63], -v[8:9]
	s_delay_alu instid0(VALU_DEP_2) | instskip(SKIP_2) | instid1(VALU_DEP_3)
	v_add_f64_e32 v[20:21], v[22:23], v[20:21]
	s_wait_dscnt 0x0
	v_mul_f64_e32 v[22:23], v[58:59], v[68:69]
	v_add_f64_e32 v[18:19], v[18:19], v[8:9]
	v_mul_f64_e32 v[8:9], v[60:61], v[68:69]
	s_delay_alu instid0(VALU_DEP_3) | instskip(NEXT) | instid1(VALU_DEP_2)
	v_fmac_f64_e32 v[22:23], v[60:61], v[66:67]
	v_fma_f64 v[8:9], v[58:59], v[66:67], -v[8:9]
	ds_load_b128 v[58:61], v79 offset:8432
	v_add_f64_e32 v[2:3], v[2:3], v[8:9]
	v_add_f64_e32 v[8:9], v[22:23], v[70:71]
	s_wait_dscnt 0x0
	v_mul_f64_e32 v[22:23], v[60:61], v[64:65]
	v_mul_f64_e32 v[64:65], v[58:59], v[64:65]
	s_delay_alu instid0(VALU_DEP_2) | instskip(NEXT) | instid1(VALU_DEP_2)
	v_fma_f64 v[22:23], v[58:59], v[62:63], -v[22:23]
	v_fmac_f64_e32 v[64:65], v[60:61], v[62:63]
	s_delay_alu instid0(VALU_DEP_2) | instskip(SKIP_1) | instid1(VALU_DEP_3)
	v_add_f64_e32 v[14:15], v[14:15], v[22:23]
	v_mul_f64_e32 v[22:23], v[60:61], v[68:69]
	v_add_f64_e32 v[16:17], v[64:65], v[16:17]
	s_delay_alu instid0(VALU_DEP_2) | instskip(SKIP_1) | instid1(VALU_DEP_2)
	v_fma_f64 v[22:23], v[58:59], v[66:67], -v[22:23]
	v_mul_f64_e32 v[58:59], v[58:59], v[68:69]
	v_add_f64_e32 v[22:23], v[10:11], v[22:23]
	s_delay_alu instid0(VALU_DEP_2) | instskip(NEXT) | instid1(VALU_DEP_1)
	v_fmac_f64_e32 v[58:59], v[60:61], v[66:67]
	v_add_f64_e32 v[66:67], v[58:59], v[12:13]
	ds_load_b128 v[10:13], v79 offset:256
	ds_load_b128 v[58:61], v81 offset:8192
	s_wait_dscnt 0x0
	v_mul_f64_e32 v[62:63], v[12:13], v[60:61]
	v_mul_f64_e32 v[64:65], v[10:11], v[60:61]
	s_delay_alu instid0(VALU_DEP_2) | instskip(NEXT) | instid1(VALU_DEP_2)
	v_fma_f64 v[62:63], v[10:11], v[58:59], -v[62:63]
	v_fmac_f64_e32 v[64:65], v[12:13], v[58:59]
	s_delay_alu instid0(VALU_DEP_2) | instskip(NEXT) | instid1(VALU_DEP_2)
	v_add_f64_e32 v[18:19], v[18:19], v[62:63]
	v_add_f64_e32 v[20:21], v[64:65], v[20:21]
	ds_load_b128 v[62:65], v81 offset:8448
	s_wait_dscnt 0x0
	v_mul_f64_e32 v[68:69], v[12:13], v[64:65]
	s_delay_alu instid0(VALU_DEP_1) | instskip(SKIP_1) | instid1(VALU_DEP_2)
	v_fma_f64 v[68:69], v[10:11], v[62:63], -v[68:69]
	v_mul_f64_e32 v[10:11], v[10:11], v[64:65]
	v_add_f64_e32 v[2:3], v[2:3], v[68:69]
	s_delay_alu instid0(VALU_DEP_2) | instskip(NEXT) | instid1(VALU_DEP_1)
	v_fmac_f64_e32 v[10:11], v[12:13], v[62:63]
	v_add_f64_e32 v[70:71], v[10:11], v[8:9]
	ds_load_b128 v[8:11], v79 offset:8448
	s_wait_dscnt 0x0
	v_mul_f64_e32 v[12:13], v[10:11], v[60:61]
	v_mul_f64_e32 v[60:61], v[8:9], v[60:61]
	s_delay_alu instid0(VALU_DEP_2) | instskip(NEXT) | instid1(VALU_DEP_2)
	v_fma_f64 v[12:13], v[8:9], v[58:59], -v[12:13]
	v_fmac_f64_e32 v[60:61], v[10:11], v[58:59]
	s_delay_alu instid0(VALU_DEP_2) | instskip(SKIP_1) | instid1(VALU_DEP_3)
	v_add_f64_e32 v[14:15], v[14:15], v[12:13]
	v_mul_f64_e32 v[12:13], v[10:11], v[64:65]
	v_add_f64_e32 v[16:17], v[60:61], v[16:17]
	s_delay_alu instid0(VALU_DEP_2) | instskip(SKIP_1) | instid1(VALU_DEP_1)
	v_fma_f64 v[12:13], v[8:9], v[62:63], -v[12:13]
	v_mul_f64_e32 v[8:9], v[8:9], v[64:65]
	v_fmac_f64_e32 v[8:9], v[10:11], v[62:63]
	ds_load_b128 v[58:61], v79 offset:272
	ds_load_b128 v[62:65], v81 offset:8704
	v_add_f64_e32 v[10:11], v[22:23], v[12:13]
	s_wait_dscnt 0x0
	v_mul_f64_e32 v[22:23], v[58:59], v[64:65]
	v_add_f64_e32 v[12:13], v[8:9], v[66:67]
	v_mul_f64_e32 v[8:9], v[60:61], v[64:65]
	ds_load_b128 v[66:69], v81 offset:8960
	v_fmac_f64_e32 v[22:23], v[60:61], v[62:63]
	v_fma_f64 v[8:9], v[58:59], v[62:63], -v[8:9]
	s_delay_alu instid0(VALU_DEP_2) | instskip(SKIP_2) | instid1(VALU_DEP_3)
	v_add_f64_e32 v[20:21], v[22:23], v[20:21]
	s_wait_dscnt 0x0
	v_mul_f64_e32 v[22:23], v[58:59], v[68:69]
	v_add_f64_e32 v[18:19], v[18:19], v[8:9]
	v_mul_f64_e32 v[8:9], v[60:61], v[68:69]
	s_delay_alu instid0(VALU_DEP_3) | instskip(NEXT) | instid1(VALU_DEP_2)
	v_fmac_f64_e32 v[22:23], v[60:61], v[66:67]
	v_fma_f64 v[8:9], v[58:59], v[66:67], -v[8:9]
	ds_load_b128 v[58:61], v79 offset:8464
	v_add_f64_e32 v[2:3], v[2:3], v[8:9]
	v_add_f64_e32 v[8:9], v[22:23], v[70:71]
	s_wait_dscnt 0x0
	v_mul_f64_e32 v[22:23], v[60:61], v[64:65]
	v_mul_f64_e32 v[64:65], v[58:59], v[64:65]
	s_delay_alu instid0(VALU_DEP_2) | instskip(NEXT) | instid1(VALU_DEP_2)
	v_fma_f64 v[22:23], v[58:59], v[62:63], -v[22:23]
	v_fmac_f64_e32 v[64:65], v[60:61], v[62:63]
	s_delay_alu instid0(VALU_DEP_2) | instskip(SKIP_1) | instid1(VALU_DEP_3)
	v_add_f64_e32 v[14:15], v[14:15], v[22:23]
	v_mul_f64_e32 v[22:23], v[60:61], v[68:69]
	v_add_f64_e32 v[16:17], v[64:65], v[16:17]
	s_delay_alu instid0(VALU_DEP_2) | instskip(SKIP_1) | instid1(VALU_DEP_2)
	v_fma_f64 v[22:23], v[58:59], v[66:67], -v[22:23]
	v_mul_f64_e32 v[58:59], v[58:59], v[68:69]
	v_add_f64_e32 v[22:23], v[10:11], v[22:23]
	s_delay_alu instid0(VALU_DEP_2) | instskip(NEXT) | instid1(VALU_DEP_1)
	v_fmac_f64_e32 v[58:59], v[60:61], v[66:67]
	v_add_f64_e32 v[66:67], v[58:59], v[12:13]
	ds_load_b128 v[10:13], v79 offset:288
	ds_load_b128 v[58:61], v81 offset:9216
	s_wait_dscnt 0x0
	v_mul_f64_e32 v[62:63], v[12:13], v[60:61]
	v_mul_f64_e32 v[64:65], v[10:11], v[60:61]
	s_delay_alu instid0(VALU_DEP_2) | instskip(NEXT) | instid1(VALU_DEP_2)
	v_fma_f64 v[62:63], v[10:11], v[58:59], -v[62:63]
	v_fmac_f64_e32 v[64:65], v[12:13], v[58:59]
	s_delay_alu instid0(VALU_DEP_2) | instskip(NEXT) | instid1(VALU_DEP_2)
	v_add_f64_e32 v[18:19], v[18:19], v[62:63]
	v_add_f64_e32 v[20:21], v[64:65], v[20:21]
	ds_load_b128 v[62:65], v81 offset:9472
	s_wait_dscnt 0x0
	v_mul_f64_e32 v[68:69], v[12:13], v[64:65]
	s_delay_alu instid0(VALU_DEP_1) | instskip(SKIP_1) | instid1(VALU_DEP_2)
	v_fma_f64 v[68:69], v[10:11], v[62:63], -v[68:69]
	v_mul_f64_e32 v[10:11], v[10:11], v[64:65]
	v_add_f64_e32 v[2:3], v[2:3], v[68:69]
	s_delay_alu instid0(VALU_DEP_2) | instskip(NEXT) | instid1(VALU_DEP_1)
	v_fmac_f64_e32 v[10:11], v[12:13], v[62:63]
	v_add_f64_e32 v[70:71], v[10:11], v[8:9]
	ds_load_b128 v[8:11], v79 offset:8480
	s_wait_dscnt 0x0
	v_mul_f64_e32 v[12:13], v[10:11], v[60:61]
	v_mul_f64_e32 v[60:61], v[8:9], v[60:61]
	s_delay_alu instid0(VALU_DEP_2) | instskip(NEXT) | instid1(VALU_DEP_2)
	v_fma_f64 v[12:13], v[8:9], v[58:59], -v[12:13]
	v_fmac_f64_e32 v[60:61], v[10:11], v[58:59]
	s_delay_alu instid0(VALU_DEP_2) | instskip(SKIP_1) | instid1(VALU_DEP_3)
	v_add_f64_e32 v[14:15], v[14:15], v[12:13]
	v_mul_f64_e32 v[12:13], v[10:11], v[64:65]
	v_add_f64_e32 v[16:17], v[60:61], v[16:17]
	s_delay_alu instid0(VALU_DEP_2) | instskip(SKIP_1) | instid1(VALU_DEP_1)
	v_fma_f64 v[12:13], v[8:9], v[62:63], -v[12:13]
	v_mul_f64_e32 v[8:9], v[8:9], v[64:65]
	v_fmac_f64_e32 v[8:9], v[10:11], v[62:63]
	ds_load_b128 v[58:61], v79 offset:304
	ds_load_b128 v[62:65], v81 offset:9728
	v_add_f64_e32 v[10:11], v[22:23], v[12:13]
	s_wait_dscnt 0x0
	v_mul_f64_e32 v[22:23], v[58:59], v[64:65]
	v_add_f64_e32 v[12:13], v[8:9], v[66:67]
	v_mul_f64_e32 v[8:9], v[60:61], v[64:65]
	ds_load_b128 v[66:69], v81 offset:9984
	v_fmac_f64_e32 v[22:23], v[60:61], v[62:63]
	v_fma_f64 v[8:9], v[58:59], v[62:63], -v[8:9]
	s_delay_alu instid0(VALU_DEP_2) | instskip(SKIP_2) | instid1(VALU_DEP_3)
	v_add_f64_e32 v[20:21], v[22:23], v[20:21]
	s_wait_dscnt 0x0
	v_mul_f64_e32 v[22:23], v[58:59], v[68:69]
	v_add_f64_e32 v[18:19], v[18:19], v[8:9]
	v_mul_f64_e32 v[8:9], v[60:61], v[68:69]
	s_delay_alu instid0(VALU_DEP_3) | instskip(NEXT) | instid1(VALU_DEP_2)
	v_fmac_f64_e32 v[22:23], v[60:61], v[66:67]
	v_fma_f64 v[8:9], v[58:59], v[66:67], -v[8:9]
	ds_load_b128 v[58:61], v79 offset:8496
	v_add_f64_e32 v[2:3], v[2:3], v[8:9]
	v_add_f64_e32 v[8:9], v[22:23], v[70:71]
	s_wait_dscnt 0x0
	v_mul_f64_e32 v[22:23], v[60:61], v[64:65]
	v_mul_f64_e32 v[64:65], v[58:59], v[64:65]
	s_delay_alu instid0(VALU_DEP_2) | instskip(NEXT) | instid1(VALU_DEP_2)
	v_fma_f64 v[22:23], v[58:59], v[62:63], -v[22:23]
	v_fmac_f64_e32 v[64:65], v[60:61], v[62:63]
	s_delay_alu instid0(VALU_DEP_2) | instskip(SKIP_1) | instid1(VALU_DEP_3)
	v_add_f64_e32 v[14:15], v[14:15], v[22:23]
	v_mul_f64_e32 v[22:23], v[60:61], v[68:69]
	v_add_f64_e32 v[16:17], v[64:65], v[16:17]
	s_delay_alu instid0(VALU_DEP_2) | instskip(SKIP_1) | instid1(VALU_DEP_2)
	v_fma_f64 v[22:23], v[58:59], v[66:67], -v[22:23]
	v_mul_f64_e32 v[58:59], v[58:59], v[68:69]
	v_add_f64_e32 v[22:23], v[10:11], v[22:23]
	s_delay_alu instid0(VALU_DEP_2) | instskip(NEXT) | instid1(VALU_DEP_1)
	v_fmac_f64_e32 v[58:59], v[60:61], v[66:67]
	v_add_f64_e32 v[66:67], v[58:59], v[12:13]
	ds_load_b128 v[10:13], v79 offset:320
	ds_load_b128 v[58:61], v81 offset:10240
	s_wait_dscnt 0x0
	v_mul_f64_e32 v[62:63], v[12:13], v[60:61]
	v_mul_f64_e32 v[64:65], v[10:11], v[60:61]
	s_delay_alu instid0(VALU_DEP_2) | instskip(NEXT) | instid1(VALU_DEP_2)
	v_fma_f64 v[62:63], v[10:11], v[58:59], -v[62:63]
	v_fmac_f64_e32 v[64:65], v[12:13], v[58:59]
	s_delay_alu instid0(VALU_DEP_2) | instskip(NEXT) | instid1(VALU_DEP_2)
	v_add_f64_e32 v[18:19], v[18:19], v[62:63]
	v_add_f64_e32 v[20:21], v[64:65], v[20:21]
	ds_load_b128 v[62:65], v81 offset:10496
	s_wait_dscnt 0x0
	v_mul_f64_e32 v[68:69], v[12:13], v[64:65]
	s_delay_alu instid0(VALU_DEP_1) | instskip(SKIP_1) | instid1(VALU_DEP_2)
	v_fma_f64 v[68:69], v[10:11], v[62:63], -v[68:69]
	v_mul_f64_e32 v[10:11], v[10:11], v[64:65]
	v_add_f64_e32 v[2:3], v[2:3], v[68:69]
	s_delay_alu instid0(VALU_DEP_2) | instskip(NEXT) | instid1(VALU_DEP_1)
	v_fmac_f64_e32 v[10:11], v[12:13], v[62:63]
	v_add_f64_e32 v[70:71], v[10:11], v[8:9]
	ds_load_b128 v[8:11], v79 offset:8512
	s_wait_dscnt 0x0
	v_mul_f64_e32 v[12:13], v[10:11], v[60:61]
	v_mul_f64_e32 v[60:61], v[8:9], v[60:61]
	s_delay_alu instid0(VALU_DEP_2) | instskip(NEXT) | instid1(VALU_DEP_2)
	v_fma_f64 v[12:13], v[8:9], v[58:59], -v[12:13]
	v_fmac_f64_e32 v[60:61], v[10:11], v[58:59]
	s_delay_alu instid0(VALU_DEP_2) | instskip(SKIP_1) | instid1(VALU_DEP_3)
	v_add_f64_e32 v[14:15], v[14:15], v[12:13]
	v_mul_f64_e32 v[12:13], v[10:11], v[64:65]
	v_add_f64_e32 v[16:17], v[60:61], v[16:17]
	s_delay_alu instid0(VALU_DEP_2) | instskip(SKIP_1) | instid1(VALU_DEP_1)
	v_fma_f64 v[12:13], v[8:9], v[62:63], -v[12:13]
	v_mul_f64_e32 v[8:9], v[8:9], v[64:65]
	v_fmac_f64_e32 v[8:9], v[10:11], v[62:63]
	ds_load_b128 v[58:61], v79 offset:336
	ds_load_b128 v[62:65], v81 offset:10752
	v_add_f64_e32 v[10:11], v[22:23], v[12:13]
	s_wait_dscnt 0x0
	v_mul_f64_e32 v[22:23], v[58:59], v[64:65]
	v_add_f64_e32 v[12:13], v[8:9], v[66:67]
	v_mul_f64_e32 v[8:9], v[60:61], v[64:65]
	ds_load_b128 v[66:69], v81 offset:11008
	v_fmac_f64_e32 v[22:23], v[60:61], v[62:63]
	v_fma_f64 v[8:9], v[58:59], v[62:63], -v[8:9]
	s_delay_alu instid0(VALU_DEP_2) | instskip(SKIP_2) | instid1(VALU_DEP_3)
	v_add_f64_e32 v[20:21], v[22:23], v[20:21]
	s_wait_dscnt 0x0
	v_mul_f64_e32 v[22:23], v[58:59], v[68:69]
	v_add_f64_e32 v[18:19], v[18:19], v[8:9]
	v_mul_f64_e32 v[8:9], v[60:61], v[68:69]
	s_delay_alu instid0(VALU_DEP_3) | instskip(NEXT) | instid1(VALU_DEP_2)
	v_fmac_f64_e32 v[22:23], v[60:61], v[66:67]
	v_fma_f64 v[8:9], v[58:59], v[66:67], -v[8:9]
	ds_load_b128 v[58:61], v79 offset:8528
	v_add_f64_e32 v[2:3], v[2:3], v[8:9]
	v_add_f64_e32 v[8:9], v[22:23], v[70:71]
	s_wait_dscnt 0x0
	v_mul_f64_e32 v[22:23], v[60:61], v[64:65]
	v_mul_f64_e32 v[64:65], v[58:59], v[64:65]
	s_delay_alu instid0(VALU_DEP_2) | instskip(NEXT) | instid1(VALU_DEP_2)
	v_fma_f64 v[22:23], v[58:59], v[62:63], -v[22:23]
	v_fmac_f64_e32 v[64:65], v[60:61], v[62:63]
	s_delay_alu instid0(VALU_DEP_2) | instskip(SKIP_1) | instid1(VALU_DEP_3)
	v_add_f64_e32 v[14:15], v[14:15], v[22:23]
	v_mul_f64_e32 v[22:23], v[60:61], v[68:69]
	v_add_f64_e32 v[16:17], v[64:65], v[16:17]
	s_delay_alu instid0(VALU_DEP_2) | instskip(SKIP_1) | instid1(VALU_DEP_2)
	v_fma_f64 v[22:23], v[58:59], v[66:67], -v[22:23]
	v_mul_f64_e32 v[58:59], v[58:59], v[68:69]
	v_add_f64_e32 v[22:23], v[10:11], v[22:23]
	s_delay_alu instid0(VALU_DEP_2) | instskip(NEXT) | instid1(VALU_DEP_1)
	v_fmac_f64_e32 v[58:59], v[60:61], v[66:67]
	v_add_f64_e32 v[66:67], v[58:59], v[12:13]
	ds_load_b128 v[10:13], v79 offset:352
	ds_load_b128 v[58:61], v81 offset:11264
	s_wait_dscnt 0x0
	v_mul_f64_e32 v[62:63], v[12:13], v[60:61]
	v_mul_f64_e32 v[64:65], v[10:11], v[60:61]
	s_delay_alu instid0(VALU_DEP_2) | instskip(NEXT) | instid1(VALU_DEP_2)
	v_fma_f64 v[62:63], v[10:11], v[58:59], -v[62:63]
	v_fmac_f64_e32 v[64:65], v[12:13], v[58:59]
	s_delay_alu instid0(VALU_DEP_2) | instskip(NEXT) | instid1(VALU_DEP_2)
	v_add_f64_e32 v[18:19], v[18:19], v[62:63]
	v_add_f64_e32 v[20:21], v[64:65], v[20:21]
	ds_load_b128 v[62:65], v81 offset:11520
	s_wait_dscnt 0x0
	v_mul_f64_e32 v[68:69], v[12:13], v[64:65]
	s_delay_alu instid0(VALU_DEP_1) | instskip(SKIP_1) | instid1(VALU_DEP_2)
	v_fma_f64 v[68:69], v[10:11], v[62:63], -v[68:69]
	v_mul_f64_e32 v[10:11], v[10:11], v[64:65]
	v_add_f64_e32 v[2:3], v[2:3], v[68:69]
	s_delay_alu instid0(VALU_DEP_2) | instskip(NEXT) | instid1(VALU_DEP_1)
	v_fmac_f64_e32 v[10:11], v[12:13], v[62:63]
	v_add_f64_e32 v[70:71], v[10:11], v[8:9]
	ds_load_b128 v[8:11], v79 offset:8544
	s_wait_dscnt 0x0
	v_mul_f64_e32 v[12:13], v[10:11], v[60:61]
	v_mul_f64_e32 v[60:61], v[8:9], v[60:61]
	s_delay_alu instid0(VALU_DEP_2) | instskip(NEXT) | instid1(VALU_DEP_2)
	v_fma_f64 v[12:13], v[8:9], v[58:59], -v[12:13]
	v_fmac_f64_e32 v[60:61], v[10:11], v[58:59]
	s_delay_alu instid0(VALU_DEP_2) | instskip(SKIP_1) | instid1(VALU_DEP_3)
	v_add_f64_e32 v[14:15], v[14:15], v[12:13]
	v_mul_f64_e32 v[12:13], v[10:11], v[64:65]
	v_add_f64_e32 v[16:17], v[60:61], v[16:17]
	s_delay_alu instid0(VALU_DEP_2) | instskip(SKIP_1) | instid1(VALU_DEP_1)
	v_fma_f64 v[12:13], v[8:9], v[62:63], -v[12:13]
	v_mul_f64_e32 v[8:9], v[8:9], v[64:65]
	v_fmac_f64_e32 v[8:9], v[10:11], v[62:63]
	ds_load_b128 v[58:61], v79 offset:368
	ds_load_b128 v[62:65], v81 offset:11776
	v_add_f64_e32 v[10:11], v[22:23], v[12:13]
	s_wait_dscnt 0x0
	v_mul_f64_e32 v[22:23], v[58:59], v[64:65]
	v_add_f64_e32 v[12:13], v[8:9], v[66:67]
	v_mul_f64_e32 v[8:9], v[60:61], v[64:65]
	ds_load_b128 v[66:69], v81 offset:12032
	v_fmac_f64_e32 v[22:23], v[60:61], v[62:63]
	v_fma_f64 v[8:9], v[58:59], v[62:63], -v[8:9]
	s_delay_alu instid0(VALU_DEP_2) | instskip(SKIP_2) | instid1(VALU_DEP_3)
	v_add_f64_e32 v[20:21], v[22:23], v[20:21]
	s_wait_dscnt 0x0
	v_mul_f64_e32 v[22:23], v[58:59], v[68:69]
	v_add_f64_e32 v[18:19], v[18:19], v[8:9]
	v_mul_f64_e32 v[8:9], v[60:61], v[68:69]
	s_delay_alu instid0(VALU_DEP_3) | instskip(NEXT) | instid1(VALU_DEP_2)
	v_fmac_f64_e32 v[22:23], v[60:61], v[66:67]
	v_fma_f64 v[8:9], v[58:59], v[66:67], -v[8:9]
	ds_load_b128 v[58:61], v79 offset:8560
	v_add_f64_e32 v[2:3], v[2:3], v[8:9]
	v_add_f64_e32 v[8:9], v[22:23], v[70:71]
	s_wait_dscnt 0x0
	v_mul_f64_e32 v[22:23], v[60:61], v[64:65]
	v_mul_f64_e32 v[64:65], v[58:59], v[64:65]
	s_delay_alu instid0(VALU_DEP_2) | instskip(NEXT) | instid1(VALU_DEP_2)
	v_fma_f64 v[22:23], v[58:59], v[62:63], -v[22:23]
	v_fmac_f64_e32 v[64:65], v[60:61], v[62:63]
	s_delay_alu instid0(VALU_DEP_2) | instskip(SKIP_1) | instid1(VALU_DEP_3)
	v_add_f64_e32 v[14:15], v[14:15], v[22:23]
	v_mul_f64_e32 v[22:23], v[60:61], v[68:69]
	v_add_f64_e32 v[16:17], v[64:65], v[16:17]
	s_delay_alu instid0(VALU_DEP_2) | instskip(SKIP_1) | instid1(VALU_DEP_2)
	v_fma_f64 v[22:23], v[58:59], v[66:67], -v[22:23]
	v_mul_f64_e32 v[58:59], v[58:59], v[68:69]
	v_add_f64_e32 v[22:23], v[10:11], v[22:23]
	s_delay_alu instid0(VALU_DEP_2) | instskip(NEXT) | instid1(VALU_DEP_1)
	v_fmac_f64_e32 v[58:59], v[60:61], v[66:67]
	v_add_f64_e32 v[66:67], v[58:59], v[12:13]
	ds_load_b128 v[10:13], v79 offset:384
	ds_load_b128 v[58:61], v81 offset:12288
	s_wait_dscnt 0x0
	v_mul_f64_e32 v[62:63], v[12:13], v[60:61]
	v_mul_f64_e32 v[64:65], v[10:11], v[60:61]
	s_delay_alu instid0(VALU_DEP_2) | instskip(NEXT) | instid1(VALU_DEP_2)
	v_fma_f64 v[62:63], v[10:11], v[58:59], -v[62:63]
	v_fmac_f64_e32 v[64:65], v[12:13], v[58:59]
	s_delay_alu instid0(VALU_DEP_2) | instskip(NEXT) | instid1(VALU_DEP_2)
	v_add_f64_e32 v[18:19], v[18:19], v[62:63]
	v_add_f64_e32 v[20:21], v[64:65], v[20:21]
	ds_load_b128 v[62:65], v81 offset:12544
	s_wait_dscnt 0x0
	v_mul_f64_e32 v[68:69], v[12:13], v[64:65]
	s_delay_alu instid0(VALU_DEP_1) | instskip(SKIP_1) | instid1(VALU_DEP_2)
	v_fma_f64 v[68:69], v[10:11], v[62:63], -v[68:69]
	v_mul_f64_e32 v[10:11], v[10:11], v[64:65]
	v_add_f64_e32 v[2:3], v[2:3], v[68:69]
	s_delay_alu instid0(VALU_DEP_2) | instskip(NEXT) | instid1(VALU_DEP_1)
	v_fmac_f64_e32 v[10:11], v[12:13], v[62:63]
	v_add_f64_e32 v[70:71], v[10:11], v[8:9]
	ds_load_b128 v[8:11], v79 offset:8576
	s_wait_dscnt 0x0
	v_mul_f64_e32 v[12:13], v[10:11], v[60:61]
	v_mul_f64_e32 v[60:61], v[8:9], v[60:61]
	s_delay_alu instid0(VALU_DEP_2) | instskip(NEXT) | instid1(VALU_DEP_2)
	v_fma_f64 v[12:13], v[8:9], v[58:59], -v[12:13]
	v_fmac_f64_e32 v[60:61], v[10:11], v[58:59]
	s_delay_alu instid0(VALU_DEP_2) | instskip(SKIP_1) | instid1(VALU_DEP_3)
	v_add_f64_e32 v[14:15], v[14:15], v[12:13]
	v_mul_f64_e32 v[12:13], v[10:11], v[64:65]
	v_add_f64_e32 v[16:17], v[60:61], v[16:17]
	s_delay_alu instid0(VALU_DEP_2) | instskip(SKIP_1) | instid1(VALU_DEP_1)
	v_fma_f64 v[12:13], v[8:9], v[62:63], -v[12:13]
	v_mul_f64_e32 v[8:9], v[8:9], v[64:65]
	v_fmac_f64_e32 v[8:9], v[10:11], v[62:63]
	ds_load_b128 v[58:61], v79 offset:400
	ds_load_b128 v[62:65], v81 offset:12800
	v_add_f64_e32 v[10:11], v[22:23], v[12:13]
	s_wait_dscnt 0x0
	v_mul_f64_e32 v[22:23], v[58:59], v[64:65]
	v_add_f64_e32 v[12:13], v[8:9], v[66:67]
	v_mul_f64_e32 v[8:9], v[60:61], v[64:65]
	ds_load_b128 v[66:69], v81 offset:13056
	v_fmac_f64_e32 v[22:23], v[60:61], v[62:63]
	v_fma_f64 v[8:9], v[58:59], v[62:63], -v[8:9]
	s_delay_alu instid0(VALU_DEP_2) | instskip(SKIP_2) | instid1(VALU_DEP_3)
	v_add_f64_e32 v[20:21], v[22:23], v[20:21]
	s_wait_dscnt 0x0
	v_mul_f64_e32 v[22:23], v[58:59], v[68:69]
	v_add_f64_e32 v[18:19], v[18:19], v[8:9]
	v_mul_f64_e32 v[8:9], v[60:61], v[68:69]
	s_delay_alu instid0(VALU_DEP_3) | instskip(NEXT) | instid1(VALU_DEP_2)
	v_fmac_f64_e32 v[22:23], v[60:61], v[66:67]
	v_fma_f64 v[8:9], v[58:59], v[66:67], -v[8:9]
	ds_load_b128 v[58:61], v79 offset:8592
	v_add_f64_e32 v[2:3], v[2:3], v[8:9]
	v_add_f64_e32 v[8:9], v[22:23], v[70:71]
	s_wait_dscnt 0x0
	v_mul_f64_e32 v[22:23], v[60:61], v[64:65]
	v_mul_f64_e32 v[64:65], v[58:59], v[64:65]
	s_delay_alu instid0(VALU_DEP_2) | instskip(NEXT) | instid1(VALU_DEP_2)
	v_fma_f64 v[22:23], v[58:59], v[62:63], -v[22:23]
	v_fmac_f64_e32 v[64:65], v[60:61], v[62:63]
	s_delay_alu instid0(VALU_DEP_2) | instskip(SKIP_1) | instid1(VALU_DEP_3)
	v_add_f64_e32 v[14:15], v[14:15], v[22:23]
	v_mul_f64_e32 v[22:23], v[60:61], v[68:69]
	v_add_f64_e32 v[16:17], v[64:65], v[16:17]
	s_delay_alu instid0(VALU_DEP_2) | instskip(SKIP_1) | instid1(VALU_DEP_2)
	v_fma_f64 v[22:23], v[58:59], v[66:67], -v[22:23]
	v_mul_f64_e32 v[58:59], v[58:59], v[68:69]
	v_add_f64_e32 v[22:23], v[10:11], v[22:23]
	s_delay_alu instid0(VALU_DEP_2) | instskip(NEXT) | instid1(VALU_DEP_1)
	v_fmac_f64_e32 v[58:59], v[60:61], v[66:67]
	v_add_f64_e32 v[66:67], v[58:59], v[12:13]
	ds_load_b128 v[10:13], v79 offset:416
	ds_load_b128 v[58:61], v81 offset:13312
	s_wait_dscnt 0x0
	v_mul_f64_e32 v[62:63], v[12:13], v[60:61]
	v_mul_f64_e32 v[64:65], v[10:11], v[60:61]
	s_delay_alu instid0(VALU_DEP_2) | instskip(NEXT) | instid1(VALU_DEP_2)
	v_fma_f64 v[62:63], v[10:11], v[58:59], -v[62:63]
	v_fmac_f64_e32 v[64:65], v[12:13], v[58:59]
	s_delay_alu instid0(VALU_DEP_2) | instskip(NEXT) | instid1(VALU_DEP_2)
	v_add_f64_e32 v[18:19], v[18:19], v[62:63]
	v_add_f64_e32 v[20:21], v[64:65], v[20:21]
	ds_load_b128 v[62:65], v81 offset:13568
	s_wait_dscnt 0x0
	v_mul_f64_e32 v[68:69], v[12:13], v[64:65]
	s_delay_alu instid0(VALU_DEP_1) | instskip(SKIP_1) | instid1(VALU_DEP_2)
	v_fma_f64 v[68:69], v[10:11], v[62:63], -v[68:69]
	v_mul_f64_e32 v[10:11], v[10:11], v[64:65]
	v_add_f64_e32 v[2:3], v[2:3], v[68:69]
	s_delay_alu instid0(VALU_DEP_2) | instskip(NEXT) | instid1(VALU_DEP_1)
	v_fmac_f64_e32 v[10:11], v[12:13], v[62:63]
	v_add_f64_e32 v[70:71], v[10:11], v[8:9]
	ds_load_b128 v[8:11], v79 offset:8608
	s_wait_dscnt 0x0
	v_mul_f64_e32 v[12:13], v[10:11], v[60:61]
	v_mul_f64_e32 v[60:61], v[8:9], v[60:61]
	s_delay_alu instid0(VALU_DEP_2) | instskip(NEXT) | instid1(VALU_DEP_2)
	v_fma_f64 v[12:13], v[8:9], v[58:59], -v[12:13]
	v_fmac_f64_e32 v[60:61], v[10:11], v[58:59]
	s_delay_alu instid0(VALU_DEP_2) | instskip(SKIP_1) | instid1(VALU_DEP_3)
	v_add_f64_e32 v[14:15], v[14:15], v[12:13]
	v_mul_f64_e32 v[12:13], v[10:11], v[64:65]
	v_add_f64_e32 v[16:17], v[60:61], v[16:17]
	s_delay_alu instid0(VALU_DEP_2) | instskip(SKIP_1) | instid1(VALU_DEP_1)
	v_fma_f64 v[12:13], v[8:9], v[62:63], -v[12:13]
	v_mul_f64_e32 v[8:9], v[8:9], v[64:65]
	v_fmac_f64_e32 v[8:9], v[10:11], v[62:63]
	ds_load_b128 v[58:61], v79 offset:432
	ds_load_b128 v[62:65], v81 offset:13824
	v_add_f64_e32 v[10:11], v[22:23], v[12:13]
	s_wait_dscnt 0x0
	v_mul_f64_e32 v[22:23], v[58:59], v[64:65]
	v_add_f64_e32 v[12:13], v[8:9], v[66:67]
	v_mul_f64_e32 v[8:9], v[60:61], v[64:65]
	ds_load_b128 v[66:69], v81 offset:14080
	v_fmac_f64_e32 v[22:23], v[60:61], v[62:63]
	v_fma_f64 v[8:9], v[58:59], v[62:63], -v[8:9]
	s_delay_alu instid0(VALU_DEP_2) | instskip(SKIP_2) | instid1(VALU_DEP_3)
	v_add_f64_e32 v[20:21], v[22:23], v[20:21]
	s_wait_dscnt 0x0
	v_mul_f64_e32 v[22:23], v[58:59], v[68:69]
	v_add_f64_e32 v[18:19], v[18:19], v[8:9]
	v_mul_f64_e32 v[8:9], v[60:61], v[68:69]
	s_delay_alu instid0(VALU_DEP_3) | instskip(NEXT) | instid1(VALU_DEP_2)
	v_fmac_f64_e32 v[22:23], v[60:61], v[66:67]
	v_fma_f64 v[8:9], v[58:59], v[66:67], -v[8:9]
	ds_load_b128 v[58:61], v79 offset:8624
	v_add_f64_e32 v[2:3], v[2:3], v[8:9]
	v_add_f64_e32 v[8:9], v[22:23], v[70:71]
	s_wait_dscnt 0x0
	v_mul_f64_e32 v[22:23], v[60:61], v[64:65]
	v_mul_f64_e32 v[64:65], v[58:59], v[64:65]
	s_delay_alu instid0(VALU_DEP_2) | instskip(NEXT) | instid1(VALU_DEP_2)
	v_fma_f64 v[22:23], v[58:59], v[62:63], -v[22:23]
	v_fmac_f64_e32 v[64:65], v[60:61], v[62:63]
	s_delay_alu instid0(VALU_DEP_2) | instskip(SKIP_1) | instid1(VALU_DEP_3)
	v_add_f64_e32 v[14:15], v[14:15], v[22:23]
	v_mul_f64_e32 v[22:23], v[60:61], v[68:69]
	v_add_f64_e32 v[16:17], v[64:65], v[16:17]
	s_delay_alu instid0(VALU_DEP_2) | instskip(SKIP_1) | instid1(VALU_DEP_2)
	v_fma_f64 v[22:23], v[58:59], v[66:67], -v[22:23]
	v_mul_f64_e32 v[58:59], v[58:59], v[68:69]
	v_add_f64_e32 v[22:23], v[10:11], v[22:23]
	s_delay_alu instid0(VALU_DEP_2) | instskip(NEXT) | instid1(VALU_DEP_1)
	v_fmac_f64_e32 v[58:59], v[60:61], v[66:67]
	v_add_f64_e32 v[66:67], v[58:59], v[12:13]
	ds_load_b128 v[58:61], v79 offset:448
	ds_load_b128 v[62:65], v81 offset:14336
	s_wait_dscnt 0x0
	v_mul_f64_e32 v[10:11], v[60:61], v[64:65]
	v_mul_f64_e32 v[12:13], v[58:59], v[64:65]
	s_delay_alu instid0(VALU_DEP_2) | instskip(NEXT) | instid1(VALU_DEP_2)
	v_fma_f64 v[10:11], v[58:59], v[62:63], -v[10:11]
	v_fmac_f64_e32 v[12:13], v[60:61], v[62:63]
	s_delay_alu instid0(VALU_DEP_2) | instskip(NEXT) | instid1(VALU_DEP_2)
	v_add_f64_e32 v[10:11], v[18:19], v[10:11]
	v_add_f64_e32 v[12:13], v[12:13], v[20:21]
	ds_load_b128 v[18:21], v81 offset:14592
	s_wait_dscnt 0x0
	v_mul_f64_e32 v[68:69], v[60:61], v[20:21]
	s_delay_alu instid0(VALU_DEP_1) | instskip(SKIP_1) | instid1(VALU_DEP_2)
	v_fma_f64 v[68:69], v[58:59], v[18:19], -v[68:69]
	v_mul_f64_e32 v[58:59], v[58:59], v[20:21]
	v_add_f64_e32 v[2:3], v[2:3], v[68:69]
	s_delay_alu instid0(VALU_DEP_2) | instskip(NEXT) | instid1(VALU_DEP_1)
	v_fmac_f64_e32 v[58:59], v[60:61], v[18:19]
	v_add_f64_e32 v[8:9], v[58:59], v[8:9]
	ds_load_b128 v[58:61], v79 offset:8640
	s_wait_dscnt 0x0
	v_mul_f64_e32 v[68:69], v[60:61], v[64:65]
	v_mul_f64_e32 v[64:65], v[58:59], v[64:65]
	s_delay_alu instid0(VALU_DEP_2) | instskip(NEXT) | instid1(VALU_DEP_2)
	v_fma_f64 v[68:69], v[58:59], v[62:63], -v[68:69]
	v_fmac_f64_e32 v[64:65], v[60:61], v[62:63]
	v_mul_f64_e32 v[62:63], v[60:61], v[20:21]
	v_mul_f64_e32 v[20:21], v[58:59], v[20:21]
	s_delay_alu instid0(VALU_DEP_4) | instskip(NEXT) | instid1(VALU_DEP_4)
	v_add_f64_e32 v[14:15], v[14:15], v[68:69]
	v_add_f64_e32 v[16:17], v[64:65], v[16:17]
	s_delay_alu instid0(VALU_DEP_4) | instskip(NEXT) | instid1(VALU_DEP_4)
	v_fma_f64 v[62:63], v[58:59], v[18:19], -v[62:63]
	v_fmac_f64_e32 v[20:21], v[60:61], v[18:19]
	s_delay_alu instid0(VALU_DEP_2)
	v_add_f64_e32 v[18:19], v[22:23], v[62:63]
	ds_load_b128 v[58:61], v79 offset:464
	ds_load_b128 v[62:65], v81 offset:14848
	v_add_f64_e32 v[20:21], v[20:21], v[66:67]
	s_wait_dscnt 0x0
	v_mul_f64_e32 v[66:67], v[58:59], v[64:65]
	v_mul_f64_e32 v[22:23], v[60:61], v[64:65]
	s_delay_alu instid0(VALU_DEP_2) | instskip(NEXT) | instid1(VALU_DEP_2)
	v_fmac_f64_e32 v[66:67], v[60:61], v[62:63]
	v_fma_f64 v[22:23], v[58:59], v[62:63], -v[22:23]
	s_delay_alu instid0(VALU_DEP_2) | instskip(SKIP_4) | instid1(VALU_DEP_1)
	v_add_f64_e32 v[12:13], v[66:67], v[12:13]
	ds_load_b128 v[66:69], v81 offset:15104
	v_add_f64_e32 v[10:11], v[10:11], v[22:23]
	s_wait_dscnt 0x0
	v_mul_f64_e32 v[22:23], v[60:61], v[68:69]
	v_fma_f64 v[22:23], v[58:59], v[66:67], -v[22:23]
	v_mul_f64_e32 v[58:59], v[58:59], v[68:69]
	s_delay_alu instid0(VALU_DEP_2) | instskip(NEXT) | instid1(VALU_DEP_2)
	v_add_f64_e32 v[2:3], v[2:3], v[22:23]
	v_fmac_f64_e32 v[58:59], v[60:61], v[66:67]
	s_delay_alu instid0(VALU_DEP_1) | instskip(SKIP_4) | instid1(VALU_DEP_2)
	v_add_f64_e32 v[8:9], v[58:59], v[8:9]
	ds_load_b128 v[58:61], v79 offset:8656
	s_wait_dscnt 0x0
	v_mul_f64_e32 v[22:23], v[60:61], v[64:65]
	v_mul_f64_e32 v[64:65], v[58:59], v[64:65]
	v_fma_f64 v[22:23], v[58:59], v[62:63], -v[22:23]
	s_delay_alu instid0(VALU_DEP_2) | instskip(NEXT) | instid1(VALU_DEP_2)
	v_fmac_f64_e32 v[64:65], v[60:61], v[62:63]
	v_add_f64_e32 v[14:15], v[14:15], v[22:23]
	v_mul_f64_e32 v[22:23], v[60:61], v[68:69]
	s_delay_alu instid0(VALU_DEP_3) | instskip(NEXT) | instid1(VALU_DEP_2)
	v_add_f64_e32 v[16:17], v[64:65], v[16:17]
	v_fma_f64 v[22:23], v[58:59], v[66:67], -v[22:23]
	v_mul_f64_e32 v[58:59], v[58:59], v[68:69]
	s_delay_alu instid0(VALU_DEP_2) | instskip(NEXT) | instid1(VALU_DEP_2)
	v_add_f64_e32 v[18:19], v[18:19], v[22:23]
	v_fmac_f64_e32 v[58:59], v[60:61], v[66:67]
	s_delay_alu instid0(VALU_DEP_1)
	v_add_f64_e32 v[20:21], v[58:59], v[20:21]
	ds_load_b128 v[58:61], v79 offset:480
	ds_load_b128 v[62:65], v81 offset:15360
	ds_load_b128 v[72:75], v81 offset:15616
	s_wait_dscnt 0x1
	v_mul_f64_e32 v[22:23], v[60:61], v[64:65]
	v_mul_f64_e32 v[66:67], v[58:59], v[64:65]
	s_delay_alu instid0(VALU_DEP_2) | instskip(NEXT) | instid1(VALU_DEP_2)
	v_fma_f64 v[22:23], v[58:59], v[62:63], -v[22:23]
	v_fmac_f64_e32 v[66:67], v[60:61], v[62:63]
	s_delay_alu instid0(VALU_DEP_2) | instskip(NEXT) | instid1(VALU_DEP_2)
	v_add_f64_e32 v[10:11], v[10:11], v[22:23]
	v_add_f64_e32 v[22:23], v[66:67], v[12:13]
	s_wait_dscnt 0x0
	v_mul_f64_e32 v[12:13], v[60:61], v[74:75]
	s_delay_alu instid0(VALU_DEP_1) | instskip(SKIP_1) | instid1(VALU_DEP_2)
	v_fma_f64 v[12:13], v[58:59], v[72:73], -v[12:13]
	v_mul_f64_e32 v[58:59], v[58:59], v[74:75]
	v_add_f64_e32 v[68:69], v[2:3], v[12:13]
	s_delay_alu instid0(VALU_DEP_2) | instskip(NEXT) | instid1(VALU_DEP_1)
	v_fmac_f64_e32 v[58:59], v[60:61], v[72:73]
	v_add_f64_e32 v[70:71], v[58:59], v[8:9]
	ds_load_b128 v[58:61], v79 offset:8672
	s_wait_dscnt 0x0
	v_mul_f64_e32 v[2:3], v[60:61], v[64:65]
	v_mul_f64_e32 v[8:9], v[58:59], v[64:65]
	s_delay_alu instid0(VALU_DEP_2) | instskip(NEXT) | instid1(VALU_DEP_2)
	v_fma_f64 v[2:3], v[58:59], v[62:63], -v[2:3]
	v_fmac_f64_e32 v[8:9], v[60:61], v[62:63]
	s_delay_alu instid0(VALU_DEP_2) | instskip(SKIP_1) | instid1(VALU_DEP_3)
	v_add_f64_e32 v[64:65], v[14:15], v[2:3]
	v_mul_f64_e32 v[2:3], v[60:61], v[74:75]
	v_add_f64_e32 v[66:67], v[8:9], v[16:17]
	v_mul_f64_e32 v[8:9], v[58:59], v[74:75]
	s_delay_alu instid0(VALU_DEP_3) | instskip(NEXT) | instid1(VALU_DEP_2)
	v_fma_f64 v[2:3], v[58:59], v[72:73], -v[2:3]
	v_fmac_f64_e32 v[8:9], v[60:61], v[72:73]
	s_delay_alu instid0(VALU_DEP_2)
	v_add_f64_e32 v[2:3], v[18:19], v[2:3]
	ds_load_b128 v[16:19], v79 offset:496
	ds_load_b128 v[12:15], v81 offset:15872
	v_add_f64_e32 v[62:63], v[8:9], v[20:21]
	s_wait_dscnt 0x0
	v_mul_f64_e32 v[8:9], v[18:19], v[14:15]
	v_mul_f64_e32 v[20:21], v[16:17], v[14:15]
	s_delay_alu instid0(VALU_DEP_2) | instskip(NEXT) | instid1(VALU_DEP_2)
	v_fma_f64 v[8:9], v[16:17], v[12:13], -v[8:9]
	v_fmac_f64_e32 v[20:21], v[18:19], v[12:13]
	s_delay_alu instid0(VALU_DEP_2) | instskip(SKIP_4) | instid1(VALU_DEP_1)
	v_add_f64_e32 v[58:59], v[10:11], v[8:9]
	ds_load_b128 v[8:11], v81 offset:16128
	v_add_f64_e32 v[60:61], v[20:21], v[22:23]
	s_wait_dscnt 0x0
	v_mul_f64_e32 v[20:21], v[18:19], v[10:11]
	v_fma_f64 v[20:21], v[16:17], v[8:9], -v[20:21]
	v_mul_f64_e32 v[16:17], v[16:17], v[10:11]
	s_delay_alu instid0(VALU_DEP_2) | instskip(NEXT) | instid1(VALU_DEP_2)
	v_add_f64_e32 v[20:21], v[68:69], v[20:21]
	v_fmac_f64_e32 v[16:17], v[18:19], v[8:9]
	s_delay_alu instid0(VALU_DEP_1)
	v_add_f64_e32 v[22:23], v[16:17], v[70:71]
	ds_load_b128 v[16:19], v79 offset:8688
	s_wait_dscnt 0x0
	s_barrier_signal -1
	s_barrier_wait -1
	v_mul_f64_e32 v[68:69], v[18:19], v[14:15]
	v_mul_f64_e32 v[14:15], v[16:17], v[14:15]
	s_delay_alu instid0(VALU_DEP_2) | instskip(NEXT) | instid1(VALU_DEP_2)
	v_fma_f64 v[68:69], v[16:17], v[12:13], -v[68:69]
	v_fmac_f64_e32 v[14:15], v[18:19], v[12:13]
	v_mul_f64_e32 v[12:13], v[18:19], v[10:11]
	v_mul_f64_e32 v[10:11], v[16:17], v[10:11]
	s_delay_alu instid0(VALU_DEP_4) | instskip(NEXT) | instid1(VALU_DEP_4)
	v_add_f64_e32 v[68:69], v[64:65], v[68:69]
	v_add_f64_e32 v[64:65], v[14:15], v[66:67]
	s_delay_alu instid0(VALU_DEP_4) | instskip(NEXT) | instid1(VALU_DEP_4)
	v_fma_f64 v[12:13], v[16:17], v[8:9], -v[12:13]
	v_fmac_f64_e32 v[10:11], v[18:19], v[8:9]
	s_delay_alu instid0(VALU_DEP_2) | instskip(NEXT) | instid1(VALU_DEP_2)
	v_add_f64_e32 v[66:67], v[2:3], v[12:13]
	v_add_f64_e32 v[62:63], v[10:11], v[62:63]
	s_cbranch_scc1 .LBB126_60
.LBB126_11:                             ;   Parent Loop BB126_4 Depth=1
                                        ;     Parent Loop BB126_8 Depth=2
                                        ; =>    This Inner Loop Header: Depth=3
	v_add_nc_u64_e32 v[10:11], s[58:59], v[34:35]
	v_cmp_eq_u64_e64 s7, s[58:59], v[48:49]
	v_add_nc_u64_e32 v[8:9], v[42:43], v[38:39]
	s_delay_alu instid0(VALU_DEP_3) | instskip(SKIP_3) | instid1(SALU_CYCLE_1)
	v_cmp_lt_i64_e64 s5, v[10:11], v[36:37]
	v_cmp_le_i64_e64 s6, s[42:43], v[10:11]
	s_and_b32 s68, s62, s7
	s_or_b32 s8, s4, s5
	s_or_b32 s7, s6, s8
	s_delay_alu instid0(SALU_CYCLE_1) | instskip(NEXT) | instid1(SALU_CYCLE_1)
	s_nor_b32 s7, s7, s68
	s_and_saveexec_b32 s8, s7
	s_delay_alu instid0(SALU_CYCLE_1)
	s_xor_b32 s7, exec_lo, s8
	s_cbranch_execz .LBB126_13
; %bb.12:                               ;   in Loop: Header=BB126_11 Depth=3
	global_load_b128 v[12:15], v[8:9], off offset:-256
	s_wait_loadcnt 0x0
	ds_store_2addr_b64 v80, v[12:13], v[14:15] offset1:1
.LBB126_13:                             ;   in Loop: Header=BB126_11 Depth=3
	s_wait_xcnt 0x0
	s_or_saveexec_b32 s7, s7
	s_xor_b32 s67, s68, -1
	s_xor_b32 exec_lo, exec_lo, s7
	s_cbranch_execz .LBB126_19
; %bb.14:                               ;   in Loop: Header=BB126_11 Depth=3
	s_and_saveexec_b32 s8, s67
	s_delay_alu instid0(SALU_CYCLE_1)
	s_xor_b32 s8, exec_lo, s8
; %bb.15:                               ;   in Loop: Header=BB126_11 Depth=3
	v_dual_mov_b32 v12, v0 :: v_dual_mov_b32 v13, v0
	v_dual_mov_b32 v14, v0 :: v_dual_mov_b32 v15, v0
	ds_store_b128 v80, v[12:15]
; %bb.16:                               ;   in Loop: Header=BB126_11 Depth=3
	s_and_not1_saveexec_b32 s8, s8
; %bb.17:                               ;   in Loop: Header=BB126_11 Depth=3
	v_dual_mov_b32 v2, v0 :: v_dual_mov_b32 v3, v0
	ds_store_b128 v80, v[0:3]
; %bb.18:                               ;   in Loop: Header=BB126_11 Depth=3
	s_or_b32 exec_lo, exec_lo, s8
.LBB126_19:                             ;   in Loop: Header=BB126_11 Depth=3
	s_delay_alu instid0(SALU_CYCLE_1) | instskip(SKIP_3) | instid1(VALU_DEP_3)
	s_or_b32 exec_lo, exec_lo, s7
	v_add_nc_u64_e32 v[2:3], 16, v[10:11]
	v_cmp_eq_u64_e64 s9, s[58:59], v[54:55]
	v_add_nc_u64_e32 v[12:13], v[44:45], v[38:39]
	v_cmp_lt_i64_e64 s8, v[2:3], v[36:37]
	v_cmp_le_i64_e64 s7, s[42:43], v[2:3]
	s_and_b32 s9, s62, s9
	s_or_b32 s8, s4, s8
	s_delay_alu instid0(SALU_CYCLE_1) | instskip(NEXT) | instid1(SALU_CYCLE_1)
	s_or_b32 s8, s7, s8
	s_nor_b32 s8, s8, s9
	s_delay_alu instid0(SALU_CYCLE_1) | instskip(NEXT) | instid1(SALU_CYCLE_1)
	s_and_saveexec_b32 s69, s8
	s_xor_b32 s8, exec_lo, s69
	s_cbranch_execz .LBB126_21
; %bb.20:                               ;   in Loop: Header=BB126_11 Depth=3
	global_load_b128 v[14:17], v[12:13], off
	v_add_nc_u32_e32 v2, 0x100, v80
	s_wait_loadcnt 0x0
	ds_store_2addr_b64 v2, v[14:15], v[16:17] offset1:1
.LBB126_21:                             ;   in Loop: Header=BB126_11 Depth=3
	s_wait_xcnt 0x0
	s_and_not1_saveexec_b32 s8, s8
	s_cbranch_execz .LBB126_27
; %bb.22:                               ;   in Loop: Header=BB126_11 Depth=3
	s_xor_b32 s9, s9, -1
	s_delay_alu instid0(SALU_CYCLE_1) | instskip(NEXT) | instid1(SALU_CYCLE_1)
	s_and_saveexec_b32 s69, s9
	s_xor_b32 s9, exec_lo, s69
; %bb.23:                               ;   in Loop: Header=BB126_11 Depth=3
	v_dual_mov_b32 v14, v0 :: v_dual_mov_b32 v15, v0
	v_dual_mov_b32 v16, v0 :: v_dual_mov_b32 v17, v0
	ds_store_b128 v80, v[14:17] offset:256
; %bb.24:                               ;   in Loop: Header=BB126_11 Depth=3
	s_and_not1_saveexec_b32 s9, s9
; %bb.25:                               ;   in Loop: Header=BB126_11 Depth=3
	v_dual_mov_b32 v2, v0 :: v_dual_mov_b32 v3, v0
	ds_store_b128 v80, v[0:3] offset:256
; %bb.26:                               ;   in Loop: Header=BB126_11 Depth=3
	s_or_b32 exec_lo, exec_lo, s9
.LBB126_27:                             ;   in Loop: Header=BB126_11 Depth=3
	s_delay_alu instid0(SALU_CYCLE_1) | instskip(SKIP_4) | instid1(SALU_CYCLE_1)
	s_or_b32 exec_lo, exec_lo, s8
	v_cmp_eq_u64_e64 s8, s[58:59], v[52:53]
	v_cmp_lt_i64_e64 s9, v[10:11], v[50:51]
	s_and_b32 s8, s62, s8
	s_or_b32 s9, vcc_lo, s9
	s_or_b32 s9, s9, s8
	s_delay_alu instid0(SALU_CYCLE_1) | instskip(NEXT) | instid1(SALU_CYCLE_1)
	s_nor_b32 s6, s6, s9
	s_and_saveexec_b32 s9, s6
	s_delay_alu instid0(SALU_CYCLE_1)
	s_xor_b32 s6, exec_lo, s9
	s_cbranch_execz .LBB126_29
; %bb.28:                               ;   in Loop: Header=BB126_11 Depth=3
	global_load_b128 v[8:11], v[8:9], off
	v_add_nc_u32_e32 v2, 0x2000, v80
	s_wait_loadcnt 0x0
	ds_store_2addr_b64 v2, v[8:9], v[10:11] offset1:1
.LBB126_29:                             ;   in Loop: Header=BB126_11 Depth=3
	s_wait_xcnt 0x0
	s_and_not1_saveexec_b32 s6, s6
	s_cbranch_execz .LBB126_35
; %bb.30:                               ;   in Loop: Header=BB126_11 Depth=3
	s_xor_b32 s8, s8, -1
	s_delay_alu instid0(SALU_CYCLE_1) | instskip(NEXT) | instid1(SALU_CYCLE_1)
	s_and_saveexec_b32 s9, s8
	s_xor_b32 s8, exec_lo, s9
; %bb.31:                               ;   in Loop: Header=BB126_11 Depth=3
	v_dual_mov_b32 v8, v0 :: v_dual_mov_b32 v9, v0
	v_dual_mov_b32 v10, v0 :: v_dual_mov_b32 v11, v0
	ds_store_b128 v80, v[8:11] offset:8192
; %bb.32:                               ;   in Loop: Header=BB126_11 Depth=3
	s_and_not1_saveexec_b32 s8, s8
; %bb.33:                               ;   in Loop: Header=BB126_11 Depth=3
	v_dual_mov_b32 v2, v0 :: v_dual_mov_b32 v3, v0
	ds_store_b128 v80, v[0:3] offset:8192
; %bb.34:                               ;   in Loop: Header=BB126_11 Depth=3
	s_or_b32 exec_lo, exec_lo, s8
.LBB126_35:                             ;   in Loop: Header=BB126_11 Depth=3
	s_delay_alu instid0(SALU_CYCLE_1) | instskip(SKIP_1) | instid1(SALU_CYCLE_1)
	s_or_b32 exec_lo, exec_lo, s6
	s_or_b32 s5, vcc_lo, s5
	s_or_b32 s5, s7, s5
	s_delay_alu instid0(SALU_CYCLE_1) | instskip(NEXT) | instid1(SALU_CYCLE_1)
	s_nor_b32 s5, s5, s68
	s_and_saveexec_b32 s6, s5
	s_delay_alu instid0(SALU_CYCLE_1)
	s_xor_b32 s5, exec_lo, s6
	s_cbranch_execz .LBB126_37
; %bb.36:                               ;   in Loop: Header=BB126_11 Depth=3
	global_load_b128 v[8:11], v[12:13], off offset:256
	s_wait_loadcnt 0x0
	ds_store_2addr_b64 v83, v[8:9], v[10:11] offset1:1
.LBB126_37:                             ;   in Loop: Header=BB126_11 Depth=3
	s_wait_xcnt 0x0
	s_and_not1_saveexec_b32 s5, s5
	s_cbranch_execz .LBB126_43
; %bb.38:                               ;   in Loop: Header=BB126_11 Depth=3
	s_and_saveexec_b32 s6, s67
	s_delay_alu instid0(SALU_CYCLE_1)
	s_xor_b32 s6, exec_lo, s6
; %bb.39:                               ;   in Loop: Header=BB126_11 Depth=3
	v_dual_mov_b32 v8, v0 :: v_dual_mov_b32 v9, v0
	v_dual_mov_b32 v10, v0 :: v_dual_mov_b32 v11, v0
	ds_store_b128 v80, v[8:11] offset:8448
; %bb.40:                               ;   in Loop: Header=BB126_11 Depth=3
	s_and_not1_saveexec_b32 s6, s6
; %bb.41:                               ;   in Loop: Header=BB126_11 Depth=3
	v_dual_mov_b32 v2, v0 :: v_dual_mov_b32 v3, v0
	ds_store_b128 v80, v[0:3] offset:8448
; %bb.42:                               ;   in Loop: Header=BB126_11 Depth=3
	s_or_b32 exec_lo, exec_lo, s6
.LBB126_43:                             ;   in Loop: Header=BB126_11 Depth=3
	s_delay_alu instid0(SALU_CYCLE_1) | instskip(SKIP_2) | instid1(VALU_DEP_2)
	s_or_b32 exec_lo, exec_lo, s5
	v_add_nc_u64_e32 v[2:3], s[58:59], v[32:33]
	v_add_nc_u64_e32 v[8:9], v[56:57], v[40:41]
	v_cmp_le_i64_e64 s5, s[42:43], v[2:3]
	s_nor_b32 s6, s5, s0
	s_delay_alu instid0(SALU_CYCLE_1) | instskip(NEXT) | instid1(SALU_CYCLE_1)
	s_and_saveexec_b32 s7, s6
	s_xor_b32 s6, exec_lo, s7
	s_cbranch_execz .LBB126_45
; %bb.44:                               ;   in Loop: Header=BB126_11 Depth=3
	global_load_b128 v[10:13], v[8:9], off offset:-256
	s_wait_loadcnt 0x0
	ds_store_2addr_b64 v82, v[10:11], v[12:13] offset1:1
.LBB126_45:                             ;   in Loop: Header=BB126_11 Depth=3
	s_wait_xcnt 0x0
	s_and_not1_saveexec_b32 s6, s6
; %bb.46:                               ;   in Loop: Header=BB126_11 Depth=3
	v_dual_mov_b32 v10, v0 :: v_dual_mov_b32 v11, v0
	v_dual_mov_b32 v12, v0 :: v_dual_mov_b32 v13, v0
	ds_store_b128 v82, v[10:13]
; %bb.47:                               ;   in Loop: Header=BB126_11 Depth=3
	s_or_b32 exec_lo, exec_lo, s6
	s_nor_b32 s5, s5, s1
	s_delay_alu instid0(SALU_CYCLE_1) | instskip(NEXT) | instid1(SALU_CYCLE_1)
	s_and_saveexec_b32 s6, s5
	s_xor_b32 s5, exec_lo, s6
	s_cbranch_execz .LBB126_49
; %bb.48:                               ;   in Loop: Header=BB126_11 Depth=3
	global_load_b128 v[8:11], v[8:9], off
	s_wait_loadcnt 0x0
	ds_store_2addr_b64 v84, v[8:9], v[10:11] offset1:1
.LBB126_49:                             ;   in Loop: Header=BB126_11 Depth=3
	s_wait_xcnt 0x0
	s_and_not1_saveexec_b32 s5, s5
; %bb.50:                               ;   in Loop: Header=BB126_11 Depth=3
	v_dual_mov_b32 v8, v0 :: v_dual_mov_b32 v9, v0
	v_dual_mov_b32 v10, v0 :: v_dual_mov_b32 v11, v0
	ds_store_b128 v82, v[8:11] offset:256
; %bb.51:                               ;   in Loop: Header=BB126_11 Depth=3
	s_or_b32 exec_lo, exec_lo, s5
	v_cmp_le_i64_e64 s5, s[50:51], v[2:3]
	v_add_nc_u64_e32 v[2:3], v[56:57], v[46:47]
	s_nor_b32 s6, s5, s0
	s_delay_alu instid0(SALU_CYCLE_1) | instskip(NEXT) | instid1(SALU_CYCLE_1)
	s_and_saveexec_b32 s7, s6
	s_xor_b32 s6, exec_lo, s7
	s_cbranch_execz .LBB126_53
; %bb.52:                               ;   in Loop: Header=BB126_11 Depth=3
	global_load_b128 v[8:11], v[2:3], off offset:-256
	s_wait_loadcnt 0x0
	ds_store_2addr_b64 v85, v[8:9], v[10:11] offset1:1
.LBB126_53:                             ;   in Loop: Header=BB126_11 Depth=3
	s_wait_xcnt 0x0
	s_and_not1_saveexec_b32 s6, s6
; %bb.54:                               ;   in Loop: Header=BB126_11 Depth=3
	v_dual_mov_b32 v8, v0 :: v_dual_mov_b32 v9, v0
	v_dual_mov_b32 v10, v0 :: v_dual_mov_b32 v11, v0
	ds_store_b128 v82, v[8:11] offset:8192
; %bb.55:                               ;   in Loop: Header=BB126_11 Depth=3
	s_or_b32 exec_lo, exec_lo, s6
	s_nor_b32 s5, s5, s1
	s_delay_alu instid0(SALU_CYCLE_1) | instskip(NEXT) | instid1(SALU_CYCLE_1)
	s_and_saveexec_b32 s6, s5
	s_xor_b32 s5, exec_lo, s6
	s_cbranch_execz .LBB126_57
; %bb.56:                               ;   in Loop: Header=BB126_11 Depth=3
	global_load_b128 v[8:11], v[2:3], off
	s_wait_loadcnt 0x0
	ds_store_2addr_b64 v86, v[8:9], v[10:11] offset1:1
.LBB126_57:                             ;   in Loop: Header=BB126_11 Depth=3
	s_wait_xcnt 0x0
	s_and_not1_saveexec_b32 s5, s5
	s_cbranch_execz .LBB126_10
; %bb.58:                               ;   in Loop: Header=BB126_11 Depth=3
	v_dual_mov_b32 v8, v0 :: v_dual_mov_b32 v9, v0
	v_dual_mov_b32 v10, v0 :: v_dual_mov_b32 v11, v0
	ds_store_b128 v82, v[8:11] offset:8448
	s_branch .LBB126_10
.LBB126_59:                             ;   in Loop: Header=BB126_8 Depth=2
	v_mov_b64_e32 v[58:59], 0
	v_mov_b64_e32 v[60:61], 0
	v_mov_b64_e32 v[20:21], 0
	v_mov_b64_e32 v[22:23], 0
	v_mov_b64_e32 v[68:69], 0
	v_mov_b64_e32 v[64:65], 0
	v_mov_b64_e32 v[66:67], 0
	v_mov_b64_e32 v[62:63], 0
.LBB126_60:                             ;   in Loop: Header=BB126_8 Depth=2
	v_mul_u64_e32 v[2:3], s[28:29], v[36:37]
	v_cmp_gt_i32_e32 vcc_lo, s10, v36
	s_and_b32 s5, s2, vcc_lo
	s_delay_alu instid0(VALU_DEP_2)
	v_lshl_add_u64 v[2:3], v[2:3], 4, s[56:57]
	s_and_saveexec_b32 s4, s5
	s_cbranch_execz .LBB126_62
; %bb.61:                               ;   in Loop: Header=BB126_8 Depth=2
	s_delay_alu instid0(VALU_DEP_1)
	v_lshl_add_u64 v[12:13], v[24:25], 4, v[2:3]
	v_mul_f64_e32 v[14:15], v[6:7], v[60:61]
	v_mul_f64_e32 v[16:17], v[4:5], v[60:61]
	global_load_b128 v[8:11], v[12:13], off
	v_fma_f64 v[14:15], v[4:5], v[58:59], -v[14:15]
	v_fmac_f64_e32 v[16:17], v[6:7], v[58:59]
	s_wait_loadcnt 0x0
	s_delay_alu instid0(VALU_DEP_2) | instskip(NEXT) | instid1(VALU_DEP_2)
	v_add_f64_e32 v[8:9], v[8:9], v[14:15]
	v_add_f64_e32 v[10:11], v[16:17], v[10:11]
	global_store_b128 v[12:13], v[8:11], off
.LBB126_62:                             ;   in Loop: Header=BB126_8 Depth=2
	s_wait_xcnt 0x0
	s_or_b32 exec_lo, exec_lo, s4
	s_and_b32 s5, s3, vcc_lo
	s_delay_alu instid0(SALU_CYCLE_1)
	s_and_saveexec_b32 s4, s5
	s_cbranch_execz .LBB126_64
; %bb.63:                               ;   in Loop: Header=BB126_8 Depth=2
	v_lshl_add_u64 v[2:3], v[26:27], 4, v[2:3]
	v_mul_f64_e32 v[12:13], v[6:7], v[22:23]
	v_mul_f64_e32 v[14:15], v[4:5], v[22:23]
	global_load_b128 v[8:11], v[2:3], off
	v_fma_f64 v[12:13], v[4:5], v[20:21], -v[12:13]
	v_fmac_f64_e32 v[14:15], v[6:7], v[20:21]
	s_wait_loadcnt 0x0
	s_delay_alu instid0(VALU_DEP_2) | instskip(NEXT) | instid1(VALU_DEP_2)
	v_add_f64_e32 v[8:9], v[8:9], v[12:13]
	v_add_f64_e32 v[10:11], v[14:15], v[10:11]
	global_store_b128 v[2:3], v[8:11], off
.LBB126_64:                             ;   in Loop: Header=BB126_8 Depth=2
	s_wait_xcnt 0x0
	s_or_b32 exec_lo, exec_lo, s4
	v_add_nc_u32_e32 v2, 16, v36
	s_delay_alu instid0(VALU_DEP_1) | instskip(SKIP_1) | instid1(VALU_DEP_2)
	v_ashrrev_i32_e32 v3, 31, v2
	v_cmp_gt_i32_e32 vcc_lo, s10, v2
	v_mul_u64_e32 v[8:9], s[28:29], v[2:3]
	s_and_b32 s5, s2, vcc_lo
	s_delay_alu instid0(VALU_DEP_1)
	v_lshl_add_u64 v[2:3], v[8:9], 4, s[56:57]
	s_and_saveexec_b32 s4, s5
	s_cbranch_execz .LBB126_66
; %bb.65:                               ;   in Loop: Header=BB126_8 Depth=2
	s_delay_alu instid0(VALU_DEP_1)
	v_lshl_add_u64 v[12:13], v[24:25], 4, v[2:3]
	v_mul_f64_e32 v[14:15], v[6:7], v[64:65]
	v_mul_f64_e32 v[16:17], v[4:5], v[64:65]
	global_load_b128 v[8:11], v[12:13], off
	v_fma_f64 v[14:15], v[4:5], v[68:69], -v[14:15]
	v_fmac_f64_e32 v[16:17], v[6:7], v[68:69]
	s_wait_loadcnt 0x0
	s_delay_alu instid0(VALU_DEP_2) | instskip(NEXT) | instid1(VALU_DEP_2)
	v_add_f64_e32 v[8:9], v[8:9], v[14:15]
	v_add_f64_e32 v[10:11], v[16:17], v[10:11]
	global_store_b128 v[12:13], v[8:11], off
.LBB126_66:                             ;   in Loop: Header=BB126_8 Depth=2
	s_wait_xcnt 0x0
	s_or_b32 exec_lo, exec_lo, s4
	s_and_b32 s5, s3, vcc_lo
	s_delay_alu instid0(SALU_CYCLE_1)
	s_and_saveexec_b32 s4, s5
	s_cbranch_execz .LBB126_7
; %bb.67:                               ;   in Loop: Header=BB126_8 Depth=2
	v_lshl_add_u64 v[2:3], v[26:27], 4, v[2:3]
	v_mul_f64_e32 v[12:13], v[6:7], v[62:63]
	v_mul_f64_e32 v[14:15], v[4:5], v[62:63]
	global_load_b128 v[8:11], v[2:3], off
	v_fma_f64 v[12:13], v[4:5], v[66:67], -v[12:13]
	v_fmac_f64_e32 v[14:15], v[6:7], v[66:67]
	s_wait_loadcnt 0x0
	s_delay_alu instid0(VALU_DEP_2) | instskip(NEXT) | instid1(VALU_DEP_2)
	v_add_f64_e32 v[8:9], v[8:9], v[12:13]
	v_add_f64_e32 v[10:11], v[14:15], v[10:11]
	global_store_b128 v[2:3], v[8:11], off
	s_branch .LBB126_7
.LBB126_68:
	s_sendmsg sendmsg(MSG_DEALLOC_VGPRS)
	s_endpgm
	.section	.rodata,"a",@progbits
	.p2align	6, 0x0
	.amdhsa_kernel _ZL30rocblas_trmm_outofplace_kernelI19rocblas_complex_numIdELi32ELi2ELb0ELb1ELb1ELb0EPKS1_S2_S1_Ev17rocblas_diagonal_iiT6_lPT7_lllS7_lllPT8_llli
		.amdhsa_group_segment_fixed_size 32768
		.amdhsa_private_segment_fixed_size 0
		.amdhsa_kernarg_size 392
		.amdhsa_user_sgpr_count 2
		.amdhsa_user_sgpr_dispatch_ptr 0
		.amdhsa_user_sgpr_queue_ptr 0
		.amdhsa_user_sgpr_kernarg_segment_ptr 1
		.amdhsa_user_sgpr_dispatch_id 0
		.amdhsa_user_sgpr_kernarg_preload_length 0
		.amdhsa_user_sgpr_kernarg_preload_offset 0
		.amdhsa_user_sgpr_private_segment_size 0
		.amdhsa_wavefront_size32 1
		.amdhsa_uses_dynamic_stack 0
		.amdhsa_enable_private_segment 0
		.amdhsa_system_sgpr_workgroup_id_x 1
		.amdhsa_system_sgpr_workgroup_id_y 1
		.amdhsa_system_sgpr_workgroup_id_z 1
		.amdhsa_system_sgpr_workgroup_info 0
		.amdhsa_system_vgpr_workitem_id 1
		.amdhsa_next_free_vgpr 98
		.amdhsa_next_free_sgpr 70
		.amdhsa_named_barrier_count 0
		.amdhsa_reserve_vcc 1
		.amdhsa_float_round_mode_32 0
		.amdhsa_float_round_mode_16_64 0
		.amdhsa_float_denorm_mode_32 3
		.amdhsa_float_denorm_mode_16_64 3
		.amdhsa_fp16_overflow 0
		.amdhsa_memory_ordered 1
		.amdhsa_forward_progress 1
		.amdhsa_inst_pref_size 66
		.amdhsa_round_robin_scheduling 0
		.amdhsa_exception_fp_ieee_invalid_op 0
		.amdhsa_exception_fp_denorm_src 0
		.amdhsa_exception_fp_ieee_div_zero 0
		.amdhsa_exception_fp_ieee_overflow 0
		.amdhsa_exception_fp_ieee_underflow 0
		.amdhsa_exception_fp_ieee_inexact 0
		.amdhsa_exception_int_div_zero 0
	.end_amdhsa_kernel
	.section	.text._ZL30rocblas_trmm_outofplace_kernelI19rocblas_complex_numIdELi32ELi2ELb0ELb1ELb1ELb0EPKS1_S2_S1_Ev17rocblas_diagonal_iiT6_lPT7_lllS7_lllPT8_llli,"axG",@progbits,_ZL30rocblas_trmm_outofplace_kernelI19rocblas_complex_numIdELi32ELi2ELb0ELb1ELb1ELb0EPKS1_S2_S1_Ev17rocblas_diagonal_iiT6_lPT7_lllS7_lllPT8_llli,comdat
.Lfunc_end126:
	.size	_ZL30rocblas_trmm_outofplace_kernelI19rocblas_complex_numIdELi32ELi2ELb0ELb1ELb1ELb0EPKS1_S2_S1_Ev17rocblas_diagonal_iiT6_lPT7_lllS7_lllPT8_llli, .Lfunc_end126-_ZL30rocblas_trmm_outofplace_kernelI19rocblas_complex_numIdELi32ELi2ELb0ELb1ELb1ELb0EPKS1_S2_S1_Ev17rocblas_diagonal_iiT6_lPT7_lllS7_lllPT8_llli
                                        ; -- End function
	.set _ZL30rocblas_trmm_outofplace_kernelI19rocblas_complex_numIdELi32ELi2ELb0ELb1ELb1ELb0EPKS1_S2_S1_Ev17rocblas_diagonal_iiT6_lPT7_lllS7_lllPT8_llli.num_vgpr, 98
	.set _ZL30rocblas_trmm_outofplace_kernelI19rocblas_complex_numIdELi32ELi2ELb0ELb1ELb1ELb0EPKS1_S2_S1_Ev17rocblas_diagonal_iiT6_lPT7_lllS7_lllPT8_llli.num_agpr, 0
	.set _ZL30rocblas_trmm_outofplace_kernelI19rocblas_complex_numIdELi32ELi2ELb0ELb1ELb1ELb0EPKS1_S2_S1_Ev17rocblas_diagonal_iiT6_lPT7_lllS7_lllPT8_llli.numbered_sgpr, 70
	.set _ZL30rocblas_trmm_outofplace_kernelI19rocblas_complex_numIdELi32ELi2ELb0ELb1ELb1ELb0EPKS1_S2_S1_Ev17rocblas_diagonal_iiT6_lPT7_lllS7_lllPT8_llli.num_named_barrier, 0
	.set _ZL30rocblas_trmm_outofplace_kernelI19rocblas_complex_numIdELi32ELi2ELb0ELb1ELb1ELb0EPKS1_S2_S1_Ev17rocblas_diagonal_iiT6_lPT7_lllS7_lllPT8_llli.private_seg_size, 0
	.set _ZL30rocblas_trmm_outofplace_kernelI19rocblas_complex_numIdELi32ELi2ELb0ELb1ELb1ELb0EPKS1_S2_S1_Ev17rocblas_diagonal_iiT6_lPT7_lllS7_lllPT8_llli.uses_vcc, 1
	.set _ZL30rocblas_trmm_outofplace_kernelI19rocblas_complex_numIdELi32ELi2ELb0ELb1ELb1ELb0EPKS1_S2_S1_Ev17rocblas_diagonal_iiT6_lPT7_lllS7_lllPT8_llli.uses_flat_scratch, 0
	.set _ZL30rocblas_trmm_outofplace_kernelI19rocblas_complex_numIdELi32ELi2ELb0ELb1ELb1ELb0EPKS1_S2_S1_Ev17rocblas_diagonal_iiT6_lPT7_lllS7_lllPT8_llli.has_dyn_sized_stack, 0
	.set _ZL30rocblas_trmm_outofplace_kernelI19rocblas_complex_numIdELi32ELi2ELb0ELb1ELb1ELb0EPKS1_S2_S1_Ev17rocblas_diagonal_iiT6_lPT7_lllS7_lllPT8_llli.has_recursion, 0
	.set _ZL30rocblas_trmm_outofplace_kernelI19rocblas_complex_numIdELi32ELi2ELb0ELb1ELb1ELb0EPKS1_S2_S1_Ev17rocblas_diagonal_iiT6_lPT7_lllS7_lllPT8_llli.has_indirect_call, 0
	.section	.AMDGPU.csdata,"",@progbits
; Kernel info:
; codeLenInByte = 8372
; TotalNumSgprs: 72
; NumVgprs: 98
; ScratchSize: 0
; MemoryBound: 0
; FloatMode: 240
; IeeeMode: 1
; LDSByteSize: 32768 bytes/workgroup (compile time only)
; SGPRBlocks: 0
; VGPRBlocks: 6
; NumSGPRsForWavesPerEU: 72
; NumVGPRsForWavesPerEU: 98
; NamedBarCnt: 0
; Occupancy: 9
; WaveLimiterHint : 0
; COMPUTE_PGM_RSRC2:SCRATCH_EN: 0
; COMPUTE_PGM_RSRC2:USER_SGPR: 2
; COMPUTE_PGM_RSRC2:TRAP_HANDLER: 0
; COMPUTE_PGM_RSRC2:TGID_X_EN: 1
; COMPUTE_PGM_RSRC2:TGID_Y_EN: 1
; COMPUTE_PGM_RSRC2:TGID_Z_EN: 1
; COMPUTE_PGM_RSRC2:TIDIG_COMP_CNT: 1
	.section	.text._ZL30rocblas_trmm_outofplace_kernelI19rocblas_complex_numIdELi32ELi2ELb0ELb1ELb1ELb0ES1_KS1_S1_Ev17rocblas_diagonal_iiT6_lPT7_lllS6_lllPT8_llli,"axG",@progbits,_ZL30rocblas_trmm_outofplace_kernelI19rocblas_complex_numIdELi32ELi2ELb0ELb1ELb1ELb0ES1_KS1_S1_Ev17rocblas_diagonal_iiT6_lPT7_lllS6_lllPT8_llli,comdat
	.globl	_ZL30rocblas_trmm_outofplace_kernelI19rocblas_complex_numIdELi32ELi2ELb0ELb1ELb1ELb0ES1_KS1_S1_Ev17rocblas_diagonal_iiT6_lPT7_lllS6_lllPT8_llli ; -- Begin function _ZL30rocblas_trmm_outofplace_kernelI19rocblas_complex_numIdELi32ELi2ELb0ELb1ELb1ELb0ES1_KS1_S1_Ev17rocblas_diagonal_iiT6_lPT7_lllS6_lllPT8_llli
	.p2align	8
	.type	_ZL30rocblas_trmm_outofplace_kernelI19rocblas_complex_numIdELi32ELi2ELb0ELb1ELb1ELb0ES1_KS1_S1_Ev17rocblas_diagonal_iiT6_lPT7_lllS6_lllPT8_llli,@function
_ZL30rocblas_trmm_outofplace_kernelI19rocblas_complex_numIdELi32ELi2ELb0ELb1ELb1ELb0ES1_KS1_S1_Ev17rocblas_diagonal_iiT6_lPT7_lllS6_lllPT8_llli: ; @_ZL30rocblas_trmm_outofplace_kernelI19rocblas_complex_numIdELi32ELi2ELb0ELb1ELb1ELb0ES1_KS1_S1_Ev17rocblas_diagonal_iiT6_lPT7_lllS6_lllPT8_llli
; %bb.0:
	s_load_b32 s33, s[0:1], 0x88
	s_bfe_u32 s2, ttmp6, 0x40014
	s_lshr_b32 s3, ttmp7, 16
	s_add_co_i32 s2, s2, 1
	s_bfe_u32 s5, ttmp6, 0x40008
	s_mul_i32 s4, s3, s2
	s_getreg_b32 s2, hwreg(HW_REG_IB_STS2, 6, 4)
	s_add_co_i32 s5, s5, s4
	s_cmp_eq_u32 s2, 0
	s_cselect_b32 s34, s3, s5
	s_wait_kmcnt 0x0
	s_cmp_ge_u32 s34, s33
	s_cbranch_scc1 .LBB127_67
; %bb.1:
	s_load_b128 s[36:39], s[0:1], 0x10
	s_wait_kmcnt 0x0
	v_cmp_eq_f64_e64 s3, s[36:37], 0
	v_cmp_eq_f64_e64 s4, s[38:39], 0
	s_and_b32 s3, s3, s4
	s_delay_alu instid0(SALU_CYCLE_1)
	s_and_b32 vcc_lo, exec_lo, s3
	s_cbranch_vccnz .LBB127_67
; %bb.2:
	s_clause 0x1
	s_load_b96 s[40:42], s[0:1], 0x0
	s_load_b512 s[8:23], s[0:1], 0x28
	s_bfe_u32 s4, ttmp6, 0x4000c
	s_and_b32 s3, ttmp6, 15
	s_add_co_i32 s4, s4, 1
	s_bfe_u32 s6, ttmp6, 0x40010
	s_add_nc_u64 s[44:45], s[0:1], 0x90
	s_load_b256 s[24:31], s[0:1], 0x68
	s_wait_xcnt 0x0
	s_mul_i32 s0, ttmp9, s4
	s_and_b32 s5, ttmp7, 0xffff
	s_add_co_i32 s6, s6, 1
	s_add_co_i32 s3, s3, s0
	s_bfe_u32 s7, ttmp6, 0x40004
	s_mul_i32 s1, s5, s6
	v_and_b32_e32 v2, 0x3ff, v0
	s_add_co_i32 s7, s7, s1
	v_bfe_u32 v66, v0, 10, 10
	s_mov_b32 s35, 0
	s_wait_kmcnt 0x0
	s_add_co_i32 s0, s42, -1
	s_mov_b32 s46, s42
	s_ashr_i32 s4, s0, 31
	s_delay_alu instid0(SALU_CYCLE_1) | instskip(NEXT) | instid1(SALU_CYCLE_1)
	s_lshr_b32 s1, s4, 27
	s_add_co_i32 s0, s0, s1
	s_delay_alu instid0(SALU_CYCLE_1)
	s_ashr_i32 s43, s0, 5
	s_cmp_eq_u32 s2, 0
	s_cselect_b32 s0, ttmp9, s3
	s_cselect_b32 s60, s5, s7
	v_lshl_add_u32 v14, s0, 5, v2
	s_cmp_le_i32 s60, s43
	s_mov_b32 s0, s41
	s_cselect_b32 s61, -1, 0
	s_cmp_eq_u32 s40, 0x84
	v_add_nc_u32_e32 v16, 16, v14
	v_lshlrev_b32_e32 v67, 9, v66
	s_cselect_b32 s62, -1, 0
	s_ashr_i32 s1, s41, 31
	s_lshl_b64 s[4:5], s[18:19], 4
	v_dual_ashrrev_i32 v17, 31, v16 :: v_dual_lshlrev_b32 v0, 4, v2
	s_add_nc_u64 s[4:5], s[16:17], s[4:5]
	s_lshl_b32 s6, s60, 5
	v_cmp_gt_i32_e64 s2, s41, v14
	v_add_nc_u32_e32 v77, s6, v2
	v_or_b32_e32 v68, 0x4000, v0
	v_add_nc_u32_e32 v78, s6, v66
	s_ashr_i32 s47, s42, 31
	s_lshl_b64 s[48:49], s[12:13], 9
	s_delay_alu instid0(VALU_DEP_2) | instskip(SKIP_3) | instid1(VALU_DEP_2)
	v_dual_ashrrev_i32 v15, 31, v14 :: v_dual_add_nc_u32 v70, v68, v67
	v_add_nc_u32_e32 v69, v67, v0
	s_add_nc_u64 s[50:51], s[46:47], -16
	s_lshl_b64 s[16:17], s[20:21], 4
	v_sub_nc_u64_e32 v[0:1], s[0:1], v[14:15]
	s_lshl_b64 s[0:1], s[26:27], 4
	v_lshl_add_u64 v[18:19], v[14:15], 4, s[4:5]
	s_add_nc_u64 s[24:25], s[24:25], s[0:1]
	s_lshl_b64 s[4:5], s[10:11], 4
	v_add_nc_u32_e32 v71, 0x100, v69
	v_add_nc_u32_e32 v72, 0x2000, v69
	v_cmp_gt_i64_e64 s0, 1, v[0:1]
	v_cmp_gt_i64_e64 s1, 17, v[0:1]
	v_add_nc_u32_e32 v73, 0x2100, v69
	v_add_nc_u32_e32 v74, 0x100, v70
	;; [unrolled: 1-line block ×4, first 2 shown]
	v_dual_mov_b32 v0, 0 :: v_dual_mov_b32 v1, 0x3ff00000
	v_cmp_gt_i32_e64 s3, s41, v16
	s_add_nc_u64 s[18:19], s[8:9], s[4:5]
	s_lshl_b64 s[26:27], s[20:21], 9
	s_lshl_b64 s[10:11], s[22:23], 4
	s_add_nc_u64 s[22:23], s[18:19], 0x100
	s_lshl_b64 s[14:15], s[14:15], 4
	s_lshl_b64 s[40:41], s[12:13], 4
	s_branch .LBB127_4
.LBB127_3:                              ;   in Loop: Header=BB127_4 Depth=1
	s_add_co_i32 s34, s34, 0x10000
	s_delay_alu instid0(SALU_CYCLE_1)
	s_cmp_ge_u32 s34, s33
	s_cbranch_scc1 .LBB127_67
.LBB127_4:                              ; =>This Loop Header: Depth=1
                                        ;     Child Loop BB127_7 Depth 2
                                        ;       Child Loop BB127_10 Depth 3
	s_and_not1_b32 vcc_lo, exec_lo, s61
	s_cbranch_vccnz .LBB127_3
; %bb.5:                                ;   in Loop: Header=BB127_4 Depth=1
	s_load_b32 s63, s[44:45], 0x4
	v_mad_nc_u64_u32 v[20:21], s10, s34, v[18:19]
	s_mul_u64 s[6:7], s[30:31], s[34:35]
	v_dual_mov_b32 v22, v78 :: v_dual_mov_b32 v24, v77
	s_mul_u64 s[4:5], s[14:15], s[34:35]
	s_lshl_b64 s[6:7], s[6:7], 4
	s_add_nc_u64 s[52:53], s[22:23], s[4:5]
	s_add_nc_u64 s[54:55], s[18:19], s[4:5]
	;; [unrolled: 1-line block ×3, first 2 shown]
	s_mov_b32 s65, s60
	s_delay_alu instid0(VALU_DEP_2)
	v_mad_u32 v21, s11, s34, v21
	s_wait_kmcnt 0x0
	s_lshl_b32 s64, s63, 5
	s_branch .LBB127_7
.LBB127_6:                              ;   in Loop: Header=BB127_7 Depth=2
	s_wait_xcnt 0x0
	s_or_b32 exec_lo, exec_lo, s4
	v_dual_add_nc_u32 v24, s64, v24 :: v_dual_add_nc_u32 v22, s64, v22
	s_add_co_i32 s65, s63, s65
	s_delay_alu instid0(SALU_CYCLE_1)
	s_cmp_gt_i32 s65, s43
	s_cbranch_scc1 .LBB127_3
.LBB127_7:                              ;   Parent Loop BB127_4 Depth=1
                                        ; =>  This Loop Header: Depth=2
                                        ;       Child Loop BB127_10 Depth 3
	s_lshl_b32 s4, s65, 5
	v_ashrrev_i32_e32 v23, 31, v22
	v_dual_add_nc_u32 v26, s4, v66 :: v_dual_ashrrev_i32 v25, 31, v24
	s_sub_co_i32 s66, s42, s4
	s_delay_alu instid0(SALU_CYCLE_1) | instskip(NEXT) | instid1(VALU_DEP_1)
	s_cmp_lt_i32 s66, 1
	v_ashrrev_i32_e32 v27, 31, v26
	s_cbranch_scc1 .LBB127_58
; %bb.8:                                ;   in Loop: Header=BB127_7 Depth=2
	v_lshlrev_b64_e32 v[28:29], 4, v[22:23]
	v_lshl_add_u64 v[4:5], v[24:25], 4, 0x100
	v_mad_nc_u64_u32 v[30:31], s16, v22, 0x100
	v_mad_nc_u64_u32 v[32:33], s40, v24, s[52:53]
	v_sub_nc_u64_e32 v[38:39], v[22:23], v[24:25]
	v_add_nc_u64_e32 v[40:41], 16, v[26:27]
	v_mad_nc_u64_u32 v[34:35], s12, v4, s[54:55]
	v_add_nc_u64_e32 v[2:3], 0x100, v[28:29]
	v_mov_b64_e32 v[56:57], 0
	v_mov_b64_e32 v[64:65], 0
	;; [unrolled: 1-line block ×3, first 2 shown]
	v_add_nc_u64_e32 v[42:43], 16, v[38:39]
	v_add_nc_u64_e32 v[44:45], -16, v[38:39]
	v_mad_u32 v6, s17, v22, v31
	v_mad_nc_u64_u32 v[36:37], s20, v2, 0x100
	v_mad_u32 v7, s41, v24, v33
	v_mov_b64_e32 v[62:63], 0
	v_mad_u32 v4, s13, v4, v35
	v_mov_b64_e32 v[50:51], 0
	v_mov_b64_e32 v[48:49], 0
	;; [unrolled: 1-line block ×5, first 2 shown]
	v_cmp_le_i32_e64 s4, s42, v26
	v_mad_u32 v31, s16, v23, v6
	v_mad_u32 v2, s21, v2, v37
	;; [unrolled: 1-line block ×3, first 2 shown]
	s_mov_b64 s[58:59], 0
	v_mad_u32 v35, s12, v5, v4
	v_cmp_le_i64_e32 vcc_lo, s[46:47], v[40:41]
	s_delay_alu instid0(VALU_DEP_4)
	v_mad_u32 v37, s20, v3, v2
	s_branch .LBB127_10
.LBB127_9:                              ;   in Loop: Header=BB127_10 Depth=3
	s_or_b32 exec_lo, exec_lo, s5
	s_wait_dscnt 0x0
	s_barrier_signal -1
	s_barrier_wait -1
	ds_load_b128 v[80:83], v67
	ds_load_b128 v[10:13], v67 offset:16
	ds_load_b128 v[6:9], v67 offset:32
	;; [unrolled: 1-line block ×3, first 2 shown]
	ds_load_b128 v[84:87], v68
	v_add_nc_u64_e32 v[46:47], s[26:27], v[46:47]
	v_add_nc_u64_e32 v[32:33], s[48:49], v[32:33]
	;; [unrolled: 1-line block ×3, first 2 shown]
	s_add_nc_u64 s[58:59], s[58:59], 32
	s_delay_alu instid0(SALU_CYCLE_1) | instskip(SKIP_3) | instid1(VALU_DEP_2)
	s_cmp_ge_i32 s58, s66
	s_wait_dscnt 0x0
	v_mul_f64_e32 v[58:59], v[82:83], v[86:87]
	v_mul_f64_e32 v[88:89], v[80:81], v[86:87]
	v_fma_f64 v[58:59], v[80:81], v[84:85], -v[58:59]
	s_delay_alu instid0(VALU_DEP_2) | instskip(NEXT) | instid1(VALU_DEP_2)
	v_fmac_f64_e32 v[88:89], v[82:83], v[84:85]
	v_add_f64_e32 v[58:59], v[52:53], v[58:59]
	s_delay_alu instid0(VALU_DEP_2) | instskip(SKIP_3) | instid1(VALU_DEP_1)
	v_add_f64_e32 v[88:89], v[88:89], v[54:55]
	ds_load_b128 v[52:55], v68 offset:256
	s_wait_dscnt 0x0
	v_mul_f64_e32 v[90:91], v[82:83], v[54:55]
	v_fma_f64 v[90:91], v[80:81], v[52:53], -v[90:91]
	v_mul_f64_e32 v[80:81], v[80:81], v[54:55]
	s_delay_alu instid0(VALU_DEP_2) | instskip(NEXT) | instid1(VALU_DEP_2)
	v_add_f64_e32 v[90:91], v[48:49], v[90:91]
	v_fmac_f64_e32 v[80:81], v[82:83], v[52:53]
	s_delay_alu instid0(VALU_DEP_1) | instskip(SKIP_4) | instid1(VALU_DEP_2)
	v_add_f64_e32 v[92:93], v[80:81], v[50:51]
	ds_load_b128 v[80:83], v67 offset:8192
	s_wait_dscnt 0x0
	v_mul_f64_e32 v[50:51], v[80:81], v[86:87]
	v_mul_f64_e32 v[48:49], v[82:83], v[86:87]
	v_fmac_f64_e32 v[50:51], v[82:83], v[84:85]
	s_delay_alu instid0(VALU_DEP_2) | instskip(NEXT) | instid1(VALU_DEP_2)
	v_fma_f64 v[48:49], v[80:81], v[84:85], -v[48:49]
	v_add_f64_e32 v[50:51], v[50:51], v[60:61]
	v_mul_f64_e32 v[60:61], v[82:83], v[54:55]
	v_mul_f64_e32 v[54:55], v[80:81], v[54:55]
	s_delay_alu instid0(VALU_DEP_4) | instskip(NEXT) | instid1(VALU_DEP_3)
	v_add_f64_e32 v[48:49], v[62:63], v[48:49]
	v_fma_f64 v[60:61], v[80:81], v[52:53], -v[60:61]
	s_delay_alu instid0(VALU_DEP_3)
	v_fmac_f64_e32 v[54:55], v[82:83], v[52:53]
	ds_load_b128 v[80:83], v68 offset:768
	s_wait_dscnt 0x0
	v_mul_f64_e32 v[84:85], v[10:11], v[82:83]
	v_add_f64_e32 v[52:53], v[64:65], v[60:61]
	ds_load_b128 v[60:63], v68 offset:512
	v_add_f64_e32 v[54:55], v[54:55], v[56:57]
	s_wait_dscnt 0x0
	v_mul_f64_e32 v[56:57], v[12:13], v[62:63]
	v_mul_f64_e32 v[64:65], v[10:11], v[62:63]
	v_fmac_f64_e32 v[84:85], v[12:13], v[80:81]
	s_delay_alu instid0(VALU_DEP_3) | instskip(NEXT) | instid1(VALU_DEP_3)
	v_fma_f64 v[56:57], v[10:11], v[60:61], -v[56:57]
	v_fmac_f64_e32 v[64:65], v[12:13], v[60:61]
	s_delay_alu instid0(VALU_DEP_2) | instskip(NEXT) | instid1(VALU_DEP_2)
	v_add_f64_e32 v[56:57], v[58:59], v[56:57]
	v_add_f64_e32 v[58:59], v[64:65], v[88:89]
	v_mul_f64_e32 v[64:65], v[12:13], v[82:83]
	v_add_f64_e32 v[12:13], v[84:85], v[92:93]
	ds_load_b128 v[84:87], v67 offset:8208
	v_fma_f64 v[64:65], v[10:11], v[80:81], -v[64:65]
	s_delay_alu instid0(VALU_DEP_1) | instskip(SKIP_3) | instid1(VALU_DEP_2)
	v_add_f64_e32 v[10:11], v[90:91], v[64:65]
	s_wait_dscnt 0x0
	v_mul_f64_e32 v[64:65], v[86:87], v[62:63]
	v_mul_f64_e32 v[62:63], v[84:85], v[62:63]
	v_fma_f64 v[64:65], v[84:85], v[60:61], -v[64:65]
	s_delay_alu instid0(VALU_DEP_2) | instskip(NEXT) | instid1(VALU_DEP_2)
	v_fmac_f64_e32 v[62:63], v[86:87], v[60:61]
	v_add_f64_e32 v[60:61], v[48:49], v[64:65]
	s_delay_alu instid0(VALU_DEP_2) | instskip(SKIP_2) | instid1(VALU_DEP_2)
	v_add_f64_e32 v[62:63], v[62:63], v[50:51]
	v_mul_f64_e32 v[48:49], v[86:87], v[82:83]
	v_mul_f64_e32 v[50:51], v[84:85], v[82:83]
	v_fma_f64 v[48:49], v[84:85], v[80:81], -v[48:49]
	s_delay_alu instid0(VALU_DEP_2) | instskip(NEXT) | instid1(VALU_DEP_2)
	v_fmac_f64_e32 v[50:51], v[86:87], v[80:81]
	v_add_f64_e32 v[64:65], v[52:53], v[48:49]
	s_delay_alu instid0(VALU_DEP_2) | instskip(SKIP_4) | instid1(VALU_DEP_2)
	v_add_f64_e32 v[80:81], v[50:51], v[54:55]
	ds_load_b128 v[48:51], v68 offset:1024
	s_wait_dscnt 0x0
	v_mul_f64_e32 v[52:53], v[8:9], v[50:51]
	v_mul_f64_e32 v[54:55], v[6:7], v[50:51]
	v_fma_f64 v[52:53], v[6:7], v[48:49], -v[52:53]
	s_delay_alu instid0(VALU_DEP_2) | instskip(NEXT) | instid1(VALU_DEP_2)
	v_fmac_f64_e32 v[54:55], v[8:9], v[48:49]
	v_add_f64_e32 v[82:83], v[56:57], v[52:53]
	s_delay_alu instid0(VALU_DEP_2) | instskip(SKIP_3) | instid1(VALU_DEP_1)
	v_add_f64_e32 v[84:85], v[54:55], v[58:59]
	ds_load_b128 v[52:55], v68 offset:1280
	s_wait_dscnt 0x0
	v_mul_f64_e32 v[56:57], v[8:9], v[54:55]
	v_fma_f64 v[56:57], v[6:7], v[52:53], -v[56:57]
	v_mul_f64_e32 v[6:7], v[6:7], v[54:55]
	s_delay_alu instid0(VALU_DEP_2) | instskip(NEXT) | instid1(VALU_DEP_2)
	v_add_f64_e32 v[86:87], v[10:11], v[56:57]
	v_fmac_f64_e32 v[6:7], v[8:9], v[52:53]
	s_delay_alu instid0(VALU_DEP_1) | instskip(SKIP_4) | instid1(VALU_DEP_2)
	v_add_f64_e32 v[88:89], v[6:7], v[12:13]
	ds_load_b128 v[6:9], v67 offset:8224
	s_wait_dscnt 0x0
	v_mul_f64_e32 v[10:11], v[8:9], v[50:51]
	v_mul_f64_e32 v[12:13], v[6:7], v[50:51]
	v_fma_f64 v[10:11], v[6:7], v[48:49], -v[10:11]
	s_delay_alu instid0(VALU_DEP_2) | instskip(NEXT) | instid1(VALU_DEP_2)
	v_fmac_f64_e32 v[12:13], v[8:9], v[48:49]
	v_add_f64_e32 v[56:57], v[60:61], v[10:11]
	v_mul_f64_e32 v[10:11], v[8:9], v[54:55]
	s_delay_alu instid0(VALU_DEP_3) | instskip(NEXT) | instid1(VALU_DEP_2)
	v_add_f64_e32 v[58:59], v[12:13], v[62:63]
	v_fma_f64 v[10:11], v[6:7], v[52:53], -v[10:11]
	v_mul_f64_e32 v[6:7], v[6:7], v[54:55]
	s_delay_alu instid0(VALU_DEP_1) | instskip(NEXT) | instid1(VALU_DEP_3)
	v_fmac_f64_e32 v[6:7], v[8:9], v[52:53]
	v_add_f64_e32 v[52:53], v[64:65], v[10:11]
	ds_load_b128 v[10:13], v68 offset:1536
	s_wait_dscnt 0x0
	v_mul_f64_e32 v[8:9], v[2:3], v[12:13]
	v_add_f64_e32 v[54:55], v[6:7], v[80:81]
	v_mul_f64_e32 v[6:7], v[4:5], v[12:13]
	s_delay_alu instid0(VALU_DEP_3) | instskip(NEXT) | instid1(VALU_DEP_2)
	v_fmac_f64_e32 v[8:9], v[4:5], v[10:11]
	v_fma_f64 v[6:7], v[2:3], v[10:11], -v[6:7]
	s_delay_alu instid0(VALU_DEP_2) | instskip(NEXT) | instid1(VALU_DEP_2)
	v_add_f64_e32 v[50:51], v[8:9], v[84:85]
	v_add_f64_e32 v[48:49], v[82:83], v[6:7]
	ds_load_b128 v[6:9], v68 offset:1792
	s_wait_dscnt 0x0
	v_mul_f64_e32 v[60:61], v[4:5], v[8:9]
	v_mul_f64_e32 v[62:63], v[2:3], v[8:9]
	s_delay_alu instid0(VALU_DEP_2) | instskip(NEXT) | instid1(VALU_DEP_2)
	v_fma_f64 v[60:61], v[2:3], v[6:7], -v[60:61]
	v_fmac_f64_e32 v[62:63], v[4:5], v[6:7]
	s_delay_alu instid0(VALU_DEP_2) | instskip(NEXT) | instid1(VALU_DEP_2)
	v_add_f64_e32 v[2:3], v[86:87], v[60:61]
	v_add_f64_e32 v[4:5], v[62:63], v[88:89]
	ds_load_b128 v[60:63], v67 offset:8240
	s_wait_dscnt 0x0
	v_mul_f64_e32 v[64:65], v[62:63], v[12:13]
	v_mul_f64_e32 v[12:13], v[60:61], v[12:13]
	s_delay_alu instid0(VALU_DEP_2) | instskip(NEXT) | instid1(VALU_DEP_2)
	v_fma_f64 v[64:65], v[60:61], v[10:11], -v[64:65]
	v_fmac_f64_e32 v[12:13], v[62:63], v[10:11]
	v_mul_f64_e32 v[10:11], v[62:63], v[8:9]
	v_mul_f64_e32 v[8:9], v[60:61], v[8:9]
	s_delay_alu instid0(VALU_DEP_4) | instskip(NEXT) | instid1(VALU_DEP_4)
	v_add_f64_e32 v[56:57], v[56:57], v[64:65]
	v_add_f64_e32 v[58:59], v[12:13], v[58:59]
	s_delay_alu instid0(VALU_DEP_4) | instskip(NEXT) | instid1(VALU_DEP_4)
	v_fma_f64 v[10:11], v[60:61], v[6:7], -v[10:11]
	v_fmac_f64_e32 v[8:9], v[62:63], v[6:7]
	s_delay_alu instid0(VALU_DEP_2) | instskip(NEXT) | instid1(VALU_DEP_2)
	v_add_f64_e32 v[52:53], v[52:53], v[10:11]
	v_add_f64_e32 v[54:55], v[8:9], v[54:55]
	ds_load_b128 v[6:9], v67 offset:64
	ds_load_b128 v[10:13], v68 offset:2048
	s_wait_dscnt 0x0
	v_mul_f64_e32 v[60:61], v[8:9], v[12:13]
	v_mul_f64_e32 v[62:63], v[6:7], v[12:13]
	s_delay_alu instid0(VALU_DEP_2) | instskip(NEXT) | instid1(VALU_DEP_2)
	v_fma_f64 v[60:61], v[6:7], v[10:11], -v[60:61]
	v_fmac_f64_e32 v[62:63], v[8:9], v[10:11]
	s_delay_alu instid0(VALU_DEP_2) | instskip(NEXT) | instid1(VALU_DEP_2)
	v_add_f64_e32 v[60:61], v[48:49], v[60:61]
	v_add_f64_e32 v[62:63], v[62:63], v[50:51]
	ds_load_b128 v[48:51], v68 offset:2304
	s_wait_dscnt 0x0
	v_mul_f64_e32 v[64:65], v[8:9], v[50:51]
	s_delay_alu instid0(VALU_DEP_1) | instskip(SKIP_1) | instid1(VALU_DEP_2)
	v_fma_f64 v[64:65], v[6:7], v[48:49], -v[64:65]
	v_mul_f64_e32 v[6:7], v[6:7], v[50:51]
	v_add_f64_e32 v[64:65], v[2:3], v[64:65]
	s_delay_alu instid0(VALU_DEP_2) | instskip(NEXT) | instid1(VALU_DEP_1)
	v_fmac_f64_e32 v[6:7], v[8:9], v[48:49]
	v_add_f64_e32 v[80:81], v[6:7], v[4:5]
	ds_load_b128 v[2:5], v67 offset:8256
	s_wait_dscnt 0x0
	v_mul_f64_e32 v[6:7], v[4:5], v[12:13]
	v_mul_f64_e32 v[8:9], v[2:3], v[12:13]
	s_delay_alu instid0(VALU_DEP_2) | instskip(NEXT) | instid1(VALU_DEP_2)
	v_fma_f64 v[6:7], v[2:3], v[10:11], -v[6:7]
	v_fmac_f64_e32 v[8:9], v[4:5], v[10:11]
	s_delay_alu instid0(VALU_DEP_2) | instskip(SKIP_1) | instid1(VALU_DEP_3)
	v_add_f64_e32 v[10:11], v[56:57], v[6:7]
	v_mul_f64_e32 v[6:7], v[4:5], v[50:51]
	v_add_f64_e32 v[12:13], v[8:9], v[58:59]
	s_delay_alu instid0(VALU_DEP_2) | instskip(SKIP_1) | instid1(VALU_DEP_2)
	v_fma_f64 v[6:7], v[2:3], v[48:49], -v[6:7]
	v_mul_f64_e32 v[2:3], v[2:3], v[50:51]
	v_add_f64_e32 v[6:7], v[52:53], v[6:7]
	s_delay_alu instid0(VALU_DEP_2)
	v_fmac_f64_e32 v[2:3], v[4:5], v[48:49]
	ds_load_b128 v[48:51], v67 offset:80
	ds_load_b128 v[56:59], v68 offset:2560
	s_wait_dscnt 0x0
	v_mul_f64_e32 v[4:5], v[48:49], v[58:59]
	v_add_f64_e32 v[8:9], v[2:3], v[54:55]
	v_mul_f64_e32 v[2:3], v[50:51], v[58:59]
	s_delay_alu instid0(VALU_DEP_3) | instskip(NEXT) | instid1(VALU_DEP_2)
	v_fmac_f64_e32 v[4:5], v[50:51], v[56:57]
	v_fma_f64 v[2:3], v[48:49], v[56:57], -v[2:3]
	s_delay_alu instid0(VALU_DEP_2) | instskip(NEXT) | instid1(VALU_DEP_2)
	v_add_f64_e32 v[54:55], v[4:5], v[62:63]
	v_add_f64_e32 v[52:53], v[60:61], v[2:3]
	ds_load_b128 v[2:5], v68 offset:2816
	s_wait_dscnt 0x0
	v_mul_f64_e32 v[60:61], v[50:51], v[4:5]
	v_mul_f64_e32 v[62:63], v[48:49], v[4:5]
	s_delay_alu instid0(VALU_DEP_2) | instskip(NEXT) | instid1(VALU_DEP_2)
	v_fma_f64 v[60:61], v[48:49], v[2:3], -v[60:61]
	v_fmac_f64_e32 v[62:63], v[50:51], v[2:3]
	s_delay_alu instid0(VALU_DEP_2) | instskip(NEXT) | instid1(VALU_DEP_2)
	v_add_f64_e32 v[48:49], v[64:65], v[60:61]
	v_add_f64_e32 v[50:51], v[62:63], v[80:81]
	ds_load_b128 v[60:63], v67 offset:8272
	s_wait_dscnt 0x0
	v_mul_f64_e32 v[64:65], v[62:63], v[58:59]
	v_mul_f64_e32 v[58:59], v[60:61], v[58:59]
	s_delay_alu instid0(VALU_DEP_2) | instskip(NEXT) | instid1(VALU_DEP_2)
	v_fma_f64 v[64:65], v[60:61], v[56:57], -v[64:65]
	v_fmac_f64_e32 v[58:59], v[62:63], v[56:57]
	v_mul_f64_e32 v[56:57], v[62:63], v[4:5]
	v_mul_f64_e32 v[4:5], v[60:61], v[4:5]
	s_delay_alu instid0(VALU_DEP_4) | instskip(NEXT) | instid1(VALU_DEP_4)
	v_add_f64_e32 v[10:11], v[10:11], v[64:65]
	v_add_f64_e32 v[12:13], v[58:59], v[12:13]
	s_delay_alu instid0(VALU_DEP_4) | instskip(NEXT) | instid1(VALU_DEP_4)
	v_fma_f64 v[56:57], v[60:61], v[2:3], -v[56:57]
	v_fmac_f64_e32 v[4:5], v[62:63], v[2:3]
	s_delay_alu instid0(VALU_DEP_2) | instskip(NEXT) | instid1(VALU_DEP_2)
	v_add_f64_e32 v[56:57], v[6:7], v[56:57]
	v_add_f64_e32 v[58:59], v[4:5], v[8:9]
	ds_load_b128 v[2:5], v67 offset:96
	ds_load_b128 v[6:9], v68 offset:3072
	s_wait_dscnt 0x0
	v_mul_f64_e32 v[60:61], v[4:5], v[8:9]
	v_mul_f64_e32 v[62:63], v[2:3], v[8:9]
	s_delay_alu instid0(VALU_DEP_2) | instskip(NEXT) | instid1(VALU_DEP_2)
	v_fma_f64 v[60:61], v[2:3], v[6:7], -v[60:61]
	v_fmac_f64_e32 v[62:63], v[4:5], v[6:7]
	s_delay_alu instid0(VALU_DEP_2) | instskip(NEXT) | instid1(VALU_DEP_2)
	v_add_f64_e32 v[60:61], v[52:53], v[60:61]
	v_add_f64_e32 v[62:63], v[62:63], v[54:55]
	ds_load_b128 v[52:55], v68 offset:3328
	s_wait_dscnt 0x0
	v_mul_f64_e32 v[64:65], v[4:5], v[54:55]
	s_delay_alu instid0(VALU_DEP_1) | instskip(SKIP_1) | instid1(VALU_DEP_2)
	v_fma_f64 v[64:65], v[2:3], v[52:53], -v[64:65]
	v_mul_f64_e32 v[2:3], v[2:3], v[54:55]
	v_add_f64_e32 v[64:65], v[48:49], v[64:65]
	s_delay_alu instid0(VALU_DEP_2) | instskip(NEXT) | instid1(VALU_DEP_1)
	v_fmac_f64_e32 v[2:3], v[4:5], v[52:53]
	v_add_f64_e32 v[80:81], v[2:3], v[50:51]
	ds_load_b128 v[2:5], v67 offset:8288
	s_wait_dscnt 0x0
	v_mul_f64_e32 v[48:49], v[4:5], v[8:9]
	v_mul_f64_e32 v[8:9], v[2:3], v[8:9]
	s_delay_alu instid0(VALU_DEP_2) | instskip(NEXT) | instid1(VALU_DEP_2)
	v_fma_f64 v[48:49], v[2:3], v[6:7], -v[48:49]
	v_fmac_f64_e32 v[8:9], v[4:5], v[6:7]
	v_mul_f64_e32 v[6:7], v[4:5], v[54:55]
	s_delay_alu instid0(VALU_DEP_3) | instskip(NEXT) | instid1(VALU_DEP_3)
	v_add_f64_e32 v[10:11], v[10:11], v[48:49]
	v_add_f64_e32 v[12:13], v[8:9], v[12:13]
	s_delay_alu instid0(VALU_DEP_3) | instskip(SKIP_1) | instid1(VALU_DEP_2)
	v_fma_f64 v[6:7], v[2:3], v[52:53], -v[6:7]
	v_mul_f64_e32 v[2:3], v[2:3], v[54:55]
	v_add_f64_e32 v[6:7], v[56:57], v[6:7]
	s_delay_alu instid0(VALU_DEP_2) | instskip(NEXT) | instid1(VALU_DEP_1)
	v_fmac_f64_e32 v[2:3], v[4:5], v[52:53]
	v_add_f64_e32 v[8:9], v[2:3], v[58:59]
	ds_load_b128 v[48:51], v67 offset:112
	ds_load_b128 v[56:59], v68 offset:3584
	s_wait_dscnt 0x0
	v_mul_f64_e32 v[2:3], v[50:51], v[58:59]
	v_mul_f64_e32 v[4:5], v[48:49], v[58:59]
	s_delay_alu instid0(VALU_DEP_2) | instskip(NEXT) | instid1(VALU_DEP_2)
	v_fma_f64 v[2:3], v[48:49], v[56:57], -v[2:3]
	v_fmac_f64_e32 v[4:5], v[50:51], v[56:57]
	s_delay_alu instid0(VALU_DEP_2) | instskip(NEXT) | instid1(VALU_DEP_2)
	v_add_f64_e32 v[52:53], v[60:61], v[2:3]
	v_add_f64_e32 v[54:55], v[4:5], v[62:63]
	ds_load_b128 v[2:5], v68 offset:3840
	s_wait_dscnt 0x0
	v_mul_f64_e32 v[60:61], v[50:51], v[4:5]
	v_mul_f64_e32 v[62:63], v[48:49], v[4:5]
	s_delay_alu instid0(VALU_DEP_2) | instskip(NEXT) | instid1(VALU_DEP_2)
	v_fma_f64 v[60:61], v[48:49], v[2:3], -v[60:61]
	v_fmac_f64_e32 v[62:63], v[50:51], v[2:3]
	s_delay_alu instid0(VALU_DEP_2) | instskip(NEXT) | instid1(VALU_DEP_2)
	v_add_f64_e32 v[48:49], v[64:65], v[60:61]
	v_add_f64_e32 v[50:51], v[62:63], v[80:81]
	ds_load_b128 v[60:63], v67 offset:8304
	s_wait_dscnt 0x0
	v_mul_f64_e32 v[64:65], v[62:63], v[58:59]
	v_mul_f64_e32 v[58:59], v[60:61], v[58:59]
	s_delay_alu instid0(VALU_DEP_2) | instskip(NEXT) | instid1(VALU_DEP_2)
	v_fma_f64 v[64:65], v[60:61], v[56:57], -v[64:65]
	v_fmac_f64_e32 v[58:59], v[62:63], v[56:57]
	v_mul_f64_e32 v[56:57], v[62:63], v[4:5]
	v_mul_f64_e32 v[4:5], v[60:61], v[4:5]
	s_delay_alu instid0(VALU_DEP_4) | instskip(NEXT) | instid1(VALU_DEP_4)
	v_add_f64_e32 v[10:11], v[10:11], v[64:65]
	v_add_f64_e32 v[12:13], v[58:59], v[12:13]
	s_delay_alu instid0(VALU_DEP_4) | instskip(NEXT) | instid1(VALU_DEP_4)
	v_fma_f64 v[56:57], v[60:61], v[2:3], -v[56:57]
	v_fmac_f64_e32 v[4:5], v[62:63], v[2:3]
	s_delay_alu instid0(VALU_DEP_2) | instskip(NEXT) | instid1(VALU_DEP_2)
	v_add_f64_e32 v[56:57], v[6:7], v[56:57]
	v_add_f64_e32 v[58:59], v[4:5], v[8:9]
	ds_load_b128 v[2:5], v67 offset:128
	ds_load_b128 v[6:9], v68 offset:4096
	s_wait_dscnt 0x0
	v_mul_f64_e32 v[60:61], v[4:5], v[8:9]
	v_mul_f64_e32 v[62:63], v[2:3], v[8:9]
	s_delay_alu instid0(VALU_DEP_2) | instskip(NEXT) | instid1(VALU_DEP_2)
	v_fma_f64 v[60:61], v[2:3], v[6:7], -v[60:61]
	v_fmac_f64_e32 v[62:63], v[4:5], v[6:7]
	s_delay_alu instid0(VALU_DEP_2) | instskip(NEXT) | instid1(VALU_DEP_2)
	v_add_f64_e32 v[60:61], v[52:53], v[60:61]
	v_add_f64_e32 v[62:63], v[62:63], v[54:55]
	ds_load_b128 v[52:55], v68 offset:4352
	s_wait_dscnt 0x0
	v_mul_f64_e32 v[64:65], v[4:5], v[54:55]
	s_delay_alu instid0(VALU_DEP_1) | instskip(SKIP_1) | instid1(VALU_DEP_2)
	v_fma_f64 v[64:65], v[2:3], v[52:53], -v[64:65]
	v_mul_f64_e32 v[2:3], v[2:3], v[54:55]
	v_add_f64_e32 v[64:65], v[48:49], v[64:65]
	s_delay_alu instid0(VALU_DEP_2) | instskip(NEXT) | instid1(VALU_DEP_1)
	v_fmac_f64_e32 v[2:3], v[4:5], v[52:53]
	v_add_f64_e32 v[80:81], v[2:3], v[50:51]
	ds_load_b128 v[2:5], v67 offset:8320
	s_wait_dscnt 0x0
	v_mul_f64_e32 v[48:49], v[4:5], v[8:9]
	v_mul_f64_e32 v[8:9], v[2:3], v[8:9]
	s_delay_alu instid0(VALU_DEP_2) | instskip(NEXT) | instid1(VALU_DEP_2)
	v_fma_f64 v[48:49], v[2:3], v[6:7], -v[48:49]
	v_fmac_f64_e32 v[8:9], v[4:5], v[6:7]
	v_mul_f64_e32 v[6:7], v[4:5], v[54:55]
	s_delay_alu instid0(VALU_DEP_3) | instskip(NEXT) | instid1(VALU_DEP_3)
	v_add_f64_e32 v[10:11], v[10:11], v[48:49]
	v_add_f64_e32 v[12:13], v[8:9], v[12:13]
	s_delay_alu instid0(VALU_DEP_3) | instskip(SKIP_1) | instid1(VALU_DEP_2)
	v_fma_f64 v[6:7], v[2:3], v[52:53], -v[6:7]
	v_mul_f64_e32 v[2:3], v[2:3], v[54:55]
	v_add_f64_e32 v[6:7], v[56:57], v[6:7]
	s_delay_alu instid0(VALU_DEP_2) | instskip(NEXT) | instid1(VALU_DEP_1)
	v_fmac_f64_e32 v[2:3], v[4:5], v[52:53]
	v_add_f64_e32 v[8:9], v[2:3], v[58:59]
	ds_load_b128 v[48:51], v67 offset:144
	ds_load_b128 v[56:59], v68 offset:4608
	s_wait_dscnt 0x0
	v_mul_f64_e32 v[2:3], v[50:51], v[58:59]
	v_mul_f64_e32 v[4:5], v[48:49], v[58:59]
	s_delay_alu instid0(VALU_DEP_2) | instskip(NEXT) | instid1(VALU_DEP_2)
	v_fma_f64 v[2:3], v[48:49], v[56:57], -v[2:3]
	v_fmac_f64_e32 v[4:5], v[50:51], v[56:57]
	s_delay_alu instid0(VALU_DEP_2) | instskip(NEXT) | instid1(VALU_DEP_2)
	v_add_f64_e32 v[52:53], v[60:61], v[2:3]
	v_add_f64_e32 v[54:55], v[4:5], v[62:63]
	ds_load_b128 v[2:5], v68 offset:4864
	s_wait_dscnt 0x0
	v_mul_f64_e32 v[60:61], v[50:51], v[4:5]
	v_mul_f64_e32 v[62:63], v[48:49], v[4:5]
	s_delay_alu instid0(VALU_DEP_2) | instskip(NEXT) | instid1(VALU_DEP_2)
	v_fma_f64 v[60:61], v[48:49], v[2:3], -v[60:61]
	v_fmac_f64_e32 v[62:63], v[50:51], v[2:3]
	s_delay_alu instid0(VALU_DEP_2) | instskip(NEXT) | instid1(VALU_DEP_2)
	v_add_f64_e32 v[48:49], v[64:65], v[60:61]
	v_add_f64_e32 v[50:51], v[62:63], v[80:81]
	ds_load_b128 v[60:63], v67 offset:8336
	s_wait_dscnt 0x0
	v_mul_f64_e32 v[64:65], v[62:63], v[58:59]
	v_mul_f64_e32 v[58:59], v[60:61], v[58:59]
	s_delay_alu instid0(VALU_DEP_2) | instskip(NEXT) | instid1(VALU_DEP_2)
	v_fma_f64 v[64:65], v[60:61], v[56:57], -v[64:65]
	v_fmac_f64_e32 v[58:59], v[62:63], v[56:57]
	v_mul_f64_e32 v[56:57], v[62:63], v[4:5]
	v_mul_f64_e32 v[4:5], v[60:61], v[4:5]
	s_delay_alu instid0(VALU_DEP_4) | instskip(NEXT) | instid1(VALU_DEP_4)
	v_add_f64_e32 v[10:11], v[10:11], v[64:65]
	v_add_f64_e32 v[12:13], v[58:59], v[12:13]
	s_delay_alu instid0(VALU_DEP_4) | instskip(NEXT) | instid1(VALU_DEP_4)
	v_fma_f64 v[56:57], v[60:61], v[2:3], -v[56:57]
	v_fmac_f64_e32 v[4:5], v[62:63], v[2:3]
	s_delay_alu instid0(VALU_DEP_2) | instskip(NEXT) | instid1(VALU_DEP_2)
	v_add_f64_e32 v[56:57], v[6:7], v[56:57]
	v_add_f64_e32 v[58:59], v[4:5], v[8:9]
	ds_load_b128 v[2:5], v67 offset:160
	ds_load_b128 v[6:9], v68 offset:5120
	s_wait_dscnt 0x0
	v_mul_f64_e32 v[60:61], v[4:5], v[8:9]
	v_mul_f64_e32 v[62:63], v[2:3], v[8:9]
	s_delay_alu instid0(VALU_DEP_2) | instskip(NEXT) | instid1(VALU_DEP_2)
	v_fma_f64 v[60:61], v[2:3], v[6:7], -v[60:61]
	v_fmac_f64_e32 v[62:63], v[4:5], v[6:7]
	s_delay_alu instid0(VALU_DEP_2) | instskip(NEXT) | instid1(VALU_DEP_2)
	v_add_f64_e32 v[60:61], v[52:53], v[60:61]
	v_add_f64_e32 v[62:63], v[62:63], v[54:55]
	ds_load_b128 v[52:55], v68 offset:5376
	s_wait_dscnt 0x0
	v_mul_f64_e32 v[64:65], v[4:5], v[54:55]
	s_delay_alu instid0(VALU_DEP_1) | instskip(SKIP_1) | instid1(VALU_DEP_2)
	v_fma_f64 v[64:65], v[2:3], v[52:53], -v[64:65]
	v_mul_f64_e32 v[2:3], v[2:3], v[54:55]
	v_add_f64_e32 v[64:65], v[48:49], v[64:65]
	s_delay_alu instid0(VALU_DEP_2) | instskip(NEXT) | instid1(VALU_DEP_1)
	v_fmac_f64_e32 v[2:3], v[4:5], v[52:53]
	v_add_f64_e32 v[80:81], v[2:3], v[50:51]
	ds_load_b128 v[2:5], v67 offset:8352
	s_wait_dscnt 0x0
	v_mul_f64_e32 v[48:49], v[4:5], v[8:9]
	v_mul_f64_e32 v[8:9], v[2:3], v[8:9]
	s_delay_alu instid0(VALU_DEP_2) | instskip(NEXT) | instid1(VALU_DEP_2)
	v_fma_f64 v[48:49], v[2:3], v[6:7], -v[48:49]
	v_fmac_f64_e32 v[8:9], v[4:5], v[6:7]
	v_mul_f64_e32 v[6:7], v[4:5], v[54:55]
	s_delay_alu instid0(VALU_DEP_3) | instskip(NEXT) | instid1(VALU_DEP_3)
	v_add_f64_e32 v[10:11], v[10:11], v[48:49]
	v_add_f64_e32 v[12:13], v[8:9], v[12:13]
	s_delay_alu instid0(VALU_DEP_3) | instskip(SKIP_1) | instid1(VALU_DEP_2)
	v_fma_f64 v[6:7], v[2:3], v[52:53], -v[6:7]
	v_mul_f64_e32 v[2:3], v[2:3], v[54:55]
	v_add_f64_e32 v[6:7], v[56:57], v[6:7]
	s_delay_alu instid0(VALU_DEP_2) | instskip(NEXT) | instid1(VALU_DEP_1)
	v_fmac_f64_e32 v[2:3], v[4:5], v[52:53]
	v_add_f64_e32 v[8:9], v[2:3], v[58:59]
	ds_load_b128 v[48:51], v67 offset:176
	ds_load_b128 v[56:59], v68 offset:5632
	s_wait_dscnt 0x0
	v_mul_f64_e32 v[2:3], v[50:51], v[58:59]
	v_mul_f64_e32 v[4:5], v[48:49], v[58:59]
	s_delay_alu instid0(VALU_DEP_2) | instskip(NEXT) | instid1(VALU_DEP_2)
	v_fma_f64 v[2:3], v[48:49], v[56:57], -v[2:3]
	v_fmac_f64_e32 v[4:5], v[50:51], v[56:57]
	s_delay_alu instid0(VALU_DEP_2) | instskip(NEXT) | instid1(VALU_DEP_2)
	v_add_f64_e32 v[52:53], v[60:61], v[2:3]
	v_add_f64_e32 v[54:55], v[4:5], v[62:63]
	ds_load_b128 v[2:5], v68 offset:5888
	s_wait_dscnt 0x0
	v_mul_f64_e32 v[60:61], v[50:51], v[4:5]
	v_mul_f64_e32 v[62:63], v[48:49], v[4:5]
	s_delay_alu instid0(VALU_DEP_2) | instskip(NEXT) | instid1(VALU_DEP_2)
	v_fma_f64 v[60:61], v[48:49], v[2:3], -v[60:61]
	v_fmac_f64_e32 v[62:63], v[50:51], v[2:3]
	s_delay_alu instid0(VALU_DEP_2) | instskip(NEXT) | instid1(VALU_DEP_2)
	v_add_f64_e32 v[48:49], v[64:65], v[60:61]
	v_add_f64_e32 v[50:51], v[62:63], v[80:81]
	ds_load_b128 v[60:63], v67 offset:8368
	s_wait_dscnt 0x0
	v_mul_f64_e32 v[64:65], v[62:63], v[58:59]
	v_mul_f64_e32 v[58:59], v[60:61], v[58:59]
	s_delay_alu instid0(VALU_DEP_2) | instskip(NEXT) | instid1(VALU_DEP_2)
	v_fma_f64 v[64:65], v[60:61], v[56:57], -v[64:65]
	v_fmac_f64_e32 v[58:59], v[62:63], v[56:57]
	v_mul_f64_e32 v[56:57], v[62:63], v[4:5]
	v_mul_f64_e32 v[4:5], v[60:61], v[4:5]
	s_delay_alu instid0(VALU_DEP_4) | instskip(NEXT) | instid1(VALU_DEP_4)
	v_add_f64_e32 v[10:11], v[10:11], v[64:65]
	v_add_f64_e32 v[12:13], v[58:59], v[12:13]
	s_delay_alu instid0(VALU_DEP_4) | instskip(NEXT) | instid1(VALU_DEP_4)
	v_fma_f64 v[56:57], v[60:61], v[2:3], -v[56:57]
	v_fmac_f64_e32 v[4:5], v[62:63], v[2:3]
	s_delay_alu instid0(VALU_DEP_2) | instskip(NEXT) | instid1(VALU_DEP_2)
	v_add_f64_e32 v[56:57], v[6:7], v[56:57]
	v_add_f64_e32 v[58:59], v[4:5], v[8:9]
	ds_load_b128 v[2:5], v67 offset:192
	ds_load_b128 v[6:9], v68 offset:6144
	s_wait_dscnt 0x0
	v_mul_f64_e32 v[60:61], v[4:5], v[8:9]
	v_mul_f64_e32 v[62:63], v[2:3], v[8:9]
	s_delay_alu instid0(VALU_DEP_2) | instskip(NEXT) | instid1(VALU_DEP_2)
	v_fma_f64 v[60:61], v[2:3], v[6:7], -v[60:61]
	v_fmac_f64_e32 v[62:63], v[4:5], v[6:7]
	s_delay_alu instid0(VALU_DEP_2) | instskip(NEXT) | instid1(VALU_DEP_2)
	v_add_f64_e32 v[60:61], v[52:53], v[60:61]
	v_add_f64_e32 v[62:63], v[62:63], v[54:55]
	ds_load_b128 v[52:55], v68 offset:6400
	s_wait_dscnt 0x0
	v_mul_f64_e32 v[64:65], v[4:5], v[54:55]
	s_delay_alu instid0(VALU_DEP_1) | instskip(SKIP_1) | instid1(VALU_DEP_2)
	v_fma_f64 v[64:65], v[2:3], v[52:53], -v[64:65]
	v_mul_f64_e32 v[2:3], v[2:3], v[54:55]
	v_add_f64_e32 v[64:65], v[48:49], v[64:65]
	s_delay_alu instid0(VALU_DEP_2) | instskip(NEXT) | instid1(VALU_DEP_1)
	v_fmac_f64_e32 v[2:3], v[4:5], v[52:53]
	v_add_f64_e32 v[80:81], v[2:3], v[50:51]
	ds_load_b128 v[2:5], v67 offset:8384
	s_wait_dscnt 0x0
	v_mul_f64_e32 v[48:49], v[4:5], v[8:9]
	v_mul_f64_e32 v[8:9], v[2:3], v[8:9]
	s_delay_alu instid0(VALU_DEP_2) | instskip(NEXT) | instid1(VALU_DEP_2)
	v_fma_f64 v[48:49], v[2:3], v[6:7], -v[48:49]
	v_fmac_f64_e32 v[8:9], v[4:5], v[6:7]
	v_mul_f64_e32 v[6:7], v[4:5], v[54:55]
	s_delay_alu instid0(VALU_DEP_3) | instskip(NEXT) | instid1(VALU_DEP_3)
	v_add_f64_e32 v[10:11], v[10:11], v[48:49]
	v_add_f64_e32 v[12:13], v[8:9], v[12:13]
	s_delay_alu instid0(VALU_DEP_3) | instskip(SKIP_1) | instid1(VALU_DEP_2)
	v_fma_f64 v[6:7], v[2:3], v[52:53], -v[6:7]
	v_mul_f64_e32 v[2:3], v[2:3], v[54:55]
	v_add_f64_e32 v[6:7], v[56:57], v[6:7]
	s_delay_alu instid0(VALU_DEP_2) | instskip(NEXT) | instid1(VALU_DEP_1)
	v_fmac_f64_e32 v[2:3], v[4:5], v[52:53]
	v_add_f64_e32 v[8:9], v[2:3], v[58:59]
	ds_load_b128 v[48:51], v67 offset:208
	ds_load_b128 v[56:59], v68 offset:6656
	s_wait_dscnt 0x0
	v_mul_f64_e32 v[2:3], v[50:51], v[58:59]
	v_mul_f64_e32 v[4:5], v[48:49], v[58:59]
	s_delay_alu instid0(VALU_DEP_2) | instskip(NEXT) | instid1(VALU_DEP_2)
	v_fma_f64 v[2:3], v[48:49], v[56:57], -v[2:3]
	v_fmac_f64_e32 v[4:5], v[50:51], v[56:57]
	s_delay_alu instid0(VALU_DEP_2) | instskip(NEXT) | instid1(VALU_DEP_2)
	v_add_f64_e32 v[52:53], v[60:61], v[2:3]
	v_add_f64_e32 v[54:55], v[4:5], v[62:63]
	ds_load_b128 v[2:5], v68 offset:6912
	s_wait_dscnt 0x0
	v_mul_f64_e32 v[60:61], v[50:51], v[4:5]
	v_mul_f64_e32 v[62:63], v[48:49], v[4:5]
	s_delay_alu instid0(VALU_DEP_2) | instskip(NEXT) | instid1(VALU_DEP_2)
	v_fma_f64 v[60:61], v[48:49], v[2:3], -v[60:61]
	v_fmac_f64_e32 v[62:63], v[50:51], v[2:3]
	s_delay_alu instid0(VALU_DEP_2) | instskip(NEXT) | instid1(VALU_DEP_2)
	v_add_f64_e32 v[48:49], v[64:65], v[60:61]
	v_add_f64_e32 v[50:51], v[62:63], v[80:81]
	ds_load_b128 v[60:63], v67 offset:8400
	s_wait_dscnt 0x0
	v_mul_f64_e32 v[64:65], v[62:63], v[58:59]
	v_mul_f64_e32 v[58:59], v[60:61], v[58:59]
	s_delay_alu instid0(VALU_DEP_2) | instskip(NEXT) | instid1(VALU_DEP_2)
	v_fma_f64 v[64:65], v[60:61], v[56:57], -v[64:65]
	v_fmac_f64_e32 v[58:59], v[62:63], v[56:57]
	v_mul_f64_e32 v[56:57], v[62:63], v[4:5]
	v_mul_f64_e32 v[4:5], v[60:61], v[4:5]
	s_delay_alu instid0(VALU_DEP_4) | instskip(NEXT) | instid1(VALU_DEP_4)
	v_add_f64_e32 v[10:11], v[10:11], v[64:65]
	v_add_f64_e32 v[12:13], v[58:59], v[12:13]
	s_delay_alu instid0(VALU_DEP_4) | instskip(NEXT) | instid1(VALU_DEP_4)
	v_fma_f64 v[56:57], v[60:61], v[2:3], -v[56:57]
	v_fmac_f64_e32 v[4:5], v[62:63], v[2:3]
	s_delay_alu instid0(VALU_DEP_2) | instskip(NEXT) | instid1(VALU_DEP_2)
	v_add_f64_e32 v[56:57], v[6:7], v[56:57]
	v_add_f64_e32 v[58:59], v[4:5], v[8:9]
	ds_load_b128 v[2:5], v67 offset:224
	ds_load_b128 v[6:9], v68 offset:7168
	s_wait_dscnt 0x0
	v_mul_f64_e32 v[60:61], v[4:5], v[8:9]
	v_mul_f64_e32 v[62:63], v[2:3], v[8:9]
	s_delay_alu instid0(VALU_DEP_2) | instskip(NEXT) | instid1(VALU_DEP_2)
	v_fma_f64 v[60:61], v[2:3], v[6:7], -v[60:61]
	v_fmac_f64_e32 v[62:63], v[4:5], v[6:7]
	s_delay_alu instid0(VALU_DEP_2) | instskip(NEXT) | instid1(VALU_DEP_2)
	v_add_f64_e32 v[60:61], v[52:53], v[60:61]
	v_add_f64_e32 v[62:63], v[62:63], v[54:55]
	ds_load_b128 v[52:55], v68 offset:7424
	s_wait_dscnt 0x0
	v_mul_f64_e32 v[64:65], v[4:5], v[54:55]
	s_delay_alu instid0(VALU_DEP_1) | instskip(SKIP_1) | instid1(VALU_DEP_2)
	v_fma_f64 v[64:65], v[2:3], v[52:53], -v[64:65]
	v_mul_f64_e32 v[2:3], v[2:3], v[54:55]
	v_add_f64_e32 v[64:65], v[48:49], v[64:65]
	s_delay_alu instid0(VALU_DEP_2) | instskip(NEXT) | instid1(VALU_DEP_1)
	v_fmac_f64_e32 v[2:3], v[4:5], v[52:53]
	v_add_f64_e32 v[80:81], v[2:3], v[50:51]
	ds_load_b128 v[2:5], v67 offset:8416
	s_wait_dscnt 0x0
	v_mul_f64_e32 v[48:49], v[4:5], v[8:9]
	v_mul_f64_e32 v[8:9], v[2:3], v[8:9]
	s_delay_alu instid0(VALU_DEP_2) | instskip(NEXT) | instid1(VALU_DEP_2)
	v_fma_f64 v[48:49], v[2:3], v[6:7], -v[48:49]
	v_fmac_f64_e32 v[8:9], v[4:5], v[6:7]
	v_mul_f64_e32 v[6:7], v[4:5], v[54:55]
	s_delay_alu instid0(VALU_DEP_3) | instskip(NEXT) | instid1(VALU_DEP_3)
	v_add_f64_e32 v[10:11], v[10:11], v[48:49]
	v_add_f64_e32 v[12:13], v[8:9], v[12:13]
	s_delay_alu instid0(VALU_DEP_3) | instskip(SKIP_1) | instid1(VALU_DEP_2)
	v_fma_f64 v[6:7], v[2:3], v[52:53], -v[6:7]
	v_mul_f64_e32 v[2:3], v[2:3], v[54:55]
	v_add_f64_e32 v[6:7], v[56:57], v[6:7]
	s_delay_alu instid0(VALU_DEP_2) | instskip(NEXT) | instid1(VALU_DEP_1)
	v_fmac_f64_e32 v[2:3], v[4:5], v[52:53]
	v_add_f64_e32 v[8:9], v[2:3], v[58:59]
	ds_load_b128 v[48:51], v67 offset:240
	ds_load_b128 v[56:59], v68 offset:7680
	s_wait_dscnt 0x0
	v_mul_f64_e32 v[2:3], v[50:51], v[58:59]
	v_mul_f64_e32 v[4:5], v[48:49], v[58:59]
	s_delay_alu instid0(VALU_DEP_2) | instskip(NEXT) | instid1(VALU_DEP_2)
	v_fma_f64 v[2:3], v[48:49], v[56:57], -v[2:3]
	v_fmac_f64_e32 v[4:5], v[50:51], v[56:57]
	s_delay_alu instid0(VALU_DEP_2) | instskip(NEXT) | instid1(VALU_DEP_2)
	v_add_f64_e32 v[52:53], v[60:61], v[2:3]
	v_add_f64_e32 v[54:55], v[4:5], v[62:63]
	ds_load_b128 v[2:5], v68 offset:7936
	s_wait_dscnt 0x0
	v_mul_f64_e32 v[60:61], v[50:51], v[4:5]
	v_mul_f64_e32 v[62:63], v[48:49], v[4:5]
	s_delay_alu instid0(VALU_DEP_2) | instskip(NEXT) | instid1(VALU_DEP_2)
	v_fma_f64 v[60:61], v[48:49], v[2:3], -v[60:61]
	v_fmac_f64_e32 v[62:63], v[50:51], v[2:3]
	s_delay_alu instid0(VALU_DEP_2) | instskip(NEXT) | instid1(VALU_DEP_2)
	v_add_f64_e32 v[48:49], v[64:65], v[60:61]
	v_add_f64_e32 v[50:51], v[62:63], v[80:81]
	ds_load_b128 v[60:63], v67 offset:8432
	s_wait_dscnt 0x0
	v_mul_f64_e32 v[64:65], v[62:63], v[58:59]
	v_mul_f64_e32 v[58:59], v[60:61], v[58:59]
	s_delay_alu instid0(VALU_DEP_2) | instskip(NEXT) | instid1(VALU_DEP_2)
	v_fma_f64 v[64:65], v[60:61], v[56:57], -v[64:65]
	v_fmac_f64_e32 v[58:59], v[62:63], v[56:57]
	v_mul_f64_e32 v[56:57], v[62:63], v[4:5]
	v_mul_f64_e32 v[4:5], v[60:61], v[4:5]
	s_delay_alu instid0(VALU_DEP_4) | instskip(NEXT) | instid1(VALU_DEP_4)
	v_add_f64_e32 v[10:11], v[10:11], v[64:65]
	v_add_f64_e32 v[12:13], v[58:59], v[12:13]
	s_delay_alu instid0(VALU_DEP_4) | instskip(NEXT) | instid1(VALU_DEP_4)
	v_fma_f64 v[56:57], v[60:61], v[2:3], -v[56:57]
	v_fmac_f64_e32 v[4:5], v[62:63], v[2:3]
	s_delay_alu instid0(VALU_DEP_2) | instskip(NEXT) | instid1(VALU_DEP_2)
	v_add_f64_e32 v[56:57], v[6:7], v[56:57]
	v_add_f64_e32 v[58:59], v[4:5], v[8:9]
	ds_load_b128 v[2:5], v67 offset:256
	ds_load_b128 v[6:9], v68 offset:8192
	s_wait_dscnt 0x0
	v_mul_f64_e32 v[60:61], v[4:5], v[8:9]
	v_mul_f64_e32 v[62:63], v[2:3], v[8:9]
	s_delay_alu instid0(VALU_DEP_2) | instskip(NEXT) | instid1(VALU_DEP_2)
	v_fma_f64 v[60:61], v[2:3], v[6:7], -v[60:61]
	v_fmac_f64_e32 v[62:63], v[4:5], v[6:7]
	s_delay_alu instid0(VALU_DEP_2) | instskip(NEXT) | instid1(VALU_DEP_2)
	v_add_f64_e32 v[60:61], v[52:53], v[60:61]
	v_add_f64_e32 v[62:63], v[62:63], v[54:55]
	ds_load_b128 v[52:55], v68 offset:8448
	s_wait_dscnt 0x0
	v_mul_f64_e32 v[64:65], v[4:5], v[54:55]
	s_delay_alu instid0(VALU_DEP_1) | instskip(SKIP_1) | instid1(VALU_DEP_2)
	v_fma_f64 v[64:65], v[2:3], v[52:53], -v[64:65]
	v_mul_f64_e32 v[2:3], v[2:3], v[54:55]
	v_add_f64_e32 v[64:65], v[48:49], v[64:65]
	s_delay_alu instid0(VALU_DEP_2) | instskip(NEXT) | instid1(VALU_DEP_1)
	v_fmac_f64_e32 v[2:3], v[4:5], v[52:53]
	v_add_f64_e32 v[80:81], v[2:3], v[50:51]
	ds_load_b128 v[2:5], v67 offset:8448
	s_wait_dscnt 0x0
	v_mul_f64_e32 v[48:49], v[4:5], v[8:9]
	v_mul_f64_e32 v[8:9], v[2:3], v[8:9]
	s_delay_alu instid0(VALU_DEP_2) | instskip(NEXT) | instid1(VALU_DEP_2)
	v_fma_f64 v[48:49], v[2:3], v[6:7], -v[48:49]
	v_fmac_f64_e32 v[8:9], v[4:5], v[6:7]
	v_mul_f64_e32 v[6:7], v[4:5], v[54:55]
	s_delay_alu instid0(VALU_DEP_3) | instskip(NEXT) | instid1(VALU_DEP_3)
	v_add_f64_e32 v[10:11], v[10:11], v[48:49]
	v_add_f64_e32 v[12:13], v[8:9], v[12:13]
	s_delay_alu instid0(VALU_DEP_3) | instskip(SKIP_1) | instid1(VALU_DEP_2)
	v_fma_f64 v[6:7], v[2:3], v[52:53], -v[6:7]
	v_mul_f64_e32 v[2:3], v[2:3], v[54:55]
	v_add_f64_e32 v[6:7], v[56:57], v[6:7]
	s_delay_alu instid0(VALU_DEP_2) | instskip(NEXT) | instid1(VALU_DEP_1)
	v_fmac_f64_e32 v[2:3], v[4:5], v[52:53]
	v_add_f64_e32 v[8:9], v[2:3], v[58:59]
	ds_load_b128 v[48:51], v67 offset:272
	ds_load_b128 v[56:59], v68 offset:8704
	s_wait_dscnt 0x0
	v_mul_f64_e32 v[2:3], v[50:51], v[58:59]
	v_mul_f64_e32 v[4:5], v[48:49], v[58:59]
	s_delay_alu instid0(VALU_DEP_2) | instskip(NEXT) | instid1(VALU_DEP_2)
	v_fma_f64 v[2:3], v[48:49], v[56:57], -v[2:3]
	v_fmac_f64_e32 v[4:5], v[50:51], v[56:57]
	s_delay_alu instid0(VALU_DEP_2) | instskip(NEXT) | instid1(VALU_DEP_2)
	v_add_f64_e32 v[52:53], v[60:61], v[2:3]
	v_add_f64_e32 v[54:55], v[4:5], v[62:63]
	ds_load_b128 v[2:5], v68 offset:8960
	s_wait_dscnt 0x0
	v_mul_f64_e32 v[60:61], v[50:51], v[4:5]
	v_mul_f64_e32 v[62:63], v[48:49], v[4:5]
	s_delay_alu instid0(VALU_DEP_2) | instskip(NEXT) | instid1(VALU_DEP_2)
	v_fma_f64 v[60:61], v[48:49], v[2:3], -v[60:61]
	v_fmac_f64_e32 v[62:63], v[50:51], v[2:3]
	s_delay_alu instid0(VALU_DEP_2) | instskip(NEXT) | instid1(VALU_DEP_2)
	v_add_f64_e32 v[48:49], v[64:65], v[60:61]
	v_add_f64_e32 v[50:51], v[62:63], v[80:81]
	ds_load_b128 v[60:63], v67 offset:8464
	s_wait_dscnt 0x0
	v_mul_f64_e32 v[64:65], v[62:63], v[58:59]
	v_mul_f64_e32 v[58:59], v[60:61], v[58:59]
	s_delay_alu instid0(VALU_DEP_2) | instskip(NEXT) | instid1(VALU_DEP_2)
	v_fma_f64 v[64:65], v[60:61], v[56:57], -v[64:65]
	v_fmac_f64_e32 v[58:59], v[62:63], v[56:57]
	v_mul_f64_e32 v[56:57], v[62:63], v[4:5]
	v_mul_f64_e32 v[4:5], v[60:61], v[4:5]
	s_delay_alu instid0(VALU_DEP_4) | instskip(NEXT) | instid1(VALU_DEP_4)
	v_add_f64_e32 v[10:11], v[10:11], v[64:65]
	v_add_f64_e32 v[12:13], v[58:59], v[12:13]
	s_delay_alu instid0(VALU_DEP_4) | instskip(NEXT) | instid1(VALU_DEP_4)
	v_fma_f64 v[56:57], v[60:61], v[2:3], -v[56:57]
	v_fmac_f64_e32 v[4:5], v[62:63], v[2:3]
	s_delay_alu instid0(VALU_DEP_2) | instskip(NEXT) | instid1(VALU_DEP_2)
	v_add_f64_e32 v[56:57], v[6:7], v[56:57]
	v_add_f64_e32 v[58:59], v[4:5], v[8:9]
	ds_load_b128 v[2:5], v67 offset:288
	ds_load_b128 v[6:9], v68 offset:9216
	s_wait_dscnt 0x0
	v_mul_f64_e32 v[60:61], v[4:5], v[8:9]
	v_mul_f64_e32 v[62:63], v[2:3], v[8:9]
	s_delay_alu instid0(VALU_DEP_2) | instskip(NEXT) | instid1(VALU_DEP_2)
	v_fma_f64 v[60:61], v[2:3], v[6:7], -v[60:61]
	v_fmac_f64_e32 v[62:63], v[4:5], v[6:7]
	s_delay_alu instid0(VALU_DEP_2) | instskip(NEXT) | instid1(VALU_DEP_2)
	v_add_f64_e32 v[60:61], v[52:53], v[60:61]
	v_add_f64_e32 v[62:63], v[62:63], v[54:55]
	ds_load_b128 v[52:55], v68 offset:9472
	s_wait_dscnt 0x0
	v_mul_f64_e32 v[64:65], v[4:5], v[54:55]
	s_delay_alu instid0(VALU_DEP_1) | instskip(SKIP_1) | instid1(VALU_DEP_2)
	v_fma_f64 v[64:65], v[2:3], v[52:53], -v[64:65]
	v_mul_f64_e32 v[2:3], v[2:3], v[54:55]
	v_add_f64_e32 v[64:65], v[48:49], v[64:65]
	s_delay_alu instid0(VALU_DEP_2) | instskip(NEXT) | instid1(VALU_DEP_1)
	v_fmac_f64_e32 v[2:3], v[4:5], v[52:53]
	v_add_f64_e32 v[80:81], v[2:3], v[50:51]
	ds_load_b128 v[2:5], v67 offset:8480
	s_wait_dscnt 0x0
	v_mul_f64_e32 v[48:49], v[4:5], v[8:9]
	v_mul_f64_e32 v[8:9], v[2:3], v[8:9]
	s_delay_alu instid0(VALU_DEP_2) | instskip(NEXT) | instid1(VALU_DEP_2)
	v_fma_f64 v[48:49], v[2:3], v[6:7], -v[48:49]
	v_fmac_f64_e32 v[8:9], v[4:5], v[6:7]
	v_mul_f64_e32 v[6:7], v[4:5], v[54:55]
	s_delay_alu instid0(VALU_DEP_3) | instskip(NEXT) | instid1(VALU_DEP_3)
	v_add_f64_e32 v[10:11], v[10:11], v[48:49]
	v_add_f64_e32 v[12:13], v[8:9], v[12:13]
	s_delay_alu instid0(VALU_DEP_3) | instskip(SKIP_1) | instid1(VALU_DEP_2)
	v_fma_f64 v[6:7], v[2:3], v[52:53], -v[6:7]
	v_mul_f64_e32 v[2:3], v[2:3], v[54:55]
	v_add_f64_e32 v[6:7], v[56:57], v[6:7]
	s_delay_alu instid0(VALU_DEP_2) | instskip(NEXT) | instid1(VALU_DEP_1)
	v_fmac_f64_e32 v[2:3], v[4:5], v[52:53]
	v_add_f64_e32 v[8:9], v[2:3], v[58:59]
	ds_load_b128 v[48:51], v67 offset:304
	ds_load_b128 v[56:59], v68 offset:9728
	s_wait_dscnt 0x0
	v_mul_f64_e32 v[2:3], v[50:51], v[58:59]
	v_mul_f64_e32 v[4:5], v[48:49], v[58:59]
	s_delay_alu instid0(VALU_DEP_2) | instskip(NEXT) | instid1(VALU_DEP_2)
	v_fma_f64 v[2:3], v[48:49], v[56:57], -v[2:3]
	v_fmac_f64_e32 v[4:5], v[50:51], v[56:57]
	s_delay_alu instid0(VALU_DEP_2) | instskip(NEXT) | instid1(VALU_DEP_2)
	v_add_f64_e32 v[52:53], v[60:61], v[2:3]
	v_add_f64_e32 v[54:55], v[4:5], v[62:63]
	ds_load_b128 v[2:5], v68 offset:9984
	s_wait_dscnt 0x0
	v_mul_f64_e32 v[60:61], v[50:51], v[4:5]
	v_mul_f64_e32 v[62:63], v[48:49], v[4:5]
	s_delay_alu instid0(VALU_DEP_2) | instskip(NEXT) | instid1(VALU_DEP_2)
	v_fma_f64 v[60:61], v[48:49], v[2:3], -v[60:61]
	v_fmac_f64_e32 v[62:63], v[50:51], v[2:3]
	s_delay_alu instid0(VALU_DEP_2) | instskip(NEXT) | instid1(VALU_DEP_2)
	v_add_f64_e32 v[48:49], v[64:65], v[60:61]
	v_add_f64_e32 v[50:51], v[62:63], v[80:81]
	ds_load_b128 v[60:63], v67 offset:8496
	s_wait_dscnt 0x0
	v_mul_f64_e32 v[64:65], v[62:63], v[58:59]
	v_mul_f64_e32 v[58:59], v[60:61], v[58:59]
	s_delay_alu instid0(VALU_DEP_2) | instskip(NEXT) | instid1(VALU_DEP_2)
	v_fma_f64 v[64:65], v[60:61], v[56:57], -v[64:65]
	v_fmac_f64_e32 v[58:59], v[62:63], v[56:57]
	v_mul_f64_e32 v[56:57], v[62:63], v[4:5]
	v_mul_f64_e32 v[4:5], v[60:61], v[4:5]
	s_delay_alu instid0(VALU_DEP_4) | instskip(NEXT) | instid1(VALU_DEP_4)
	v_add_f64_e32 v[10:11], v[10:11], v[64:65]
	v_add_f64_e32 v[12:13], v[58:59], v[12:13]
	s_delay_alu instid0(VALU_DEP_4) | instskip(NEXT) | instid1(VALU_DEP_4)
	v_fma_f64 v[56:57], v[60:61], v[2:3], -v[56:57]
	v_fmac_f64_e32 v[4:5], v[62:63], v[2:3]
	s_delay_alu instid0(VALU_DEP_2) | instskip(NEXT) | instid1(VALU_DEP_2)
	v_add_f64_e32 v[56:57], v[6:7], v[56:57]
	v_add_f64_e32 v[58:59], v[4:5], v[8:9]
	ds_load_b128 v[2:5], v67 offset:320
	ds_load_b128 v[6:9], v68 offset:10240
	s_wait_dscnt 0x0
	v_mul_f64_e32 v[60:61], v[4:5], v[8:9]
	v_mul_f64_e32 v[62:63], v[2:3], v[8:9]
	s_delay_alu instid0(VALU_DEP_2) | instskip(NEXT) | instid1(VALU_DEP_2)
	v_fma_f64 v[60:61], v[2:3], v[6:7], -v[60:61]
	v_fmac_f64_e32 v[62:63], v[4:5], v[6:7]
	s_delay_alu instid0(VALU_DEP_2) | instskip(NEXT) | instid1(VALU_DEP_2)
	v_add_f64_e32 v[60:61], v[52:53], v[60:61]
	v_add_f64_e32 v[62:63], v[62:63], v[54:55]
	ds_load_b128 v[52:55], v68 offset:10496
	s_wait_dscnt 0x0
	v_mul_f64_e32 v[64:65], v[4:5], v[54:55]
	s_delay_alu instid0(VALU_DEP_1) | instskip(SKIP_1) | instid1(VALU_DEP_2)
	v_fma_f64 v[64:65], v[2:3], v[52:53], -v[64:65]
	v_mul_f64_e32 v[2:3], v[2:3], v[54:55]
	v_add_f64_e32 v[64:65], v[48:49], v[64:65]
	s_delay_alu instid0(VALU_DEP_2) | instskip(NEXT) | instid1(VALU_DEP_1)
	v_fmac_f64_e32 v[2:3], v[4:5], v[52:53]
	v_add_f64_e32 v[80:81], v[2:3], v[50:51]
	ds_load_b128 v[2:5], v67 offset:8512
	s_wait_dscnt 0x0
	v_mul_f64_e32 v[48:49], v[4:5], v[8:9]
	v_mul_f64_e32 v[8:9], v[2:3], v[8:9]
	s_delay_alu instid0(VALU_DEP_2) | instskip(NEXT) | instid1(VALU_DEP_2)
	v_fma_f64 v[48:49], v[2:3], v[6:7], -v[48:49]
	v_fmac_f64_e32 v[8:9], v[4:5], v[6:7]
	v_mul_f64_e32 v[6:7], v[4:5], v[54:55]
	s_delay_alu instid0(VALU_DEP_3) | instskip(NEXT) | instid1(VALU_DEP_3)
	v_add_f64_e32 v[10:11], v[10:11], v[48:49]
	v_add_f64_e32 v[12:13], v[8:9], v[12:13]
	s_delay_alu instid0(VALU_DEP_3) | instskip(SKIP_1) | instid1(VALU_DEP_2)
	v_fma_f64 v[6:7], v[2:3], v[52:53], -v[6:7]
	v_mul_f64_e32 v[2:3], v[2:3], v[54:55]
	v_add_f64_e32 v[6:7], v[56:57], v[6:7]
	s_delay_alu instid0(VALU_DEP_2) | instskip(NEXT) | instid1(VALU_DEP_1)
	v_fmac_f64_e32 v[2:3], v[4:5], v[52:53]
	v_add_f64_e32 v[8:9], v[2:3], v[58:59]
	ds_load_b128 v[48:51], v67 offset:336
	ds_load_b128 v[56:59], v68 offset:10752
	s_wait_dscnt 0x0
	v_mul_f64_e32 v[2:3], v[50:51], v[58:59]
	v_mul_f64_e32 v[4:5], v[48:49], v[58:59]
	s_delay_alu instid0(VALU_DEP_2) | instskip(NEXT) | instid1(VALU_DEP_2)
	v_fma_f64 v[2:3], v[48:49], v[56:57], -v[2:3]
	v_fmac_f64_e32 v[4:5], v[50:51], v[56:57]
	s_delay_alu instid0(VALU_DEP_2) | instskip(NEXT) | instid1(VALU_DEP_2)
	v_add_f64_e32 v[52:53], v[60:61], v[2:3]
	v_add_f64_e32 v[54:55], v[4:5], v[62:63]
	ds_load_b128 v[2:5], v68 offset:11008
	s_wait_dscnt 0x0
	v_mul_f64_e32 v[60:61], v[50:51], v[4:5]
	v_mul_f64_e32 v[62:63], v[48:49], v[4:5]
	s_delay_alu instid0(VALU_DEP_2) | instskip(NEXT) | instid1(VALU_DEP_2)
	v_fma_f64 v[60:61], v[48:49], v[2:3], -v[60:61]
	v_fmac_f64_e32 v[62:63], v[50:51], v[2:3]
	s_delay_alu instid0(VALU_DEP_2) | instskip(NEXT) | instid1(VALU_DEP_2)
	v_add_f64_e32 v[48:49], v[64:65], v[60:61]
	v_add_f64_e32 v[50:51], v[62:63], v[80:81]
	ds_load_b128 v[60:63], v67 offset:8528
	s_wait_dscnt 0x0
	v_mul_f64_e32 v[64:65], v[62:63], v[58:59]
	v_mul_f64_e32 v[58:59], v[60:61], v[58:59]
	s_delay_alu instid0(VALU_DEP_2) | instskip(NEXT) | instid1(VALU_DEP_2)
	v_fma_f64 v[64:65], v[60:61], v[56:57], -v[64:65]
	v_fmac_f64_e32 v[58:59], v[62:63], v[56:57]
	v_mul_f64_e32 v[56:57], v[62:63], v[4:5]
	v_mul_f64_e32 v[4:5], v[60:61], v[4:5]
	s_delay_alu instid0(VALU_DEP_4) | instskip(NEXT) | instid1(VALU_DEP_4)
	v_add_f64_e32 v[10:11], v[10:11], v[64:65]
	v_add_f64_e32 v[12:13], v[58:59], v[12:13]
	s_delay_alu instid0(VALU_DEP_4) | instskip(NEXT) | instid1(VALU_DEP_4)
	v_fma_f64 v[56:57], v[60:61], v[2:3], -v[56:57]
	v_fmac_f64_e32 v[4:5], v[62:63], v[2:3]
	s_delay_alu instid0(VALU_DEP_2) | instskip(NEXT) | instid1(VALU_DEP_2)
	v_add_f64_e32 v[56:57], v[6:7], v[56:57]
	v_add_f64_e32 v[58:59], v[4:5], v[8:9]
	ds_load_b128 v[2:5], v67 offset:352
	ds_load_b128 v[6:9], v68 offset:11264
	s_wait_dscnt 0x0
	v_mul_f64_e32 v[60:61], v[4:5], v[8:9]
	v_mul_f64_e32 v[62:63], v[2:3], v[8:9]
	s_delay_alu instid0(VALU_DEP_2) | instskip(NEXT) | instid1(VALU_DEP_2)
	v_fma_f64 v[60:61], v[2:3], v[6:7], -v[60:61]
	v_fmac_f64_e32 v[62:63], v[4:5], v[6:7]
	s_delay_alu instid0(VALU_DEP_2) | instskip(NEXT) | instid1(VALU_DEP_2)
	v_add_f64_e32 v[60:61], v[52:53], v[60:61]
	v_add_f64_e32 v[62:63], v[62:63], v[54:55]
	ds_load_b128 v[52:55], v68 offset:11520
	s_wait_dscnt 0x0
	v_mul_f64_e32 v[64:65], v[4:5], v[54:55]
	s_delay_alu instid0(VALU_DEP_1) | instskip(SKIP_1) | instid1(VALU_DEP_2)
	v_fma_f64 v[64:65], v[2:3], v[52:53], -v[64:65]
	v_mul_f64_e32 v[2:3], v[2:3], v[54:55]
	v_add_f64_e32 v[64:65], v[48:49], v[64:65]
	s_delay_alu instid0(VALU_DEP_2) | instskip(NEXT) | instid1(VALU_DEP_1)
	v_fmac_f64_e32 v[2:3], v[4:5], v[52:53]
	v_add_f64_e32 v[80:81], v[2:3], v[50:51]
	ds_load_b128 v[2:5], v67 offset:8544
	s_wait_dscnt 0x0
	v_mul_f64_e32 v[48:49], v[4:5], v[8:9]
	v_mul_f64_e32 v[8:9], v[2:3], v[8:9]
	s_delay_alu instid0(VALU_DEP_2) | instskip(NEXT) | instid1(VALU_DEP_2)
	v_fma_f64 v[48:49], v[2:3], v[6:7], -v[48:49]
	v_fmac_f64_e32 v[8:9], v[4:5], v[6:7]
	v_mul_f64_e32 v[6:7], v[4:5], v[54:55]
	s_delay_alu instid0(VALU_DEP_3) | instskip(NEXT) | instid1(VALU_DEP_3)
	v_add_f64_e32 v[10:11], v[10:11], v[48:49]
	v_add_f64_e32 v[12:13], v[8:9], v[12:13]
	s_delay_alu instid0(VALU_DEP_3) | instskip(SKIP_1) | instid1(VALU_DEP_2)
	v_fma_f64 v[6:7], v[2:3], v[52:53], -v[6:7]
	v_mul_f64_e32 v[2:3], v[2:3], v[54:55]
	v_add_f64_e32 v[6:7], v[56:57], v[6:7]
	s_delay_alu instid0(VALU_DEP_2) | instskip(NEXT) | instid1(VALU_DEP_1)
	v_fmac_f64_e32 v[2:3], v[4:5], v[52:53]
	v_add_f64_e32 v[8:9], v[2:3], v[58:59]
	ds_load_b128 v[48:51], v67 offset:368
	ds_load_b128 v[56:59], v68 offset:11776
	s_wait_dscnt 0x0
	v_mul_f64_e32 v[2:3], v[50:51], v[58:59]
	v_mul_f64_e32 v[4:5], v[48:49], v[58:59]
	s_delay_alu instid0(VALU_DEP_2) | instskip(NEXT) | instid1(VALU_DEP_2)
	v_fma_f64 v[2:3], v[48:49], v[56:57], -v[2:3]
	v_fmac_f64_e32 v[4:5], v[50:51], v[56:57]
	s_delay_alu instid0(VALU_DEP_2) | instskip(NEXT) | instid1(VALU_DEP_2)
	v_add_f64_e32 v[52:53], v[60:61], v[2:3]
	v_add_f64_e32 v[54:55], v[4:5], v[62:63]
	ds_load_b128 v[2:5], v68 offset:12032
	s_wait_dscnt 0x0
	v_mul_f64_e32 v[60:61], v[50:51], v[4:5]
	v_mul_f64_e32 v[62:63], v[48:49], v[4:5]
	s_delay_alu instid0(VALU_DEP_2) | instskip(NEXT) | instid1(VALU_DEP_2)
	v_fma_f64 v[60:61], v[48:49], v[2:3], -v[60:61]
	v_fmac_f64_e32 v[62:63], v[50:51], v[2:3]
	s_delay_alu instid0(VALU_DEP_2) | instskip(NEXT) | instid1(VALU_DEP_2)
	v_add_f64_e32 v[48:49], v[64:65], v[60:61]
	v_add_f64_e32 v[50:51], v[62:63], v[80:81]
	ds_load_b128 v[60:63], v67 offset:8560
	s_wait_dscnt 0x0
	v_mul_f64_e32 v[64:65], v[62:63], v[58:59]
	v_mul_f64_e32 v[58:59], v[60:61], v[58:59]
	s_delay_alu instid0(VALU_DEP_2) | instskip(NEXT) | instid1(VALU_DEP_2)
	v_fma_f64 v[64:65], v[60:61], v[56:57], -v[64:65]
	v_fmac_f64_e32 v[58:59], v[62:63], v[56:57]
	s_delay_alu instid0(VALU_DEP_2) | instskip(SKIP_2) | instid1(VALU_DEP_4)
	v_add_f64_e32 v[56:57], v[10:11], v[64:65]
	v_mul_f64_e32 v[10:11], v[62:63], v[4:5]
	v_mul_f64_e32 v[4:5], v[60:61], v[4:5]
	v_add_f64_e32 v[58:59], v[58:59], v[12:13]
	s_delay_alu instid0(VALU_DEP_3) | instskip(NEXT) | instid1(VALU_DEP_3)
	v_fma_f64 v[10:11], v[60:61], v[2:3], -v[10:11]
	v_fmac_f64_e32 v[4:5], v[62:63], v[2:3]
	s_delay_alu instid0(VALU_DEP_2) | instskip(NEXT) | instid1(VALU_DEP_2)
	v_add_f64_e32 v[60:61], v[6:7], v[10:11]
	v_add_f64_e32 v[62:63], v[4:5], v[8:9]
	ds_load_b128 v[2:5], v67 offset:384
	ds_load_b128 v[6:9], v68 offset:12288
	s_wait_dscnt 0x0
	v_mul_f64_e32 v[10:11], v[4:5], v[8:9]
	v_mul_f64_e32 v[12:13], v[2:3], v[8:9]
	s_delay_alu instid0(VALU_DEP_2) | instskip(NEXT) | instid1(VALU_DEP_2)
	v_fma_f64 v[10:11], v[2:3], v[6:7], -v[10:11]
	v_fmac_f64_e32 v[12:13], v[4:5], v[6:7]
	s_delay_alu instid0(VALU_DEP_2) | instskip(NEXT) | instid1(VALU_DEP_2)
	v_add_f64_e32 v[64:65], v[52:53], v[10:11]
	v_add_f64_e32 v[80:81], v[12:13], v[54:55]
	ds_load_b128 v[10:13], v68 offset:12544
	s_wait_dscnt 0x0
	v_mul_f64_e32 v[52:53], v[4:5], v[12:13]
	s_delay_alu instid0(VALU_DEP_1) | instskip(SKIP_1) | instid1(VALU_DEP_2)
	v_fma_f64 v[52:53], v[2:3], v[10:11], -v[52:53]
	v_mul_f64_e32 v[2:3], v[2:3], v[12:13]
	v_add_f64_e32 v[82:83], v[48:49], v[52:53]
	s_delay_alu instid0(VALU_DEP_2) | instskip(NEXT) | instid1(VALU_DEP_1)
	v_fmac_f64_e32 v[2:3], v[4:5], v[10:11]
	v_add_f64_e32 v[84:85], v[2:3], v[50:51]
	ds_load_b128 v[2:5], v67 offset:8576
	s_wait_dscnt 0x0
	v_mul_f64_e32 v[48:49], v[4:5], v[8:9]
	v_mul_f64_e32 v[8:9], v[2:3], v[8:9]
	s_delay_alu instid0(VALU_DEP_2) | instskip(NEXT) | instid1(VALU_DEP_2)
	v_fma_f64 v[48:49], v[2:3], v[6:7], -v[48:49]
	v_fmac_f64_e32 v[8:9], v[4:5], v[6:7]
	v_mul_f64_e32 v[6:7], v[4:5], v[12:13]
	s_delay_alu instid0(VALU_DEP_3) | instskip(NEXT) | instid1(VALU_DEP_3)
	v_add_f64_e32 v[48:49], v[56:57], v[48:49]
	v_add_f64_e32 v[50:51], v[8:9], v[58:59]
	s_delay_alu instid0(VALU_DEP_3) | instskip(SKIP_1) | instid1(VALU_DEP_2)
	v_fma_f64 v[6:7], v[2:3], v[10:11], -v[6:7]
	v_mul_f64_e32 v[2:3], v[2:3], v[12:13]
	v_add_f64_e32 v[52:53], v[60:61], v[6:7]
	s_delay_alu instid0(VALU_DEP_2) | instskip(NEXT) | instid1(VALU_DEP_1)
	v_fmac_f64_e32 v[2:3], v[4:5], v[10:11]
	v_add_f64_e32 v[54:55], v[2:3], v[62:63]
	ds_load_b128 v[10:13], v67 offset:400
	ds_load_b128 v[2:5], v68 offset:12800
	s_wait_dscnt 0x0
	v_mul_f64_e32 v[6:7], v[12:13], v[4:5]
	v_mul_f64_e32 v[8:9], v[10:11], v[4:5]
	s_delay_alu instid0(VALU_DEP_2) | instskip(NEXT) | instid1(VALU_DEP_2)
	v_fma_f64 v[6:7], v[10:11], v[2:3], -v[6:7]
	v_fmac_f64_e32 v[8:9], v[12:13], v[2:3]
	s_delay_alu instid0(VALU_DEP_2) | instskip(NEXT) | instid1(VALU_DEP_2)
	v_add_f64_e32 v[60:61], v[64:65], v[6:7]
	v_add_f64_e32 v[62:63], v[8:9], v[80:81]
	ds_load_b128 v[6:9], v68 offset:13056
	s_wait_dscnt 0x0
	v_mul_f64_e32 v[56:57], v[12:13], v[8:9]
	s_delay_alu instid0(VALU_DEP_1) | instskip(SKIP_1) | instid1(VALU_DEP_2)
	v_fma_f64 v[56:57], v[10:11], v[6:7], -v[56:57]
	v_mul_f64_e32 v[10:11], v[10:11], v[8:9]
	v_add_f64_e32 v[56:57], v[82:83], v[56:57]
	s_delay_alu instid0(VALU_DEP_2) | instskip(NEXT) | instid1(VALU_DEP_1)
	v_fmac_f64_e32 v[10:11], v[12:13], v[6:7]
	v_add_f64_e32 v[58:59], v[10:11], v[84:85]
	ds_load_b128 v[10:13], v67 offset:8592
	s_wait_dscnt 0x0
	v_mul_f64_e32 v[64:65], v[12:13], v[4:5]
	v_mul_f64_e32 v[4:5], v[10:11], v[4:5]
	s_delay_alu instid0(VALU_DEP_2) | instskip(NEXT) | instid1(VALU_DEP_2)
	v_fma_f64 v[64:65], v[10:11], v[2:3], -v[64:65]
	v_fmac_f64_e32 v[4:5], v[12:13], v[2:3]
	v_mul_f64_e32 v[2:3], v[12:13], v[8:9]
	s_delay_alu instid0(VALU_DEP_3) | instskip(NEXT) | instid1(VALU_DEP_3)
	v_add_f64_e32 v[48:49], v[48:49], v[64:65]
	v_add_f64_e32 v[50:51], v[4:5], v[50:51]
	v_mul_f64_e32 v[4:5], v[10:11], v[8:9]
	s_delay_alu instid0(VALU_DEP_4) | instskip(NEXT) | instid1(VALU_DEP_2)
	v_fma_f64 v[2:3], v[10:11], v[6:7], -v[2:3]
	v_fmac_f64_e32 v[4:5], v[12:13], v[6:7]
	s_delay_alu instid0(VALU_DEP_2) | instskip(NEXT) | instid1(VALU_DEP_2)
	v_add_f64_e32 v[52:53], v[52:53], v[2:3]
	v_add_f64_e32 v[54:55], v[4:5], v[54:55]
	ds_load_b128 v[2:5], v67 offset:416
	ds_load_b128 v[6:9], v68 offset:13312
	s_wait_dscnt 0x0
	v_mul_f64_e32 v[10:11], v[4:5], v[8:9]
	v_mul_f64_e32 v[12:13], v[2:3], v[8:9]
	s_delay_alu instid0(VALU_DEP_2) | instskip(NEXT) | instid1(VALU_DEP_2)
	v_fma_f64 v[10:11], v[2:3], v[6:7], -v[10:11]
	v_fmac_f64_e32 v[12:13], v[4:5], v[6:7]
	s_delay_alu instid0(VALU_DEP_2) | instskip(NEXT) | instid1(VALU_DEP_2)
	v_add_f64_e32 v[60:61], v[60:61], v[10:11]
	v_add_f64_e32 v[62:63], v[12:13], v[62:63]
	ds_load_b128 v[10:13], v68 offset:13568
	s_wait_dscnt 0x0
	v_mul_f64_e32 v[64:65], v[4:5], v[12:13]
	s_delay_alu instid0(VALU_DEP_1) | instskip(SKIP_1) | instid1(VALU_DEP_2)
	v_fma_f64 v[64:65], v[2:3], v[10:11], -v[64:65]
	v_mul_f64_e32 v[2:3], v[2:3], v[12:13]
	v_add_f64_e32 v[64:65], v[56:57], v[64:65]
	s_delay_alu instid0(VALU_DEP_2) | instskip(NEXT) | instid1(VALU_DEP_1)
	v_fmac_f64_e32 v[2:3], v[4:5], v[10:11]
	v_add_f64_e32 v[80:81], v[2:3], v[58:59]
	ds_load_b128 v[2:5], v67 offset:8608
	s_wait_dscnt 0x0
	v_mul_f64_e32 v[56:57], v[4:5], v[8:9]
	v_mul_f64_e32 v[8:9], v[2:3], v[8:9]
	s_delay_alu instid0(VALU_DEP_2) | instskip(NEXT) | instid1(VALU_DEP_2)
	v_fma_f64 v[56:57], v[2:3], v[6:7], -v[56:57]
	v_fmac_f64_e32 v[8:9], v[4:5], v[6:7]
	s_delay_alu instid0(VALU_DEP_2) | instskip(SKIP_2) | instid1(VALU_DEP_4)
	v_add_f64_e32 v[6:7], v[48:49], v[56:57]
	v_mul_f64_e32 v[48:49], v[4:5], v[12:13]
	v_mul_f64_e32 v[12:13], v[2:3], v[12:13]
	v_add_f64_e32 v[8:9], v[8:9], v[50:51]
	s_delay_alu instid0(VALU_DEP_3) | instskip(NEXT) | instid1(VALU_DEP_3)
	v_fma_f64 v[48:49], v[2:3], v[10:11], -v[48:49]
	v_fmac_f64_e32 v[12:13], v[4:5], v[10:11]
	s_delay_alu instid0(VALU_DEP_2) | instskip(NEXT) | instid1(VALU_DEP_2)
	v_add_f64_e32 v[2:3], v[52:53], v[48:49]
	v_add_f64_e32 v[4:5], v[12:13], v[54:55]
	ds_load_b128 v[10:13], v67 offset:432
	ds_load_b128 v[52:55], v68 offset:13824
	;; [unrolled: 1-line block ×3, first 2 shown]
	s_wait_dscnt 0x1
	v_mul_f64_e32 v[48:49], v[12:13], v[54:55]
	v_mul_f64_e32 v[50:51], v[10:11], v[54:55]
	s_delay_alu instid0(VALU_DEP_2) | instskip(NEXT) | instid1(VALU_DEP_2)
	v_fma_f64 v[48:49], v[10:11], v[52:53], -v[48:49]
	v_fmac_f64_e32 v[50:51], v[12:13], v[52:53]
	s_delay_alu instid0(VALU_DEP_2) | instskip(NEXT) | instid1(VALU_DEP_2)
	v_add_f64_e32 v[48:49], v[60:61], v[48:49]
	v_add_f64_e32 v[50:51], v[50:51], v[62:63]
	s_wait_dscnt 0x0
	v_mul_f64_e32 v[60:61], v[12:13], v[58:59]
	v_mul_f64_e32 v[62:63], v[10:11], v[58:59]
	s_delay_alu instid0(VALU_DEP_2) | instskip(NEXT) | instid1(VALU_DEP_2)
	v_fma_f64 v[60:61], v[10:11], v[56:57], -v[60:61]
	v_fmac_f64_e32 v[62:63], v[12:13], v[56:57]
	s_delay_alu instid0(VALU_DEP_2) | instskip(NEXT) | instid1(VALU_DEP_2)
	v_add_f64_e32 v[10:11], v[64:65], v[60:61]
	v_add_f64_e32 v[12:13], v[62:63], v[80:81]
	ds_load_b128 v[60:63], v67 offset:8624
	s_wait_dscnt 0x0
	v_mul_f64_e32 v[64:65], v[62:63], v[54:55]
	v_mul_f64_e32 v[54:55], v[60:61], v[54:55]
	s_delay_alu instid0(VALU_DEP_2) | instskip(NEXT) | instid1(VALU_DEP_2)
	v_fma_f64 v[64:65], v[60:61], v[52:53], -v[64:65]
	v_fmac_f64_e32 v[54:55], v[62:63], v[52:53]
	s_delay_alu instid0(VALU_DEP_2) | instskip(NEXT) | instid1(VALU_DEP_2)
	v_add_f64_e32 v[64:65], v[6:7], v[64:65]
	v_add_f64_e32 v[80:81], v[54:55], v[8:9]
	v_mul_f64_e32 v[6:7], v[62:63], v[58:59]
	v_mul_f64_e32 v[8:9], v[60:61], v[58:59]
	s_delay_alu instid0(VALU_DEP_2) | instskip(NEXT) | instid1(VALU_DEP_2)
	v_fma_f64 v[6:7], v[60:61], v[56:57], -v[6:7]
	v_fmac_f64_e32 v[8:9], v[62:63], v[56:57]
	s_delay_alu instid0(VALU_DEP_2) | instskip(NEXT) | instid1(VALU_DEP_2)
	v_add_f64_e32 v[56:57], v[2:3], v[6:7]
	v_add_f64_e32 v[58:59], v[8:9], v[4:5]
	ds_load_b128 v[2:5], v67 offset:448
	ds_load_b128 v[6:9], v68 offset:14336
	s_wait_dscnt 0x0
	v_mul_f64_e32 v[52:53], v[4:5], v[8:9]
	v_mul_f64_e32 v[54:55], v[2:3], v[8:9]
	s_delay_alu instid0(VALU_DEP_2) | instskip(NEXT) | instid1(VALU_DEP_2)
	v_fma_f64 v[52:53], v[2:3], v[6:7], -v[52:53]
	v_fmac_f64_e32 v[54:55], v[4:5], v[6:7]
	s_delay_alu instid0(VALU_DEP_2) | instskip(NEXT) | instid1(VALU_DEP_2)
	v_add_f64_e32 v[60:61], v[48:49], v[52:53]
	v_add_f64_e32 v[62:63], v[54:55], v[50:51]
	ds_load_b128 v[52:55], v68 offset:14592
	s_wait_dscnt 0x0
	v_mul_f64_e32 v[48:49], v[4:5], v[54:55]
	s_delay_alu instid0(VALU_DEP_1) | instskip(SKIP_1) | instid1(VALU_DEP_2)
	v_fma_f64 v[48:49], v[2:3], v[52:53], -v[48:49]
	v_mul_f64_e32 v[2:3], v[2:3], v[54:55]
	v_add_f64_e32 v[82:83], v[10:11], v[48:49]
	s_delay_alu instid0(VALU_DEP_2) | instskip(NEXT) | instid1(VALU_DEP_1)
	v_fmac_f64_e32 v[2:3], v[4:5], v[52:53]
	v_add_f64_e32 v[84:85], v[2:3], v[12:13]
	ds_load_b128 v[2:5], v67 offset:8640
	s_wait_dscnt 0x0
	v_mul_f64_e32 v[10:11], v[4:5], v[8:9]
	v_mul_f64_e32 v[8:9], v[2:3], v[8:9]
	s_delay_alu instid0(VALU_DEP_2) | instskip(NEXT) | instid1(VALU_DEP_2)
	v_fma_f64 v[10:11], v[2:3], v[6:7], -v[10:11]
	v_fmac_f64_e32 v[8:9], v[4:5], v[6:7]
	v_mul_f64_e32 v[6:7], v[4:5], v[54:55]
	s_delay_alu instid0(VALU_DEP_3) | instskip(NEXT) | instid1(VALU_DEP_3)
	v_add_f64_e32 v[48:49], v[64:65], v[10:11]
	v_add_f64_e32 v[50:51], v[8:9], v[80:81]
	s_delay_alu instid0(VALU_DEP_3) | instskip(SKIP_1) | instid1(VALU_DEP_2)
	v_fma_f64 v[6:7], v[2:3], v[52:53], -v[6:7]
	v_mul_f64_e32 v[2:3], v[2:3], v[54:55]
	v_add_f64_e32 v[10:11], v[56:57], v[6:7]
	s_delay_alu instid0(VALU_DEP_2)
	v_fmac_f64_e32 v[2:3], v[4:5], v[52:53]
	ds_load_b128 v[52:55], v67 offset:464
	ds_load_b128 v[6:9], v68 offset:14848
	s_wait_dscnt 0x0
	v_mul_f64_e32 v[4:5], v[52:53], v[8:9]
	v_add_f64_e32 v[12:13], v[2:3], v[58:59]
	v_mul_f64_e32 v[2:3], v[54:55], v[8:9]
	s_delay_alu instid0(VALU_DEP_3) | instskip(NEXT) | instid1(VALU_DEP_2)
	v_fmac_f64_e32 v[4:5], v[54:55], v[6:7]
	v_fma_f64 v[2:3], v[52:53], v[6:7], -v[2:3]
	s_delay_alu instid0(VALU_DEP_2) | instskip(NEXT) | instid1(VALU_DEP_2)
	v_add_f64_e32 v[58:59], v[4:5], v[62:63]
	v_add_f64_e32 v[56:57], v[60:61], v[2:3]
	ds_load_b128 v[2:5], v68 offset:15104
	s_wait_dscnt 0x0
	v_mul_f64_e32 v[60:61], v[54:55], v[4:5]
	v_mul_f64_e32 v[62:63], v[52:53], v[4:5]
	s_delay_alu instid0(VALU_DEP_2) | instskip(NEXT) | instid1(VALU_DEP_2)
	v_fma_f64 v[60:61], v[52:53], v[2:3], -v[60:61]
	v_fmac_f64_e32 v[62:63], v[54:55], v[2:3]
	s_delay_alu instid0(VALU_DEP_2) | instskip(NEXT) | instid1(VALU_DEP_2)
	v_add_f64_e32 v[52:53], v[82:83], v[60:61]
	v_add_f64_e32 v[54:55], v[62:63], v[84:85]
	ds_load_b128 v[60:63], v67 offset:8656
	s_wait_dscnt 0x0
	v_mul_f64_e32 v[64:65], v[62:63], v[8:9]
	v_mul_f64_e32 v[8:9], v[60:61], v[8:9]
	s_delay_alu instid0(VALU_DEP_2) | instskip(NEXT) | instid1(VALU_DEP_2)
	v_fma_f64 v[64:65], v[60:61], v[6:7], -v[64:65]
	v_fmac_f64_e32 v[8:9], v[62:63], v[6:7]
	v_mul_f64_e32 v[6:7], v[62:63], v[4:5]
	v_mul_f64_e32 v[4:5], v[60:61], v[4:5]
	s_delay_alu instid0(VALU_DEP_4) | instskip(NEXT) | instid1(VALU_DEP_4)
	v_add_f64_e32 v[48:49], v[48:49], v[64:65]
	v_add_f64_e32 v[50:51], v[8:9], v[50:51]
	s_delay_alu instid0(VALU_DEP_4) | instskip(NEXT) | instid1(VALU_DEP_4)
	v_fma_f64 v[6:7], v[60:61], v[2:3], -v[6:7]
	v_fmac_f64_e32 v[4:5], v[62:63], v[2:3]
	s_delay_alu instid0(VALU_DEP_2) | instskip(NEXT) | instid1(VALU_DEP_2)
	v_add_f64_e32 v[62:63], v[10:11], v[6:7]
	v_add_f64_e32 v[80:81], v[4:5], v[12:13]
	ds_load_b128 v[2:5], v67 offset:480
	ds_load_b128 v[6:9], v68 offset:15360
	s_wait_dscnt 0x0
	v_mul_f64_e32 v[10:11], v[4:5], v[8:9]
	v_mul_f64_e32 v[12:13], v[2:3], v[8:9]
	s_delay_alu instid0(VALU_DEP_2) | instskip(NEXT) | instid1(VALU_DEP_2)
	v_fma_f64 v[10:11], v[2:3], v[6:7], -v[10:11]
	v_fmac_f64_e32 v[12:13], v[4:5], v[6:7]
	s_delay_alu instid0(VALU_DEP_2) | instskip(NEXT) | instid1(VALU_DEP_2)
	v_add_f64_e32 v[82:83], v[56:57], v[10:11]
	v_add_f64_e32 v[84:85], v[12:13], v[58:59]
	ds_load_b128 v[10:13], v68 offset:15616
	s_wait_dscnt 0x0
	v_mul_f64_e32 v[56:57], v[4:5], v[12:13]
	s_delay_alu instid0(VALU_DEP_1) | instskip(SKIP_1) | instid1(VALU_DEP_2)
	v_fma_f64 v[56:57], v[2:3], v[10:11], -v[56:57]
	v_mul_f64_e32 v[2:3], v[2:3], v[12:13]
	v_add_f64_e32 v[86:87], v[52:53], v[56:57]
	s_delay_alu instid0(VALU_DEP_2) | instskip(NEXT) | instid1(VALU_DEP_1)
	v_fmac_f64_e32 v[2:3], v[4:5], v[10:11]
	v_add_f64_e32 v[88:89], v[2:3], v[54:55]
	ds_load_b128 v[2:5], v67 offset:8672
	s_wait_dscnt 0x0
	v_mul_f64_e32 v[52:53], v[4:5], v[8:9]
	v_mul_f64_e32 v[8:9], v[2:3], v[8:9]
	s_delay_alu instid0(VALU_DEP_2) | instskip(NEXT) | instid1(VALU_DEP_2)
	v_fma_f64 v[52:53], v[2:3], v[6:7], -v[52:53]
	v_fmac_f64_e32 v[8:9], v[4:5], v[6:7]
	v_mul_f64_e32 v[6:7], v[4:5], v[12:13]
	s_delay_alu instid0(VALU_DEP_3) | instskip(NEXT) | instid1(VALU_DEP_3)
	v_add_f64_e32 v[60:61], v[48:49], v[52:53]
	v_add_f64_e32 v[64:65], v[8:9], v[50:51]
	s_delay_alu instid0(VALU_DEP_3) | instskip(SKIP_1) | instid1(VALU_DEP_2)
	v_fma_f64 v[6:7], v[2:3], v[10:11], -v[6:7]
	v_mul_f64_e32 v[2:3], v[2:3], v[12:13]
	v_add_f64_e32 v[56:57], v[62:63], v[6:7]
	s_delay_alu instid0(VALU_DEP_2)
	v_fmac_f64_e32 v[2:3], v[4:5], v[10:11]
	ds_load_b128 v[10:13], v67 offset:496
	ds_load_b128 v[6:9], v68 offset:15872
	s_wait_dscnt 0x0
	v_mul_f64_e32 v[4:5], v[10:11], v[8:9]
	v_add_f64_e32 v[58:59], v[2:3], v[80:81]
	v_mul_f64_e32 v[2:3], v[12:13], v[8:9]
	s_delay_alu instid0(VALU_DEP_3) | instskip(NEXT) | instid1(VALU_DEP_2)
	v_fmac_f64_e32 v[4:5], v[12:13], v[6:7]
	v_fma_f64 v[2:3], v[10:11], v[6:7], -v[2:3]
	s_delay_alu instid0(VALU_DEP_2) | instskip(NEXT) | instid1(VALU_DEP_2)
	v_add_f64_e32 v[54:55], v[4:5], v[84:85]
	v_add_f64_e32 v[52:53], v[82:83], v[2:3]
	ds_load_b128 v[2:5], v68 offset:16128
	s_wait_dscnt 0x0
	v_mul_f64_e32 v[48:49], v[12:13], v[4:5]
	s_delay_alu instid0(VALU_DEP_1) | instskip(SKIP_1) | instid1(VALU_DEP_2)
	v_fma_f64 v[48:49], v[10:11], v[2:3], -v[48:49]
	v_mul_f64_e32 v[10:11], v[10:11], v[4:5]
	v_add_f64_e32 v[48:49], v[86:87], v[48:49]
	s_delay_alu instid0(VALU_DEP_2) | instskip(NEXT) | instid1(VALU_DEP_1)
	v_fmac_f64_e32 v[10:11], v[12:13], v[2:3]
	v_add_f64_e32 v[50:51], v[10:11], v[88:89]
	ds_load_b128 v[10:13], v67 offset:8688
	s_wait_dscnt 0x0
	s_barrier_signal -1
	s_barrier_wait -1
	v_mul_f64_e32 v[62:63], v[12:13], v[8:9]
	v_mul_f64_e32 v[8:9], v[10:11], v[8:9]
	s_delay_alu instid0(VALU_DEP_2) | instskip(NEXT) | instid1(VALU_DEP_2)
	v_fma_f64 v[62:63], v[10:11], v[6:7], -v[62:63]
	v_fmac_f64_e32 v[8:9], v[12:13], v[6:7]
	v_mul_f64_e32 v[6:7], v[12:13], v[4:5]
	v_mul_f64_e32 v[4:5], v[10:11], v[4:5]
	s_delay_alu instid0(VALU_DEP_4) | instskip(NEXT) | instid1(VALU_DEP_4)
	v_add_f64_e32 v[62:63], v[60:61], v[62:63]
	v_add_f64_e32 v[60:61], v[8:9], v[64:65]
	s_delay_alu instid0(VALU_DEP_4) | instskip(NEXT) | instid1(VALU_DEP_4)
	v_fma_f64 v[6:7], v[10:11], v[2:3], -v[6:7]
	v_fmac_f64_e32 v[4:5], v[12:13], v[2:3]
	s_delay_alu instid0(VALU_DEP_2) | instskip(NEXT) | instid1(VALU_DEP_2)
	v_add_f64_e32 v[64:65], v[56:57], v[6:7]
	v_add_f64_e32 v[56:57], v[4:5], v[58:59]
	s_cbranch_scc1 .LBB127_59
.LBB127_10:                             ;   Parent Loop BB127_4 Depth=1
                                        ;     Parent Loop BB127_7 Depth=2
                                        ; =>    This Inner Loop Header: Depth=3
	v_add_nc_u64_e32 v[6:7], s[58:59], v[24:25]
	v_cmp_eq_u64_e64 s7, s[58:59], v[38:39]
	v_add_nc_u64_e32 v[4:5], v[32:33], v[28:29]
	s_delay_alu instid0(VALU_DEP_3) | instskip(SKIP_3) | instid1(SALU_CYCLE_1)
	v_cmp_lt_i64_e64 s5, v[6:7], v[26:27]
	v_cmp_le_i64_e64 s6, s[46:47], v[6:7]
	s_and_b32 s68, s62, s7
	s_or_b32 s8, s4, s5
	s_or_b32 s7, s6, s8
	s_delay_alu instid0(SALU_CYCLE_1) | instskip(NEXT) | instid1(SALU_CYCLE_1)
	s_nor_b32 s7, s7, s68
	s_and_saveexec_b32 s8, s7
	s_delay_alu instid0(SALU_CYCLE_1)
	s_xor_b32 s7, exec_lo, s8
	s_cbranch_execz .LBB127_12
; %bb.11:                               ;   in Loop: Header=BB127_10 Depth=3
	global_load_b128 v[8:11], v[4:5], off offset:-256
	s_wait_loadcnt 0x0
	ds_store_2addr_b64 v69, v[8:9], v[10:11] offset1:1
.LBB127_12:                             ;   in Loop: Header=BB127_10 Depth=3
	s_wait_xcnt 0x0
	s_or_saveexec_b32 s7, s7
	s_xor_b32 s67, s68, -1
	s_xor_b32 exec_lo, exec_lo, s7
	s_cbranch_execz .LBB127_18
; %bb.13:                               ;   in Loop: Header=BB127_10 Depth=3
	s_and_saveexec_b32 s8, s67
	s_delay_alu instid0(SALU_CYCLE_1)
	s_xor_b32 s8, exec_lo, s8
; %bb.14:                               ;   in Loop: Header=BB127_10 Depth=3
	v_dual_mov_b32 v8, v0 :: v_dual_mov_b32 v9, v0
	v_dual_mov_b32 v10, v0 :: v_dual_mov_b32 v11, v0
	ds_store_b128 v69, v[8:11]
; %bb.15:                               ;   in Loop: Header=BB127_10 Depth=3
	s_and_not1_saveexec_b32 s8, s8
; %bb.16:                               ;   in Loop: Header=BB127_10 Depth=3
	v_dual_mov_b32 v2, v0 :: v_dual_mov_b32 v3, v0
	ds_store_b128 v69, v[0:3]
; %bb.17:                               ;   in Loop: Header=BB127_10 Depth=3
	s_or_b32 exec_lo, exec_lo, s8
.LBB127_18:                             ;   in Loop: Header=BB127_10 Depth=3
	s_delay_alu instid0(SALU_CYCLE_1) | instskip(SKIP_3) | instid1(VALU_DEP_3)
	s_or_b32 exec_lo, exec_lo, s7
	v_add_nc_u64_e32 v[2:3], 16, v[6:7]
	v_cmp_eq_u64_e64 s9, s[58:59], v[44:45]
	v_add_nc_u64_e32 v[8:9], v[34:35], v[28:29]
	v_cmp_lt_i64_e64 s8, v[2:3], v[26:27]
	v_cmp_le_i64_e64 s7, s[46:47], v[2:3]
	s_and_b32 s9, s62, s9
	s_or_b32 s8, s4, s8
	s_delay_alu instid0(SALU_CYCLE_1) | instskip(NEXT) | instid1(SALU_CYCLE_1)
	s_or_b32 s8, s7, s8
	s_nor_b32 s8, s8, s9
	s_delay_alu instid0(SALU_CYCLE_1) | instskip(NEXT) | instid1(SALU_CYCLE_1)
	s_and_saveexec_b32 s69, s8
	s_xor_b32 s8, exec_lo, s69
	s_cbranch_execz .LBB127_20
; %bb.19:                               ;   in Loop: Header=BB127_10 Depth=3
	global_load_b128 v[10:13], v[8:9], off
	s_wait_loadcnt 0x0
	ds_store_2addr_b64 v71, v[10:11], v[12:13] offset1:1
.LBB127_20:                             ;   in Loop: Header=BB127_10 Depth=3
	s_wait_xcnt 0x0
	s_and_not1_saveexec_b32 s8, s8
	s_cbranch_execz .LBB127_26
; %bb.21:                               ;   in Loop: Header=BB127_10 Depth=3
	s_xor_b32 s9, s9, -1
	s_delay_alu instid0(SALU_CYCLE_1) | instskip(NEXT) | instid1(SALU_CYCLE_1)
	s_and_saveexec_b32 s69, s9
	s_xor_b32 s9, exec_lo, s69
; %bb.22:                               ;   in Loop: Header=BB127_10 Depth=3
	v_dual_mov_b32 v10, v0 :: v_dual_mov_b32 v11, v0
	v_dual_mov_b32 v12, v0 :: v_dual_mov_b32 v13, v0
	ds_store_b128 v69, v[10:13] offset:256
; %bb.23:                               ;   in Loop: Header=BB127_10 Depth=3
	s_and_not1_saveexec_b32 s9, s9
; %bb.24:                               ;   in Loop: Header=BB127_10 Depth=3
	v_dual_mov_b32 v2, v0 :: v_dual_mov_b32 v3, v0
	ds_store_b128 v69, v[0:3] offset:256
; %bb.25:                               ;   in Loop: Header=BB127_10 Depth=3
	s_or_b32 exec_lo, exec_lo, s9
.LBB127_26:                             ;   in Loop: Header=BB127_10 Depth=3
	s_delay_alu instid0(SALU_CYCLE_1) | instskip(SKIP_4) | instid1(SALU_CYCLE_1)
	s_or_b32 exec_lo, exec_lo, s8
	v_cmp_eq_u64_e64 s8, s[58:59], v[42:43]
	v_cmp_lt_i64_e64 s9, v[6:7], v[40:41]
	s_and_b32 s8, s62, s8
	s_or_b32 s9, vcc_lo, s9
	s_or_b32 s9, s9, s8
	s_delay_alu instid0(SALU_CYCLE_1) | instskip(NEXT) | instid1(SALU_CYCLE_1)
	s_nor_b32 s6, s6, s9
	s_and_saveexec_b32 s9, s6
	s_delay_alu instid0(SALU_CYCLE_1)
	s_xor_b32 s6, exec_lo, s9
	s_cbranch_execz .LBB127_28
; %bb.27:                               ;   in Loop: Header=BB127_10 Depth=3
	global_load_b128 v[2:5], v[4:5], off
	s_wait_loadcnt 0x0
	ds_store_2addr_b64 v72, v[2:3], v[4:5] offset1:1
.LBB127_28:                             ;   in Loop: Header=BB127_10 Depth=3
	s_wait_xcnt 0x0
	s_and_not1_saveexec_b32 s6, s6
	s_cbranch_execz .LBB127_34
; %bb.29:                               ;   in Loop: Header=BB127_10 Depth=3
	s_xor_b32 s8, s8, -1
	s_delay_alu instid0(SALU_CYCLE_1) | instskip(NEXT) | instid1(SALU_CYCLE_1)
	s_and_saveexec_b32 s9, s8
	s_xor_b32 s8, exec_lo, s9
; %bb.30:                               ;   in Loop: Header=BB127_10 Depth=3
	v_dual_mov_b32 v2, v0 :: v_dual_mov_b32 v3, v0
	v_dual_mov_b32 v4, v0 :: v_dual_mov_b32 v5, v0
	ds_store_b128 v69, v[2:5] offset:8192
; %bb.31:                               ;   in Loop: Header=BB127_10 Depth=3
	s_and_not1_saveexec_b32 s8, s8
; %bb.32:                               ;   in Loop: Header=BB127_10 Depth=3
	v_dual_mov_b32 v2, v0 :: v_dual_mov_b32 v3, v0
	ds_store_b128 v69, v[0:3] offset:8192
; %bb.33:                               ;   in Loop: Header=BB127_10 Depth=3
	s_or_b32 exec_lo, exec_lo, s8
.LBB127_34:                             ;   in Loop: Header=BB127_10 Depth=3
	s_delay_alu instid0(SALU_CYCLE_1) | instskip(SKIP_1) | instid1(SALU_CYCLE_1)
	s_or_b32 exec_lo, exec_lo, s6
	s_or_b32 s5, vcc_lo, s5
	s_or_b32 s5, s7, s5
	s_delay_alu instid0(SALU_CYCLE_1) | instskip(NEXT) | instid1(SALU_CYCLE_1)
	s_nor_b32 s5, s5, s68
	s_and_saveexec_b32 s6, s5
	s_delay_alu instid0(SALU_CYCLE_1)
	s_xor_b32 s5, exec_lo, s6
	s_cbranch_execz .LBB127_36
; %bb.35:                               ;   in Loop: Header=BB127_10 Depth=3
	global_load_b128 v[2:5], v[8:9], off offset:256
	s_wait_loadcnt 0x0
	ds_store_2addr_b64 v73, v[2:3], v[4:5] offset1:1
.LBB127_36:                             ;   in Loop: Header=BB127_10 Depth=3
	s_wait_xcnt 0x0
	s_and_not1_saveexec_b32 s5, s5
	s_cbranch_execz .LBB127_42
; %bb.37:                               ;   in Loop: Header=BB127_10 Depth=3
	s_and_saveexec_b32 s6, s67
	s_delay_alu instid0(SALU_CYCLE_1)
	s_xor_b32 s6, exec_lo, s6
; %bb.38:                               ;   in Loop: Header=BB127_10 Depth=3
	v_dual_mov_b32 v2, v0 :: v_dual_mov_b32 v3, v0
	v_dual_mov_b32 v4, v0 :: v_dual_mov_b32 v5, v0
	ds_store_b128 v69, v[2:5] offset:8448
; %bb.39:                               ;   in Loop: Header=BB127_10 Depth=3
	s_and_not1_saveexec_b32 s6, s6
; %bb.40:                               ;   in Loop: Header=BB127_10 Depth=3
	v_dual_mov_b32 v2, v0 :: v_dual_mov_b32 v3, v0
	ds_store_b128 v69, v[0:3] offset:8448
; %bb.41:                               ;   in Loop: Header=BB127_10 Depth=3
	s_or_b32 exec_lo, exec_lo, s6
.LBB127_42:                             ;   in Loop: Header=BB127_10 Depth=3
	s_delay_alu instid0(SALU_CYCLE_1) | instskip(SKIP_2) | instid1(VALU_DEP_2)
	s_or_b32 exec_lo, exec_lo, s5
	v_add_nc_u64_e32 v[2:3], s[58:59], v[22:23]
	v_add_nc_u64_e32 v[4:5], v[46:47], v[30:31]
	v_cmp_le_i64_e64 s5, s[46:47], v[2:3]
	s_nor_b32 s6, s5, s0
	s_delay_alu instid0(SALU_CYCLE_1) | instskip(NEXT) | instid1(SALU_CYCLE_1)
	s_and_saveexec_b32 s7, s6
	s_xor_b32 s6, exec_lo, s7
	s_cbranch_execz .LBB127_44
; %bb.43:                               ;   in Loop: Header=BB127_10 Depth=3
	global_load_b128 v[6:9], v[4:5], off offset:-256
	s_wait_loadcnt 0x0
	ds_store_2addr_b64 v70, v[6:7], v[8:9] offset1:1
.LBB127_44:                             ;   in Loop: Header=BB127_10 Depth=3
	s_wait_xcnt 0x0
	s_and_not1_saveexec_b32 s6, s6
; %bb.45:                               ;   in Loop: Header=BB127_10 Depth=3
	v_dual_mov_b32 v6, v0 :: v_dual_mov_b32 v7, v0
	v_dual_mov_b32 v8, v0 :: v_dual_mov_b32 v9, v0
	ds_store_b128 v70, v[6:9]
; %bb.46:                               ;   in Loop: Header=BB127_10 Depth=3
	s_or_b32 exec_lo, exec_lo, s6
	s_nor_b32 s5, s5, s1
	s_delay_alu instid0(SALU_CYCLE_1) | instskip(NEXT) | instid1(SALU_CYCLE_1)
	s_and_saveexec_b32 s6, s5
	s_xor_b32 s5, exec_lo, s6
	s_cbranch_execz .LBB127_48
; %bb.47:                               ;   in Loop: Header=BB127_10 Depth=3
	global_load_b128 v[4:7], v[4:5], off
	s_wait_loadcnt 0x0
	ds_store_2addr_b64 v74, v[4:5], v[6:7] offset1:1
.LBB127_48:                             ;   in Loop: Header=BB127_10 Depth=3
	s_wait_xcnt 0x0
	s_and_not1_saveexec_b32 s5, s5
; %bb.49:                               ;   in Loop: Header=BB127_10 Depth=3
	v_dual_mov_b32 v4, v0 :: v_dual_mov_b32 v5, v0
	v_dual_mov_b32 v6, v0 :: v_dual_mov_b32 v7, v0
	ds_store_b128 v70, v[4:7] offset:256
; %bb.50:                               ;   in Loop: Header=BB127_10 Depth=3
	s_or_b32 exec_lo, exec_lo, s5
	v_cmp_le_i64_e64 s5, s[50:51], v[2:3]
	v_add_nc_u64_e32 v[2:3], v[46:47], v[36:37]
	s_nor_b32 s6, s5, s0
	s_delay_alu instid0(SALU_CYCLE_1) | instskip(NEXT) | instid1(SALU_CYCLE_1)
	s_and_saveexec_b32 s7, s6
	s_xor_b32 s6, exec_lo, s7
	s_cbranch_execz .LBB127_52
; %bb.51:                               ;   in Loop: Header=BB127_10 Depth=3
	global_load_b128 v[4:7], v[2:3], off offset:-256
	s_wait_loadcnt 0x0
	ds_store_2addr_b64 v75, v[4:5], v[6:7] offset1:1
.LBB127_52:                             ;   in Loop: Header=BB127_10 Depth=3
	s_wait_xcnt 0x0
	s_and_not1_saveexec_b32 s6, s6
; %bb.53:                               ;   in Loop: Header=BB127_10 Depth=3
	v_dual_mov_b32 v4, v0 :: v_dual_mov_b32 v5, v0
	v_dual_mov_b32 v6, v0 :: v_dual_mov_b32 v7, v0
	ds_store_b128 v70, v[4:7] offset:8192
; %bb.54:                               ;   in Loop: Header=BB127_10 Depth=3
	s_or_b32 exec_lo, exec_lo, s6
	s_nor_b32 s5, s5, s1
	s_delay_alu instid0(SALU_CYCLE_1) | instskip(NEXT) | instid1(SALU_CYCLE_1)
	s_and_saveexec_b32 s6, s5
	s_xor_b32 s5, exec_lo, s6
	s_cbranch_execz .LBB127_56
; %bb.55:                               ;   in Loop: Header=BB127_10 Depth=3
	global_load_b128 v[2:5], v[2:3], off
	s_wait_loadcnt 0x0
	ds_store_2addr_b64 v76, v[2:3], v[4:5] offset1:1
.LBB127_56:                             ;   in Loop: Header=BB127_10 Depth=3
	s_wait_xcnt 0x0
	s_and_not1_saveexec_b32 s5, s5
	s_cbranch_execz .LBB127_9
; %bb.57:                               ;   in Loop: Header=BB127_10 Depth=3
	v_dual_mov_b32 v2, v0 :: v_dual_mov_b32 v3, v0
	v_dual_mov_b32 v4, v0 :: v_dual_mov_b32 v5, v0
	ds_store_b128 v70, v[2:5] offset:8448
	s_branch .LBB127_9
.LBB127_58:                             ;   in Loop: Header=BB127_7 Depth=2
	v_mov_b64_e32 v[52:53], 0
	v_mov_b64_e32 v[54:55], 0
	;; [unrolled: 1-line block ×8, first 2 shown]
.LBB127_59:                             ;   in Loop: Header=BB127_7 Depth=2
	v_mul_u64_e32 v[2:3], s[28:29], v[26:27]
	v_cmp_gt_i32_e32 vcc_lo, s42, v26
	s_and_b32 s5, s2, vcc_lo
	s_delay_alu instid0(VALU_DEP_2)
	v_lshl_add_u64 v[2:3], v[2:3], 4, s[56:57]
	s_and_saveexec_b32 s4, s5
	s_cbranch_execz .LBB127_61
; %bb.60:                               ;   in Loop: Header=BB127_7 Depth=2
	s_delay_alu instid0(VALU_DEP_1)
	v_lshl_add_u64 v[8:9], v[14:15], 4, v[2:3]
	v_mul_f64_e32 v[10:11], s[38:39], v[54:55]
	v_mul_f64_e32 v[12:13], s[36:37], v[54:55]
	global_load_b128 v[4:7], v[8:9], off
	v_fma_f64 v[10:11], s[36:37], v[52:53], -v[10:11]
	v_fmac_f64_e32 v[12:13], s[38:39], v[52:53]
	s_wait_loadcnt 0x0
	s_delay_alu instid0(VALU_DEP_2) | instskip(NEXT) | instid1(VALU_DEP_2)
	v_add_f64_e32 v[4:5], v[4:5], v[10:11]
	v_add_f64_e32 v[6:7], v[12:13], v[6:7]
	global_store_b128 v[8:9], v[4:7], off
.LBB127_61:                             ;   in Loop: Header=BB127_7 Depth=2
	s_wait_xcnt 0x0
	s_or_b32 exec_lo, exec_lo, s4
	s_and_b32 s5, s3, vcc_lo
	s_delay_alu instid0(SALU_CYCLE_1)
	s_and_saveexec_b32 s4, s5
	s_cbranch_execz .LBB127_63
; %bb.62:                               ;   in Loop: Header=BB127_7 Depth=2
	v_lshl_add_u64 v[6:7], v[16:17], 4, v[2:3]
	v_mul_f64_e32 v[8:9], s[38:39], v[50:51]
	v_mul_f64_e32 v[10:11], s[36:37], v[50:51]
	global_load_b128 v[2:5], v[6:7], off
	v_fma_f64 v[8:9], s[36:37], v[48:49], -v[8:9]
	v_fmac_f64_e32 v[10:11], s[38:39], v[48:49]
	s_wait_loadcnt 0x0
	s_delay_alu instid0(VALU_DEP_2) | instskip(NEXT) | instid1(VALU_DEP_2)
	v_add_f64_e32 v[2:3], v[2:3], v[8:9]
	v_add_f64_e32 v[4:5], v[10:11], v[4:5]
	global_store_b128 v[6:7], v[2:5], off
.LBB127_63:                             ;   in Loop: Header=BB127_7 Depth=2
	s_wait_xcnt 0x0
	s_or_b32 exec_lo, exec_lo, s4
	v_add_nc_u32_e32 v2, 16, v26
	s_delay_alu instid0(VALU_DEP_1) | instskip(SKIP_1) | instid1(VALU_DEP_2)
	v_ashrrev_i32_e32 v3, 31, v2
	v_cmp_gt_i32_e32 vcc_lo, s42, v2
	v_mul_u64_e32 v[4:5], s[28:29], v[2:3]
	s_and_b32 s5, s2, vcc_lo
	s_delay_alu instid0(VALU_DEP_1)
	v_lshl_add_u64 v[2:3], v[4:5], 4, s[56:57]
	s_and_saveexec_b32 s4, s5
	s_cbranch_execz .LBB127_65
; %bb.64:                               ;   in Loop: Header=BB127_7 Depth=2
	s_delay_alu instid0(VALU_DEP_1)
	v_lshl_add_u64 v[8:9], v[14:15], 4, v[2:3]
	v_mul_f64_e32 v[10:11], s[38:39], v[60:61]
	v_mul_f64_e32 v[12:13], s[36:37], v[60:61]
	global_load_b128 v[4:7], v[8:9], off
	v_fma_f64 v[10:11], s[36:37], v[62:63], -v[10:11]
	v_fmac_f64_e32 v[12:13], s[38:39], v[62:63]
	s_wait_loadcnt 0x0
	s_delay_alu instid0(VALU_DEP_2) | instskip(NEXT) | instid1(VALU_DEP_2)
	v_add_f64_e32 v[4:5], v[4:5], v[10:11]
	v_add_f64_e32 v[6:7], v[12:13], v[6:7]
	global_store_b128 v[8:9], v[4:7], off
.LBB127_65:                             ;   in Loop: Header=BB127_7 Depth=2
	s_wait_xcnt 0x0
	s_or_b32 exec_lo, exec_lo, s4
	s_and_b32 s5, s3, vcc_lo
	s_delay_alu instid0(SALU_CYCLE_1)
	s_and_saveexec_b32 s4, s5
	s_cbranch_execz .LBB127_6
; %bb.66:                               ;   in Loop: Header=BB127_7 Depth=2
	v_lshl_add_u64 v[6:7], v[16:17], 4, v[2:3]
	v_mul_f64_e32 v[8:9], s[38:39], v[56:57]
	v_mul_f64_e32 v[10:11], s[36:37], v[56:57]
	global_load_b128 v[2:5], v[6:7], off
	v_fma_f64 v[8:9], s[36:37], v[64:65], -v[8:9]
	v_fmac_f64_e32 v[10:11], s[38:39], v[64:65]
	s_wait_loadcnt 0x0
	s_delay_alu instid0(VALU_DEP_2) | instskip(NEXT) | instid1(VALU_DEP_2)
	v_add_f64_e32 v[2:3], v[2:3], v[8:9]
	v_add_f64_e32 v[4:5], v[10:11], v[4:5]
	global_store_b128 v[6:7], v[2:5], off
	s_branch .LBB127_6
.LBB127_67:
	s_sendmsg sendmsg(MSG_DEALLOC_VGPRS)
	s_endpgm
	.section	.rodata,"a",@progbits
	.p2align	6, 0x0
	.amdhsa_kernel _ZL30rocblas_trmm_outofplace_kernelI19rocblas_complex_numIdELi32ELi2ELb0ELb1ELb1ELb0ES1_KS1_S1_Ev17rocblas_diagonal_iiT6_lPT7_lllS6_lllPT8_llli
		.amdhsa_group_segment_fixed_size 32768
		.amdhsa_private_segment_fixed_size 0
		.amdhsa_kernarg_size 400
		.amdhsa_user_sgpr_count 2
		.amdhsa_user_sgpr_dispatch_ptr 0
		.amdhsa_user_sgpr_queue_ptr 0
		.amdhsa_user_sgpr_kernarg_segment_ptr 1
		.amdhsa_user_sgpr_dispatch_id 0
		.amdhsa_user_sgpr_kernarg_preload_length 0
		.amdhsa_user_sgpr_kernarg_preload_offset 0
		.amdhsa_user_sgpr_private_segment_size 0
		.amdhsa_wavefront_size32 1
		.amdhsa_uses_dynamic_stack 0
		.amdhsa_enable_private_segment 0
		.amdhsa_system_sgpr_workgroup_id_x 1
		.amdhsa_system_sgpr_workgroup_id_y 1
		.amdhsa_system_sgpr_workgroup_id_z 1
		.amdhsa_system_sgpr_workgroup_info 0
		.amdhsa_system_vgpr_workitem_id 1
		.amdhsa_next_free_vgpr 94
		.amdhsa_next_free_sgpr 70
		.amdhsa_named_barrier_count 0
		.amdhsa_reserve_vcc 1
		.amdhsa_float_round_mode_32 0
		.amdhsa_float_round_mode_16_64 0
		.amdhsa_float_denorm_mode_32 3
		.amdhsa_float_denorm_mode_16_64 3
		.amdhsa_fp16_overflow 0
		.amdhsa_memory_ordered 1
		.amdhsa_forward_progress 1
		.amdhsa_inst_pref_size 67
		.amdhsa_round_robin_scheduling 0
		.amdhsa_exception_fp_ieee_invalid_op 0
		.amdhsa_exception_fp_denorm_src 0
		.amdhsa_exception_fp_ieee_div_zero 0
		.amdhsa_exception_fp_ieee_overflow 0
		.amdhsa_exception_fp_ieee_underflow 0
		.amdhsa_exception_fp_ieee_inexact 0
		.amdhsa_exception_int_div_zero 0
	.end_amdhsa_kernel
	.section	.text._ZL30rocblas_trmm_outofplace_kernelI19rocblas_complex_numIdELi32ELi2ELb0ELb1ELb1ELb0ES1_KS1_S1_Ev17rocblas_diagonal_iiT6_lPT7_lllS6_lllPT8_llli,"axG",@progbits,_ZL30rocblas_trmm_outofplace_kernelI19rocblas_complex_numIdELi32ELi2ELb0ELb1ELb1ELb0ES1_KS1_S1_Ev17rocblas_diagonal_iiT6_lPT7_lllS6_lllPT8_llli,comdat
.Lfunc_end127:
	.size	_ZL30rocblas_trmm_outofplace_kernelI19rocblas_complex_numIdELi32ELi2ELb0ELb1ELb1ELb0ES1_KS1_S1_Ev17rocblas_diagonal_iiT6_lPT7_lllS6_lllPT8_llli, .Lfunc_end127-_ZL30rocblas_trmm_outofplace_kernelI19rocblas_complex_numIdELi32ELi2ELb0ELb1ELb1ELb0ES1_KS1_S1_Ev17rocblas_diagonal_iiT6_lPT7_lllS6_lllPT8_llli
                                        ; -- End function
	.set _ZL30rocblas_trmm_outofplace_kernelI19rocblas_complex_numIdELi32ELi2ELb0ELb1ELb1ELb0ES1_KS1_S1_Ev17rocblas_diagonal_iiT6_lPT7_lllS6_lllPT8_llli.num_vgpr, 94
	.set _ZL30rocblas_trmm_outofplace_kernelI19rocblas_complex_numIdELi32ELi2ELb0ELb1ELb1ELb0ES1_KS1_S1_Ev17rocblas_diagonal_iiT6_lPT7_lllS6_lllPT8_llli.num_agpr, 0
	.set _ZL30rocblas_trmm_outofplace_kernelI19rocblas_complex_numIdELi32ELi2ELb0ELb1ELb1ELb0ES1_KS1_S1_Ev17rocblas_diagonal_iiT6_lPT7_lllS6_lllPT8_llli.numbered_sgpr, 70
	.set _ZL30rocblas_trmm_outofplace_kernelI19rocblas_complex_numIdELi32ELi2ELb0ELb1ELb1ELb0ES1_KS1_S1_Ev17rocblas_diagonal_iiT6_lPT7_lllS6_lllPT8_llli.num_named_barrier, 0
	.set _ZL30rocblas_trmm_outofplace_kernelI19rocblas_complex_numIdELi32ELi2ELb0ELb1ELb1ELb0ES1_KS1_S1_Ev17rocblas_diagonal_iiT6_lPT7_lllS6_lllPT8_llli.private_seg_size, 0
	.set _ZL30rocblas_trmm_outofplace_kernelI19rocblas_complex_numIdELi32ELi2ELb0ELb1ELb1ELb0ES1_KS1_S1_Ev17rocblas_diagonal_iiT6_lPT7_lllS6_lllPT8_llli.uses_vcc, 1
	.set _ZL30rocblas_trmm_outofplace_kernelI19rocblas_complex_numIdELi32ELi2ELb0ELb1ELb1ELb0ES1_KS1_S1_Ev17rocblas_diagonal_iiT6_lPT7_lllS6_lllPT8_llli.uses_flat_scratch, 0
	.set _ZL30rocblas_trmm_outofplace_kernelI19rocblas_complex_numIdELi32ELi2ELb0ELb1ELb1ELb0ES1_KS1_S1_Ev17rocblas_diagonal_iiT6_lPT7_lllS6_lllPT8_llli.has_dyn_sized_stack, 0
	.set _ZL30rocblas_trmm_outofplace_kernelI19rocblas_complex_numIdELi32ELi2ELb0ELb1ELb1ELb0ES1_KS1_S1_Ev17rocblas_diagonal_iiT6_lPT7_lllS6_lllPT8_llli.has_recursion, 0
	.set _ZL30rocblas_trmm_outofplace_kernelI19rocblas_complex_numIdELi32ELi2ELb0ELb1ELb1ELb0ES1_KS1_S1_Ev17rocblas_diagonal_iiT6_lPT7_lllS6_lllPT8_llli.has_indirect_call, 0
	.section	.AMDGPU.csdata,"",@progbits
; Kernel info:
; codeLenInByte = 8452
; TotalNumSgprs: 72
; NumVgprs: 94
; ScratchSize: 0
; MemoryBound: 0
; FloatMode: 240
; IeeeMode: 1
; LDSByteSize: 32768 bytes/workgroup (compile time only)
; SGPRBlocks: 0
; VGPRBlocks: 5
; NumSGPRsForWavesPerEU: 72
; NumVGPRsForWavesPerEU: 94
; NamedBarCnt: 0
; Occupancy: 10
; WaveLimiterHint : 0
; COMPUTE_PGM_RSRC2:SCRATCH_EN: 0
; COMPUTE_PGM_RSRC2:USER_SGPR: 2
; COMPUTE_PGM_RSRC2:TRAP_HANDLER: 0
; COMPUTE_PGM_RSRC2:TGID_X_EN: 1
; COMPUTE_PGM_RSRC2:TGID_Y_EN: 1
; COMPUTE_PGM_RSRC2:TGID_Z_EN: 1
; COMPUTE_PGM_RSRC2:TIDIG_COMP_CNT: 1
	.section	.text._ZL30rocblas_trmm_outofplace_kernelI19rocblas_complex_numIdELi32ELi2ELb0ELb0ELb1ELb1EPKS1_S2_S1_Ev17rocblas_diagonal_iiT6_lPT7_lllS7_lllPT8_llli,"axG",@progbits,_ZL30rocblas_trmm_outofplace_kernelI19rocblas_complex_numIdELi32ELi2ELb0ELb0ELb1ELb1EPKS1_S2_S1_Ev17rocblas_diagonal_iiT6_lPT7_lllS7_lllPT8_llli,comdat
	.globl	_ZL30rocblas_trmm_outofplace_kernelI19rocblas_complex_numIdELi32ELi2ELb0ELb0ELb1ELb1EPKS1_S2_S1_Ev17rocblas_diagonal_iiT6_lPT7_lllS7_lllPT8_llli ; -- Begin function _ZL30rocblas_trmm_outofplace_kernelI19rocblas_complex_numIdELi32ELi2ELb0ELb0ELb1ELb1EPKS1_S2_S1_Ev17rocblas_diagonal_iiT6_lPT7_lllS7_lllPT8_llli
	.p2align	8
	.type	_ZL30rocblas_trmm_outofplace_kernelI19rocblas_complex_numIdELi32ELi2ELb0ELb0ELb1ELb1EPKS1_S2_S1_Ev17rocblas_diagonal_iiT6_lPT7_lllS7_lllPT8_llli,@function
_ZL30rocblas_trmm_outofplace_kernelI19rocblas_complex_numIdELi32ELi2ELb0ELb0ELb1ELb1EPKS1_S2_S1_Ev17rocblas_diagonal_iiT6_lPT7_lllS7_lllPT8_llli: ; @_ZL30rocblas_trmm_outofplace_kernelI19rocblas_complex_numIdELi32ELi2ELb0ELb0ELb1ELb1EPKS1_S2_S1_Ev17rocblas_diagonal_iiT6_lPT7_lllS7_lllPT8_llli
; %bb.0:
	s_load_b32 s33, s[0:1], 0x80
	s_bfe_u32 s2, ttmp6, 0x40014
	s_lshr_b32 s3, ttmp7, 16
	s_add_co_i32 s2, s2, 1
	s_bfe_u32 s5, ttmp6, 0x40008
	s_mul_i32 s4, s3, s2
	s_getreg_b32 s2, hwreg(HW_REG_IB_STS2, 6, 4)
	s_add_co_i32 s5, s5, s4
	s_cmp_eq_u32 s2, 0
	s_mov_b32 s35, 0
	s_cselect_b32 s34, s3, s5
	s_wait_kmcnt 0x0
	s_cmp_ge_u32 s34, s33
	s_cbranch_scc1 .LBB128_67
; %bb.1:
	s_clause 0x3
	s_load_b96 s[36:38], s[0:1], 0x0
	s_load_b512 s[12:27], s[0:1], 0x10
	s_load_b128 s[28:31], s[0:1], 0x70
	s_load_b256 s[4:11], s[0:1], 0x50
	s_bfe_u32 s39, ttmp6, 0x4000c
	s_and_b32 s3, ttmp6, 15
	s_add_co_i32 s39, s39, 1
	s_bfe_u32 s41, ttmp6, 0x40010
	s_mul_i32 s39, ttmp9, s39
	s_and_b32 s40, ttmp7, 0xffff
	s_add_co_i32 s41, s41, 1
	s_add_co_i32 s3, s3, s39
	v_and_b32_e32 v26, 0x3ff, v0
	v_bfe_u32 v0, v0, 10, 10
	v_mov_b32_e32 v2, 0
	s_bfe_u32 s42, ttmp6, 0x40004
	s_mul_i32 s41, s40, s41
	v_lshlrev_b32_e32 v3, 4, v26
	s_add_co_i32 s42, s42, s41
	v_lshlrev_b32_e32 v4, 4, v0
	s_wait_kmcnt 0x0
	s_add_co_i32 s43, s38, -1
	v_dual_mov_b32 v27, v2 :: v_dual_mov_b32 v1, v2
	s_ashr_i32 s44, s43, 31
	s_lshl_b64 s[10:11], s[10:11], 4
	s_lshr_b32 s39, s44, 27
	v_mov_b32_e32 v5, v2
	s_add_co_i32 s43, s43, s39
	v_mul_u64_e32 v[6:7], s[4:5], v[0:1]
	s_ashr_i32 s39, s43, 5
	s_cmp_eq_u32 s2, 0
	v_add_nc_u64_e32 v[4:5], 0x100, v[4:5]
	s_cselect_b32 s2, ttmp9, s3
	v_mul_u64_e32 v[8:9], s[20:21], v[26:27]
	v_lshl_add_u32 v28, s2, 5, v26
	s_cselect_b32 s44, s40, s42
	s_mov_b32 s2, s37
	s_cmp_le_i32 s44, s39
	v_mul_u64_e32 v[30:31], s[4:5], v[4:5]
	v_add_nc_u32_e32 v34, 16, v28
	v_lshlrev_b32_e32 v86, 9, v0
	s_cselect_b32 s45, -1, 0
	s_cmp_eq_u32 s36, 0x84
	v_or_b32_e32 v87, 0x4000, v3
	v_dual_ashrrev_i32 v35, 31, v34 :: v_dual_ashrrev_i32 v29, 31, v28
	v_add_nc_u32_e32 v88, v86, v3
	s_cselect_b32 s46, -1, 0
	s_ashr_i32 s3, s37, 31
	v_add_nc_u32_e32 v3, 0x100, v3
	v_sub_nc_u64_e32 v[4:5], s[2:3], v[28:29]
	s_lshl_b64 s[2:3], s[18:19], 4
	s_add_nc_u64 s[10:11], s[8:9], s[10:11]
	s_add_nc_u64 s[8:9], s[16:17], s[2:3]
	s_lshl_b64 s[2:3], s[26:27], 4
	v_mad_nc_u64_u32 v[32:33], s20, v3, s[8:9]
	s_lshl_b64 s[18:19], s[4:5], 9
	s_add_nc_u64 s[4:5], s[24:25], s[2:3]
	s_add_nc_u64 s[42:43], s[0:1], 0x88
	v_cmp_gt_i64_e64 s0, 1, v[4:5]
	v_cmp_gt_i64_e64 s1, 17, v[4:5]
	v_lshl_add_u64 v[4:5], v[28:29], 4, s[4:5]
	v_lshlrev_b64_e32 v[36:37], 4, v[6:7]
	v_add_nc_u32_e32 v89, v87, v86
	v_cmp_gt_i32_e64 s2, s37, v28
	v_lshl_add_u64 v[40:41], v[8:9], 4, s[8:9]
	v_mad_u32 v33, s21, v3, v33
	v_add_nc_u64_e32 v[38:39], 0x100, v[4:5]
	v_mov_b32_e32 v3, 0x3ff00000
	v_cmp_gt_i32_e64 s3, s37, v34
	s_ashr_i32 s41, s38, 31
	s_mov_b32 s40, s38
	s_lshl_b64 s[16:17], s[20:21], 9
	s_add_nc_u64 s[20:21], s[40:41], -16
	s_lshl_b64 s[24:25], s[6:7], 4
	s_lshl_b64 s[22:23], s[22:23], 4
	s_branch .LBB128_4
.LBB128_2:                              ;   in Loop: Header=BB128_4 Depth=1
	s_add_co_i32 s34, s34, 0x10000
	s_delay_alu instid0(SALU_CYCLE_1)
	s_cmp_ge_u32 s34, s33
	s_cselect_b32 s4, -1, 0
.LBB128_3:                              ;   in Loop: Header=BB128_4 Depth=1
	s_delay_alu instid0(SALU_CYCLE_1)
	s_and_b32 vcc_lo, exec_lo, s4
	s_cbranch_vccnz .LBB128_67
.LBB128_4:                              ; =>This Loop Header: Depth=1
                                        ;     Child Loop BB128_8 Depth 2
                                        ;       Child Loop BB128_11 Depth 3
	s_mul_u64 s[4:5], s[14:15], s[34:35]
	s_delay_alu instid0(SALU_CYCLE_1) | instskip(NEXT) | instid1(SALU_CYCLE_1)
	s_lshl_b64 s[4:5], s[4:5], 4
	s_add_nc_u64 s[4:5], s[12:13], s[4:5]
	global_load_b128 v[6:9], v2, s[4:5]
	s_wait_loadcnt 0x0
	v_cmp_eq_f64_e32 vcc_lo, 0, v[6:7]
	s_wait_xcnt 0x0
	v_cmp_eq_f64_e64 s4, 0, v[8:9]
	s_and_b32 s4, vcc_lo, s4
	s_delay_alu instid0(SALU_CYCLE_1)
	s_and_b32 vcc_lo, exec_lo, s4
	s_mov_b32 s4, -1
	s_cbranch_vccnz .LBB128_3
; %bb.5:                                ;   in Loop: Header=BB128_4 Depth=1
	s_and_not1_b32 vcc_lo, exec_lo, s45
	s_cbranch_vccnz .LBB128_2
; %bb.6:                                ;   in Loop: Header=BB128_4 Depth=1
	s_load_b32 s47, s[42:43], 0x4
	v_mad_nc_u64_u32 v[42:43], s24, s34, v[38:39]
	v_mad_nc_u64_u32 v[44:45], s22, s34, v[40:41]
	;; [unrolled: 1-line block ×3, first 2 shown]
	s_mul_i32 s6, s23, s34
	s_mul_u64 s[4:5], s[30:31], s[34:35]
	v_lshl_add_u32 v48, s44, 5, v0
	s_lshl_b64 s[4:5], s[4:5], 4
	s_mov_b32 s49, s44
	s_add_nc_u64 s[26:27], s[10:11], s[4:5]
	s_delay_alu instid0(VALU_DEP_4) | instskip(NEXT) | instid1(VALU_DEP_3)
	v_mad_u32 v43, s25, s34, v43
	v_dual_add_nc_u32 v45, s6, v45 :: v_dual_add_nc_u32 v47, s6, v47
	s_wait_kmcnt 0x0
	s_lshl_b32 s48, s47, 5
	s_branch .LBB128_8
.LBB128_7:                              ;   in Loop: Header=BB128_8 Depth=2
	s_wait_xcnt 0x0
	s_or_b32 exec_lo, exec_lo, s4
	v_add_nc_u32_e32 v48, s48, v48
	s_add_co_i32 s49, s47, s49
	s_delay_alu instid0(SALU_CYCLE_1)
	s_cmp_gt_i32 s49, s39
	s_cbranch_scc1 .LBB128_2
.LBB128_8:                              ;   Parent Loop BB128_4 Depth=1
                                        ; =>  This Loop Header: Depth=2
                                        ;       Child Loop BB128_11 Depth 3
	s_lshl_b32 s50, s49, 5
	v_mov_b64_e32 v[66:67], 0
	v_add_nc_u32_e32 v50, s50, v0
	v_mov_b64_e32 v[68:69], 0
	v_mov_b64_e32 v[22:23], 0
	;; [unrolled: 1-line block ×7, first 2 shown]
	v_ashrrev_i32_e32 v51, 31, v50
	s_cmp_lt_i32 s49, 0
	s_cbranch_scc1 .LBB128_59
; %bb.9:                                ;   in Loop: Header=BB128_8 Depth=2
	v_sub_nc_u64_e32 v[4:5], 0, v[26:27]
	v_ashrrev_i32_e32 v49, 31, v48
	v_add_nc_u64_e32 v[52:53], 16, v[50:51]
	v_mov_b64_e32 v[74:75], 0
	v_mov_b64_e32 v[54:55], v[46:47]
	;; [unrolled: 1-line block ×4, first 2 shown]
	v_add_nc_u64_e32 v[56:57], v[4:5], v[48:49]
	v_mov_b64_e32 v[70:71], 0
	v_mov_b64_e32 v[24:25], 0
	;; [unrolled: 1-line block ×3, first 2 shown]
	v_lshlrev_b64_e32 v[58:59], 4, v[48:49]
	v_cmp_le_i64_e64 s4, s[40:41], v[52:53]
	v_mov_b64_e32 v[68:69], 0
	v_add_nc_u64_e32 v[60:61], -16, v[56:57]
	v_mov_b64_e32 v[66:67], 0
	v_mov_b64_e32 v[62:63], v[44:45]
	;; [unrolled: 1-line block ×3, first 2 shown]
	s_mov_b64 s[36:37], 0
	v_cmp_le_i32_e32 vcc_lo, s38, v50
	s_branch .LBB128_11
.LBB128_10:                             ;   in Loop: Header=BB128_11 Depth=3
	s_or_b32 exec_lo, exec_lo, s5
	s_wait_dscnt 0x0
	s_barrier_signal -1
	s_barrier_wait -1
	ds_load_b128 v[78:81], v86
	ds_load_b128 v[18:21], v86 offset:16
	ds_load_b128 v[14:17], v86 offset:32
	;; [unrolled: 1-line block ×3, first 2 shown]
	ds_load_b128 v[90:93], v87
	ds_load_b128 v[94:97], v87 offset:256
	v_add_nc_u64_e32 v[64:65], s[18:19], v[64:65]
	v_add_nc_u64_e32 v[62:63], s[16:17], v[62:63]
	;; [unrolled: 1-line block ×3, first 2 shown]
	s_add_nc_u64 s[36:37], s[36:37], 32
	s_delay_alu instid0(SALU_CYCLE_1) | instskip(NEXT) | instid1(SALU_CYCLE_1)
	s_sub_co_i32 s5, s36, 32
	s_cmp_ge_i32 s5, s50
	s_wait_dscnt 0x1
	v_mul_f64_e32 v[4:5], v[80:81], v[92:93]
	v_mul_f64_e32 v[84:85], v[78:79], v[92:93]
	s_delay_alu instid0(VALU_DEP_2) | instskip(NEXT) | instid1(VALU_DEP_2)
	v_fma_f64 v[4:5], v[78:79], v[90:91], -v[4:5]
	v_fmac_f64_e32 v[84:85], v[80:81], v[90:91]
	s_delay_alu instid0(VALU_DEP_2) | instskip(SKIP_3) | instid1(VALU_DEP_4)
	v_add_f64_e32 v[82:83], v[66:67], v[4:5]
	s_wait_dscnt 0x0
	v_mul_f64_e32 v[4:5], v[80:81], v[96:97]
	v_mul_f64_e32 v[66:67], v[78:79], v[96:97]
	v_add_f64_e32 v[84:85], v[84:85], v[68:69]
	s_delay_alu instid0(VALU_DEP_3) | instskip(NEXT) | instid1(VALU_DEP_3)
	v_fma_f64 v[4:5], v[78:79], v[94:95], -v[4:5]
	v_fmac_f64_e32 v[66:67], v[80:81], v[94:95]
	s_delay_alu instid0(VALU_DEP_2) | instskip(NEXT) | instid1(VALU_DEP_2)
	v_add_f64_e32 v[78:79], v[22:23], v[4:5]
	v_add_f64_e32 v[80:81], v[66:67], v[24:25]
	ds_load_b128 v[22:25], v86 offset:8192
	s_wait_dscnt 0x0
	v_mul_f64_e32 v[4:5], v[24:25], v[92:93]
	v_mul_f64_e32 v[66:67], v[22:23], v[92:93]
	s_delay_alu instid0(VALU_DEP_2) | instskip(NEXT) | instid1(VALU_DEP_2)
	v_fma_f64 v[4:5], v[22:23], v[90:91], -v[4:5]
	v_fmac_f64_e32 v[66:67], v[24:25], v[90:91]
	s_delay_alu instid0(VALU_DEP_2) | instskip(SKIP_1) | instid1(VALU_DEP_3)
	v_add_f64_e32 v[68:69], v[70:71], v[4:5]
	v_mul_f64_e32 v[4:5], v[24:25], v[96:97]
	v_add_f64_e32 v[70:71], v[66:67], v[72:73]
	s_delay_alu instid0(VALU_DEP_2) | instskip(SKIP_1) | instid1(VALU_DEP_2)
	v_fma_f64 v[4:5], v[22:23], v[94:95], -v[4:5]
	v_mul_f64_e32 v[22:23], v[22:23], v[96:97]
	v_add_f64_e32 v[4:5], v[76:77], v[4:5]
	s_delay_alu instid0(VALU_DEP_2) | instskip(NEXT) | instid1(VALU_DEP_1)
	v_fmac_f64_e32 v[22:23], v[24:25], v[94:95]
	v_add_f64_e32 v[66:67], v[22:23], v[74:75]
	ds_load_b128 v[22:25], v87 offset:512
	s_wait_dscnt 0x0
	v_mul_f64_e32 v[72:73], v[20:21], v[24:25]
	v_mul_f64_e32 v[74:75], v[18:19], v[24:25]
	s_delay_alu instid0(VALU_DEP_2) | instskip(NEXT) | instid1(VALU_DEP_2)
	v_fma_f64 v[72:73], v[18:19], v[22:23], -v[72:73]
	v_fmac_f64_e32 v[74:75], v[20:21], v[22:23]
	s_delay_alu instid0(VALU_DEP_2) | instskip(NEXT) | instid1(VALU_DEP_2)
	v_add_f64_e32 v[72:73], v[82:83], v[72:73]
	v_add_f64_e32 v[74:75], v[74:75], v[84:85]
	ds_load_b128 v[82:85], v87 offset:768
	s_wait_dscnt 0x0
	v_mul_f64_e32 v[76:77], v[20:21], v[84:85]
	v_mul_f64_e32 v[90:91], v[18:19], v[84:85]
	s_delay_alu instid0(VALU_DEP_2) | instskip(NEXT) | instid1(VALU_DEP_2)
	v_fma_f64 v[76:77], v[18:19], v[82:83], -v[76:77]
	v_fmac_f64_e32 v[90:91], v[20:21], v[82:83]
	s_delay_alu instid0(VALU_DEP_2)
	v_add_f64_e32 v[18:19], v[78:79], v[76:77]
	ds_load_b128 v[76:79], v86 offset:8208
	v_add_f64_e32 v[20:21], v[90:91], v[80:81]
	s_wait_dscnt 0x0
	v_mul_f64_e32 v[80:81], v[78:79], v[24:25]
	v_mul_f64_e32 v[24:25], v[76:77], v[24:25]
	s_delay_alu instid0(VALU_DEP_2) | instskip(NEXT) | instid1(VALU_DEP_2)
	v_fma_f64 v[80:81], v[76:77], v[22:23], -v[80:81]
	v_fmac_f64_e32 v[24:25], v[78:79], v[22:23]
	s_delay_alu instid0(VALU_DEP_2) | instskip(NEXT) | instid1(VALU_DEP_2)
	v_add_f64_e32 v[22:23], v[68:69], v[80:81]
	v_add_f64_e32 v[24:25], v[24:25], v[70:71]
	v_mul_f64_e32 v[68:69], v[78:79], v[84:85]
	v_mul_f64_e32 v[70:71], v[76:77], v[84:85]
	s_delay_alu instid0(VALU_DEP_2) | instskip(NEXT) | instid1(VALU_DEP_2)
	v_fma_f64 v[68:69], v[76:77], v[82:83], -v[68:69]
	v_fmac_f64_e32 v[70:71], v[78:79], v[82:83]
	ds_load_b128 v[76:79], v87 offset:1024
	ds_load_b128 v[80:83], v87 offset:1280
	v_add_f64_e32 v[4:5], v[4:5], v[68:69]
	v_add_f64_e32 v[68:69], v[70:71], v[66:67]
	s_wait_dscnt 0x1
	v_mul_f64_e32 v[66:67], v[16:17], v[78:79]
	v_mul_f64_e32 v[70:71], v[14:15], v[78:79]
	s_delay_alu instid0(VALU_DEP_2) | instskip(NEXT) | instid1(VALU_DEP_2)
	v_fma_f64 v[66:67], v[14:15], v[76:77], -v[66:67]
	v_fmac_f64_e32 v[70:71], v[16:17], v[76:77]
	s_delay_alu instid0(VALU_DEP_2) | instskip(SKIP_2) | instid1(VALU_DEP_3)
	v_add_f64_e32 v[84:85], v[72:73], v[66:67]
	s_wait_dscnt 0x0
	v_mul_f64_e32 v[66:67], v[16:17], v[82:83]
	v_add_f64_e32 v[74:75], v[70:71], v[74:75]
	s_delay_alu instid0(VALU_DEP_2) | instskip(SKIP_1) | instid1(VALU_DEP_2)
	v_fma_f64 v[66:67], v[14:15], v[80:81], -v[66:67]
	v_mul_f64_e32 v[14:15], v[14:15], v[82:83]
	v_add_f64_e32 v[90:91], v[18:19], v[66:67]
	s_delay_alu instid0(VALU_DEP_2) | instskip(NEXT) | instid1(VALU_DEP_1)
	v_fmac_f64_e32 v[14:15], v[16:17], v[80:81]
	v_add_f64_e32 v[92:93], v[14:15], v[20:21]
	ds_load_b128 v[14:17], v86 offset:8224
	s_wait_dscnt 0x0
	v_mul_f64_e32 v[18:19], v[16:17], v[78:79]
	v_mul_f64_e32 v[20:21], v[14:15], v[78:79]
	s_delay_alu instid0(VALU_DEP_2) | instskip(NEXT) | instid1(VALU_DEP_2)
	v_fma_f64 v[18:19], v[14:15], v[76:77], -v[18:19]
	v_fmac_f64_e32 v[20:21], v[16:17], v[76:77]
	s_delay_alu instid0(VALU_DEP_2) | instskip(SKIP_1) | instid1(VALU_DEP_3)
	v_add_f64_e32 v[70:71], v[22:23], v[18:19]
	v_mul_f64_e32 v[18:19], v[16:17], v[82:83]
	v_add_f64_e32 v[72:73], v[20:21], v[24:25]
	s_delay_alu instid0(VALU_DEP_2) | instskip(SKIP_1) | instid1(VALU_DEP_2)
	v_fma_f64 v[18:19], v[14:15], v[80:81], -v[18:19]
	v_mul_f64_e32 v[14:15], v[14:15], v[82:83]
	v_add_f64_e32 v[66:67], v[4:5], v[18:19]
	s_delay_alu instid0(VALU_DEP_2)
	v_fmac_f64_e32 v[14:15], v[16:17], v[80:81]
	ds_load_b128 v[18:21], v87 offset:1536
	s_wait_dscnt 0x0
	v_mul_f64_e32 v[4:5], v[12:13], v[20:21]
	v_add_f64_e32 v[68:69], v[14:15], v[68:69]
	v_mul_f64_e32 v[14:15], v[10:11], v[20:21]
	s_delay_alu instid0(VALU_DEP_3) | instskip(NEXT) | instid1(VALU_DEP_2)
	v_fma_f64 v[4:5], v[10:11], v[18:19], -v[4:5]
	v_fmac_f64_e32 v[14:15], v[12:13], v[18:19]
	s_delay_alu instid0(VALU_DEP_2) | instskip(NEXT) | instid1(VALU_DEP_2)
	v_add_f64_e32 v[22:23], v[84:85], v[4:5]
	v_add_f64_e32 v[24:25], v[14:15], v[74:75]
	ds_load_b128 v[14:17], v87 offset:1792
	ds_load_b128 v[74:77], v86 offset:8240
	s_wait_dscnt 0x1
	v_mul_f64_e32 v[4:5], v[12:13], v[16:17]
	s_delay_alu instid0(VALU_DEP_1) | instskip(SKIP_1) | instid1(VALU_DEP_2)
	v_fma_f64 v[4:5], v[10:11], v[14:15], -v[4:5]
	v_mul_f64_e32 v[10:11], v[10:11], v[16:17]
	v_add_f64_e32 v[4:5], v[90:91], v[4:5]
	s_delay_alu instid0(VALU_DEP_2) | instskip(SKIP_3) | instid1(VALU_DEP_3)
	v_fmac_f64_e32 v[10:11], v[12:13], v[14:15]
	s_wait_dscnt 0x0
	v_mul_f64_e32 v[12:13], v[76:77], v[20:21]
	v_mul_f64_e32 v[20:21], v[74:75], v[20:21]
	v_add_f64_e32 v[10:11], v[10:11], v[92:93]
	s_delay_alu instid0(VALU_DEP_3) | instskip(NEXT) | instid1(VALU_DEP_3)
	v_fma_f64 v[12:13], v[74:75], v[18:19], -v[12:13]
	v_fmac_f64_e32 v[20:21], v[76:77], v[18:19]
	s_delay_alu instid0(VALU_DEP_2) | instskip(NEXT) | instid1(VALU_DEP_2)
	v_add_f64_e32 v[12:13], v[70:71], v[12:13]
	v_add_f64_e32 v[18:19], v[20:21], v[72:73]
	v_mul_f64_e32 v[20:21], v[76:77], v[16:17]
	v_mul_f64_e32 v[16:17], v[74:75], v[16:17]
	s_delay_alu instid0(VALU_DEP_2) | instskip(NEXT) | instid1(VALU_DEP_2)
	v_fma_f64 v[20:21], v[74:75], v[14:15], -v[20:21]
	v_fmac_f64_e32 v[16:17], v[76:77], v[14:15]
	s_delay_alu instid0(VALU_DEP_2) | instskip(NEXT) | instid1(VALU_DEP_2)
	v_add_f64_e32 v[14:15], v[66:67], v[20:21]
	v_add_f64_e32 v[66:67], v[16:17], v[68:69]
	ds_load_b128 v[68:71], v86 offset:64
	ds_load_b128 v[72:75], v87 offset:2048
	s_wait_dscnt 0x0
	v_mul_f64_e32 v[16:17], v[70:71], v[74:75]
	v_mul_f64_e32 v[76:77], v[68:69], v[74:75]
	s_delay_alu instid0(VALU_DEP_2) | instskip(NEXT) | instid1(VALU_DEP_2)
	v_fma_f64 v[16:17], v[68:69], v[72:73], -v[16:17]
	v_fmac_f64_e32 v[76:77], v[70:71], v[72:73]
	s_delay_alu instid0(VALU_DEP_2) | instskip(NEXT) | instid1(VALU_DEP_2)
	v_add_f64_e32 v[20:21], v[22:23], v[16:17]
	v_add_f64_e32 v[22:23], v[76:77], v[24:25]
	ds_load_b128 v[76:79], v87 offset:2304
	s_wait_dscnt 0x0
	v_mul_f64_e32 v[16:17], v[70:71], v[78:79]
	v_mul_f64_e32 v[24:25], v[68:69], v[78:79]
	s_delay_alu instid0(VALU_DEP_2) | instskip(NEXT) | instid1(VALU_DEP_2)
	v_fma_f64 v[16:17], v[68:69], v[76:77], -v[16:17]
	v_fmac_f64_e32 v[24:25], v[70:71], v[76:77]
	ds_load_b128 v[68:71], v86 offset:8256
	v_add_f64_e32 v[4:5], v[4:5], v[16:17]
	v_add_f64_e32 v[10:11], v[24:25], v[10:11]
	s_wait_dscnt 0x0
	v_mul_f64_e32 v[16:17], v[70:71], v[74:75]
	v_mul_f64_e32 v[24:25], v[68:69], v[74:75]
	s_delay_alu instid0(VALU_DEP_2) | instskip(NEXT) | instid1(VALU_DEP_2)
	v_fma_f64 v[16:17], v[68:69], v[72:73], -v[16:17]
	v_fmac_f64_e32 v[24:25], v[70:71], v[72:73]
	s_delay_alu instid0(VALU_DEP_2) | instskip(NEXT) | instid1(VALU_DEP_2)
	v_add_f64_e32 v[16:17], v[12:13], v[16:17]
	v_add_f64_e32 v[18:19], v[24:25], v[18:19]
	v_mul_f64_e32 v[12:13], v[70:71], v[78:79]
	v_mul_f64_e32 v[24:25], v[68:69], v[78:79]
	s_delay_alu instid0(VALU_DEP_2) | instskip(NEXT) | instid1(VALU_DEP_2)
	v_fma_f64 v[12:13], v[68:69], v[76:77], -v[12:13]
	v_fmac_f64_e32 v[24:25], v[70:71], v[76:77]
	s_delay_alu instid0(VALU_DEP_2) | instskip(NEXT) | instid1(VALU_DEP_2)
	v_add_f64_e32 v[12:13], v[14:15], v[12:13]
	v_add_f64_e32 v[14:15], v[24:25], v[66:67]
	ds_load_b128 v[66:69], v86 offset:80
	ds_load_b128 v[70:73], v87 offset:2560
	s_wait_dscnt 0x0
	v_mul_f64_e32 v[74:75], v[66:67], v[72:73]
	v_mul_f64_e32 v[24:25], v[68:69], v[72:73]
	s_delay_alu instid0(VALU_DEP_2) | instskip(NEXT) | instid1(VALU_DEP_2)
	v_fmac_f64_e32 v[74:75], v[68:69], v[70:71]
	v_fma_f64 v[24:25], v[66:67], v[70:71], -v[24:25]
	s_delay_alu instid0(VALU_DEP_2) | instskip(SKIP_4) | instid1(VALU_DEP_1)
	v_add_f64_e32 v[22:23], v[74:75], v[22:23]
	ds_load_b128 v[74:77], v87 offset:2816
	v_add_f64_e32 v[20:21], v[20:21], v[24:25]
	s_wait_dscnt 0x0
	v_mul_f64_e32 v[24:25], v[68:69], v[76:77]
	v_fma_f64 v[24:25], v[66:67], v[74:75], -v[24:25]
	v_mul_f64_e32 v[66:67], v[66:67], v[76:77]
	s_delay_alu instid0(VALU_DEP_2) | instskip(NEXT) | instid1(VALU_DEP_2)
	v_add_f64_e32 v[4:5], v[4:5], v[24:25]
	v_fmac_f64_e32 v[66:67], v[68:69], v[74:75]
	s_delay_alu instid0(VALU_DEP_1) | instskip(SKIP_4) | instid1(VALU_DEP_2)
	v_add_f64_e32 v[10:11], v[66:67], v[10:11]
	ds_load_b128 v[66:69], v86 offset:8272
	s_wait_dscnt 0x0
	v_mul_f64_e32 v[24:25], v[68:69], v[72:73]
	v_mul_f64_e32 v[72:73], v[66:67], v[72:73]
	v_fma_f64 v[24:25], v[66:67], v[70:71], -v[24:25]
	s_delay_alu instid0(VALU_DEP_2) | instskip(NEXT) | instid1(VALU_DEP_2)
	v_fmac_f64_e32 v[72:73], v[68:69], v[70:71]
	v_add_f64_e32 v[16:17], v[16:17], v[24:25]
	v_mul_f64_e32 v[24:25], v[68:69], v[76:77]
	s_delay_alu instid0(VALU_DEP_3) | instskip(NEXT) | instid1(VALU_DEP_2)
	v_add_f64_e32 v[18:19], v[72:73], v[18:19]
	v_fma_f64 v[24:25], v[66:67], v[74:75], -v[24:25]
	v_mul_f64_e32 v[66:67], v[66:67], v[76:77]
	s_delay_alu instid0(VALU_DEP_2) | instskip(NEXT) | instid1(VALU_DEP_2)
	v_add_f64_e32 v[24:25], v[12:13], v[24:25]
	v_fmac_f64_e32 v[66:67], v[68:69], v[74:75]
	s_delay_alu instid0(VALU_DEP_1)
	v_add_f64_e32 v[74:75], v[66:67], v[14:15]
	ds_load_b128 v[12:15], v86 offset:96
	ds_load_b128 v[66:69], v87 offset:3072
	s_wait_dscnt 0x0
	v_mul_f64_e32 v[70:71], v[14:15], v[68:69]
	v_mul_f64_e32 v[72:73], v[12:13], v[68:69]
	s_delay_alu instid0(VALU_DEP_2) | instskip(NEXT) | instid1(VALU_DEP_2)
	v_fma_f64 v[70:71], v[12:13], v[66:67], -v[70:71]
	v_fmac_f64_e32 v[72:73], v[14:15], v[66:67]
	s_delay_alu instid0(VALU_DEP_2) | instskip(NEXT) | instid1(VALU_DEP_2)
	v_add_f64_e32 v[20:21], v[20:21], v[70:71]
	v_add_f64_e32 v[22:23], v[72:73], v[22:23]
	ds_load_b128 v[70:73], v87 offset:3328
	s_wait_dscnt 0x0
	v_mul_f64_e32 v[76:77], v[14:15], v[72:73]
	s_delay_alu instid0(VALU_DEP_1) | instskip(SKIP_1) | instid1(VALU_DEP_2)
	v_fma_f64 v[76:77], v[12:13], v[70:71], -v[76:77]
	v_mul_f64_e32 v[12:13], v[12:13], v[72:73]
	v_add_f64_e32 v[4:5], v[4:5], v[76:77]
	s_delay_alu instid0(VALU_DEP_2) | instskip(NEXT) | instid1(VALU_DEP_1)
	v_fmac_f64_e32 v[12:13], v[14:15], v[70:71]
	v_add_f64_e32 v[78:79], v[12:13], v[10:11]
	ds_load_b128 v[10:13], v86 offset:8288
	s_wait_dscnt 0x0
	v_mul_f64_e32 v[14:15], v[12:13], v[68:69]
	v_mul_f64_e32 v[68:69], v[10:11], v[68:69]
	s_delay_alu instid0(VALU_DEP_2) | instskip(NEXT) | instid1(VALU_DEP_2)
	v_fma_f64 v[14:15], v[10:11], v[66:67], -v[14:15]
	v_fmac_f64_e32 v[68:69], v[12:13], v[66:67]
	s_delay_alu instid0(VALU_DEP_2) | instskip(SKIP_1) | instid1(VALU_DEP_3)
	v_add_f64_e32 v[16:17], v[16:17], v[14:15]
	v_mul_f64_e32 v[14:15], v[12:13], v[72:73]
	v_add_f64_e32 v[18:19], v[68:69], v[18:19]
	s_delay_alu instid0(VALU_DEP_2) | instskip(SKIP_1) | instid1(VALU_DEP_1)
	v_fma_f64 v[14:15], v[10:11], v[70:71], -v[14:15]
	v_mul_f64_e32 v[10:11], v[10:11], v[72:73]
	v_fmac_f64_e32 v[10:11], v[12:13], v[70:71]
	ds_load_b128 v[66:69], v86 offset:112
	ds_load_b128 v[70:73], v87 offset:3584
	v_add_f64_e32 v[12:13], v[24:25], v[14:15]
	s_wait_dscnt 0x0
	v_mul_f64_e32 v[24:25], v[66:67], v[72:73]
	v_add_f64_e32 v[14:15], v[10:11], v[74:75]
	v_mul_f64_e32 v[10:11], v[68:69], v[72:73]
	ds_load_b128 v[74:77], v87 offset:3840
	v_fmac_f64_e32 v[24:25], v[68:69], v[70:71]
	v_fma_f64 v[10:11], v[66:67], v[70:71], -v[10:11]
	s_delay_alu instid0(VALU_DEP_2) | instskip(SKIP_2) | instid1(VALU_DEP_3)
	v_add_f64_e32 v[22:23], v[24:25], v[22:23]
	s_wait_dscnt 0x0
	v_mul_f64_e32 v[24:25], v[66:67], v[76:77]
	v_add_f64_e32 v[20:21], v[20:21], v[10:11]
	v_mul_f64_e32 v[10:11], v[68:69], v[76:77]
	s_delay_alu instid0(VALU_DEP_3) | instskip(NEXT) | instid1(VALU_DEP_2)
	v_fmac_f64_e32 v[24:25], v[68:69], v[74:75]
	v_fma_f64 v[10:11], v[66:67], v[74:75], -v[10:11]
	ds_load_b128 v[66:69], v86 offset:8304
	v_add_f64_e32 v[4:5], v[4:5], v[10:11]
	v_add_f64_e32 v[10:11], v[24:25], v[78:79]
	s_wait_dscnt 0x0
	v_mul_f64_e32 v[24:25], v[68:69], v[72:73]
	v_mul_f64_e32 v[72:73], v[66:67], v[72:73]
	s_delay_alu instid0(VALU_DEP_2) | instskip(NEXT) | instid1(VALU_DEP_2)
	v_fma_f64 v[24:25], v[66:67], v[70:71], -v[24:25]
	v_fmac_f64_e32 v[72:73], v[68:69], v[70:71]
	s_delay_alu instid0(VALU_DEP_2) | instskip(SKIP_1) | instid1(VALU_DEP_3)
	v_add_f64_e32 v[16:17], v[16:17], v[24:25]
	v_mul_f64_e32 v[24:25], v[68:69], v[76:77]
	v_add_f64_e32 v[18:19], v[72:73], v[18:19]
	s_delay_alu instid0(VALU_DEP_2) | instskip(SKIP_1) | instid1(VALU_DEP_2)
	v_fma_f64 v[24:25], v[66:67], v[74:75], -v[24:25]
	v_mul_f64_e32 v[66:67], v[66:67], v[76:77]
	v_add_f64_e32 v[24:25], v[12:13], v[24:25]
	s_delay_alu instid0(VALU_DEP_2) | instskip(NEXT) | instid1(VALU_DEP_1)
	v_fmac_f64_e32 v[66:67], v[68:69], v[74:75]
	v_add_f64_e32 v[74:75], v[66:67], v[14:15]
	ds_load_b128 v[12:15], v86 offset:128
	ds_load_b128 v[66:69], v87 offset:4096
	s_wait_dscnt 0x0
	v_mul_f64_e32 v[70:71], v[14:15], v[68:69]
	v_mul_f64_e32 v[72:73], v[12:13], v[68:69]
	s_delay_alu instid0(VALU_DEP_2) | instskip(NEXT) | instid1(VALU_DEP_2)
	v_fma_f64 v[70:71], v[12:13], v[66:67], -v[70:71]
	v_fmac_f64_e32 v[72:73], v[14:15], v[66:67]
	s_delay_alu instid0(VALU_DEP_2) | instskip(NEXT) | instid1(VALU_DEP_2)
	v_add_f64_e32 v[20:21], v[20:21], v[70:71]
	v_add_f64_e32 v[22:23], v[72:73], v[22:23]
	ds_load_b128 v[70:73], v87 offset:4352
	s_wait_dscnt 0x0
	v_mul_f64_e32 v[76:77], v[14:15], v[72:73]
	s_delay_alu instid0(VALU_DEP_1) | instskip(SKIP_1) | instid1(VALU_DEP_2)
	v_fma_f64 v[76:77], v[12:13], v[70:71], -v[76:77]
	v_mul_f64_e32 v[12:13], v[12:13], v[72:73]
	v_add_f64_e32 v[4:5], v[4:5], v[76:77]
	s_delay_alu instid0(VALU_DEP_2) | instskip(NEXT) | instid1(VALU_DEP_1)
	v_fmac_f64_e32 v[12:13], v[14:15], v[70:71]
	v_add_f64_e32 v[78:79], v[12:13], v[10:11]
	ds_load_b128 v[10:13], v86 offset:8320
	s_wait_dscnt 0x0
	v_mul_f64_e32 v[14:15], v[12:13], v[68:69]
	v_mul_f64_e32 v[68:69], v[10:11], v[68:69]
	s_delay_alu instid0(VALU_DEP_2) | instskip(NEXT) | instid1(VALU_DEP_2)
	v_fma_f64 v[14:15], v[10:11], v[66:67], -v[14:15]
	v_fmac_f64_e32 v[68:69], v[12:13], v[66:67]
	s_delay_alu instid0(VALU_DEP_2) | instskip(SKIP_1) | instid1(VALU_DEP_3)
	v_add_f64_e32 v[16:17], v[16:17], v[14:15]
	v_mul_f64_e32 v[14:15], v[12:13], v[72:73]
	v_add_f64_e32 v[18:19], v[68:69], v[18:19]
	s_delay_alu instid0(VALU_DEP_2) | instskip(SKIP_1) | instid1(VALU_DEP_1)
	v_fma_f64 v[14:15], v[10:11], v[70:71], -v[14:15]
	v_mul_f64_e32 v[10:11], v[10:11], v[72:73]
	v_fmac_f64_e32 v[10:11], v[12:13], v[70:71]
	ds_load_b128 v[66:69], v86 offset:144
	ds_load_b128 v[70:73], v87 offset:4608
	v_add_f64_e32 v[12:13], v[24:25], v[14:15]
	s_wait_dscnt 0x0
	v_mul_f64_e32 v[24:25], v[66:67], v[72:73]
	v_add_f64_e32 v[14:15], v[10:11], v[74:75]
	v_mul_f64_e32 v[10:11], v[68:69], v[72:73]
	ds_load_b128 v[74:77], v87 offset:4864
	v_fmac_f64_e32 v[24:25], v[68:69], v[70:71]
	v_fma_f64 v[10:11], v[66:67], v[70:71], -v[10:11]
	s_delay_alu instid0(VALU_DEP_2) | instskip(SKIP_2) | instid1(VALU_DEP_3)
	v_add_f64_e32 v[22:23], v[24:25], v[22:23]
	s_wait_dscnt 0x0
	v_mul_f64_e32 v[24:25], v[66:67], v[76:77]
	v_add_f64_e32 v[20:21], v[20:21], v[10:11]
	v_mul_f64_e32 v[10:11], v[68:69], v[76:77]
	s_delay_alu instid0(VALU_DEP_3) | instskip(NEXT) | instid1(VALU_DEP_2)
	v_fmac_f64_e32 v[24:25], v[68:69], v[74:75]
	v_fma_f64 v[10:11], v[66:67], v[74:75], -v[10:11]
	ds_load_b128 v[66:69], v86 offset:8336
	v_add_f64_e32 v[4:5], v[4:5], v[10:11]
	v_add_f64_e32 v[10:11], v[24:25], v[78:79]
	s_wait_dscnt 0x0
	v_mul_f64_e32 v[24:25], v[68:69], v[72:73]
	v_mul_f64_e32 v[72:73], v[66:67], v[72:73]
	s_delay_alu instid0(VALU_DEP_2) | instskip(NEXT) | instid1(VALU_DEP_2)
	v_fma_f64 v[24:25], v[66:67], v[70:71], -v[24:25]
	v_fmac_f64_e32 v[72:73], v[68:69], v[70:71]
	s_delay_alu instid0(VALU_DEP_2) | instskip(SKIP_1) | instid1(VALU_DEP_3)
	v_add_f64_e32 v[16:17], v[16:17], v[24:25]
	v_mul_f64_e32 v[24:25], v[68:69], v[76:77]
	v_add_f64_e32 v[18:19], v[72:73], v[18:19]
	s_delay_alu instid0(VALU_DEP_2) | instskip(SKIP_1) | instid1(VALU_DEP_2)
	v_fma_f64 v[24:25], v[66:67], v[74:75], -v[24:25]
	v_mul_f64_e32 v[66:67], v[66:67], v[76:77]
	v_add_f64_e32 v[24:25], v[12:13], v[24:25]
	s_delay_alu instid0(VALU_DEP_2) | instskip(NEXT) | instid1(VALU_DEP_1)
	v_fmac_f64_e32 v[66:67], v[68:69], v[74:75]
	v_add_f64_e32 v[74:75], v[66:67], v[14:15]
	ds_load_b128 v[12:15], v86 offset:160
	ds_load_b128 v[66:69], v87 offset:5120
	s_wait_dscnt 0x0
	v_mul_f64_e32 v[70:71], v[14:15], v[68:69]
	v_mul_f64_e32 v[72:73], v[12:13], v[68:69]
	s_delay_alu instid0(VALU_DEP_2) | instskip(NEXT) | instid1(VALU_DEP_2)
	v_fma_f64 v[70:71], v[12:13], v[66:67], -v[70:71]
	v_fmac_f64_e32 v[72:73], v[14:15], v[66:67]
	s_delay_alu instid0(VALU_DEP_2) | instskip(NEXT) | instid1(VALU_DEP_2)
	v_add_f64_e32 v[20:21], v[20:21], v[70:71]
	v_add_f64_e32 v[22:23], v[72:73], v[22:23]
	ds_load_b128 v[70:73], v87 offset:5376
	s_wait_dscnt 0x0
	v_mul_f64_e32 v[76:77], v[14:15], v[72:73]
	s_delay_alu instid0(VALU_DEP_1) | instskip(SKIP_1) | instid1(VALU_DEP_2)
	v_fma_f64 v[76:77], v[12:13], v[70:71], -v[76:77]
	v_mul_f64_e32 v[12:13], v[12:13], v[72:73]
	v_add_f64_e32 v[4:5], v[4:5], v[76:77]
	s_delay_alu instid0(VALU_DEP_2) | instskip(NEXT) | instid1(VALU_DEP_1)
	v_fmac_f64_e32 v[12:13], v[14:15], v[70:71]
	v_add_f64_e32 v[78:79], v[12:13], v[10:11]
	ds_load_b128 v[10:13], v86 offset:8352
	s_wait_dscnt 0x0
	v_mul_f64_e32 v[14:15], v[12:13], v[68:69]
	v_mul_f64_e32 v[68:69], v[10:11], v[68:69]
	s_delay_alu instid0(VALU_DEP_2) | instskip(NEXT) | instid1(VALU_DEP_2)
	v_fma_f64 v[14:15], v[10:11], v[66:67], -v[14:15]
	v_fmac_f64_e32 v[68:69], v[12:13], v[66:67]
	s_delay_alu instid0(VALU_DEP_2) | instskip(SKIP_1) | instid1(VALU_DEP_3)
	v_add_f64_e32 v[16:17], v[16:17], v[14:15]
	v_mul_f64_e32 v[14:15], v[12:13], v[72:73]
	v_add_f64_e32 v[18:19], v[68:69], v[18:19]
	s_delay_alu instid0(VALU_DEP_2) | instskip(SKIP_1) | instid1(VALU_DEP_1)
	v_fma_f64 v[14:15], v[10:11], v[70:71], -v[14:15]
	v_mul_f64_e32 v[10:11], v[10:11], v[72:73]
	v_fmac_f64_e32 v[10:11], v[12:13], v[70:71]
	ds_load_b128 v[66:69], v86 offset:176
	ds_load_b128 v[70:73], v87 offset:5632
	v_add_f64_e32 v[12:13], v[24:25], v[14:15]
	s_wait_dscnt 0x0
	v_mul_f64_e32 v[24:25], v[66:67], v[72:73]
	v_add_f64_e32 v[14:15], v[10:11], v[74:75]
	v_mul_f64_e32 v[10:11], v[68:69], v[72:73]
	ds_load_b128 v[74:77], v87 offset:5888
	v_fmac_f64_e32 v[24:25], v[68:69], v[70:71]
	v_fma_f64 v[10:11], v[66:67], v[70:71], -v[10:11]
	s_delay_alu instid0(VALU_DEP_2) | instskip(SKIP_2) | instid1(VALU_DEP_3)
	v_add_f64_e32 v[22:23], v[24:25], v[22:23]
	s_wait_dscnt 0x0
	v_mul_f64_e32 v[24:25], v[66:67], v[76:77]
	v_add_f64_e32 v[20:21], v[20:21], v[10:11]
	v_mul_f64_e32 v[10:11], v[68:69], v[76:77]
	s_delay_alu instid0(VALU_DEP_3) | instskip(NEXT) | instid1(VALU_DEP_2)
	v_fmac_f64_e32 v[24:25], v[68:69], v[74:75]
	v_fma_f64 v[10:11], v[66:67], v[74:75], -v[10:11]
	ds_load_b128 v[66:69], v86 offset:8368
	v_add_f64_e32 v[4:5], v[4:5], v[10:11]
	v_add_f64_e32 v[10:11], v[24:25], v[78:79]
	s_wait_dscnt 0x0
	v_mul_f64_e32 v[24:25], v[68:69], v[72:73]
	v_mul_f64_e32 v[72:73], v[66:67], v[72:73]
	s_delay_alu instid0(VALU_DEP_2) | instskip(NEXT) | instid1(VALU_DEP_2)
	v_fma_f64 v[24:25], v[66:67], v[70:71], -v[24:25]
	v_fmac_f64_e32 v[72:73], v[68:69], v[70:71]
	s_delay_alu instid0(VALU_DEP_2) | instskip(SKIP_1) | instid1(VALU_DEP_3)
	v_add_f64_e32 v[16:17], v[16:17], v[24:25]
	v_mul_f64_e32 v[24:25], v[68:69], v[76:77]
	v_add_f64_e32 v[18:19], v[72:73], v[18:19]
	s_delay_alu instid0(VALU_DEP_2) | instskip(SKIP_1) | instid1(VALU_DEP_2)
	v_fma_f64 v[24:25], v[66:67], v[74:75], -v[24:25]
	v_mul_f64_e32 v[66:67], v[66:67], v[76:77]
	v_add_f64_e32 v[24:25], v[12:13], v[24:25]
	s_delay_alu instid0(VALU_DEP_2) | instskip(NEXT) | instid1(VALU_DEP_1)
	v_fmac_f64_e32 v[66:67], v[68:69], v[74:75]
	v_add_f64_e32 v[74:75], v[66:67], v[14:15]
	ds_load_b128 v[12:15], v86 offset:192
	ds_load_b128 v[66:69], v87 offset:6144
	s_wait_dscnt 0x0
	v_mul_f64_e32 v[70:71], v[14:15], v[68:69]
	v_mul_f64_e32 v[72:73], v[12:13], v[68:69]
	s_delay_alu instid0(VALU_DEP_2) | instskip(NEXT) | instid1(VALU_DEP_2)
	v_fma_f64 v[70:71], v[12:13], v[66:67], -v[70:71]
	v_fmac_f64_e32 v[72:73], v[14:15], v[66:67]
	s_delay_alu instid0(VALU_DEP_2) | instskip(NEXT) | instid1(VALU_DEP_2)
	v_add_f64_e32 v[20:21], v[20:21], v[70:71]
	v_add_f64_e32 v[22:23], v[72:73], v[22:23]
	ds_load_b128 v[70:73], v87 offset:6400
	s_wait_dscnt 0x0
	v_mul_f64_e32 v[76:77], v[14:15], v[72:73]
	s_delay_alu instid0(VALU_DEP_1) | instskip(SKIP_1) | instid1(VALU_DEP_2)
	v_fma_f64 v[76:77], v[12:13], v[70:71], -v[76:77]
	v_mul_f64_e32 v[12:13], v[12:13], v[72:73]
	v_add_f64_e32 v[4:5], v[4:5], v[76:77]
	s_delay_alu instid0(VALU_DEP_2) | instskip(NEXT) | instid1(VALU_DEP_1)
	v_fmac_f64_e32 v[12:13], v[14:15], v[70:71]
	v_add_f64_e32 v[78:79], v[12:13], v[10:11]
	ds_load_b128 v[10:13], v86 offset:8384
	s_wait_dscnt 0x0
	v_mul_f64_e32 v[14:15], v[12:13], v[68:69]
	v_mul_f64_e32 v[68:69], v[10:11], v[68:69]
	s_delay_alu instid0(VALU_DEP_2) | instskip(NEXT) | instid1(VALU_DEP_2)
	v_fma_f64 v[14:15], v[10:11], v[66:67], -v[14:15]
	v_fmac_f64_e32 v[68:69], v[12:13], v[66:67]
	s_delay_alu instid0(VALU_DEP_2) | instskip(SKIP_1) | instid1(VALU_DEP_3)
	v_add_f64_e32 v[16:17], v[16:17], v[14:15]
	v_mul_f64_e32 v[14:15], v[12:13], v[72:73]
	v_add_f64_e32 v[18:19], v[68:69], v[18:19]
	s_delay_alu instid0(VALU_DEP_2) | instskip(SKIP_1) | instid1(VALU_DEP_1)
	v_fma_f64 v[14:15], v[10:11], v[70:71], -v[14:15]
	v_mul_f64_e32 v[10:11], v[10:11], v[72:73]
	v_fmac_f64_e32 v[10:11], v[12:13], v[70:71]
	ds_load_b128 v[66:69], v86 offset:208
	ds_load_b128 v[70:73], v87 offset:6656
	v_add_f64_e32 v[12:13], v[24:25], v[14:15]
	s_wait_dscnt 0x0
	v_mul_f64_e32 v[24:25], v[66:67], v[72:73]
	v_add_f64_e32 v[14:15], v[10:11], v[74:75]
	v_mul_f64_e32 v[10:11], v[68:69], v[72:73]
	ds_load_b128 v[74:77], v87 offset:6912
	v_fmac_f64_e32 v[24:25], v[68:69], v[70:71]
	v_fma_f64 v[10:11], v[66:67], v[70:71], -v[10:11]
	s_delay_alu instid0(VALU_DEP_2) | instskip(SKIP_2) | instid1(VALU_DEP_3)
	v_add_f64_e32 v[22:23], v[24:25], v[22:23]
	s_wait_dscnt 0x0
	v_mul_f64_e32 v[24:25], v[66:67], v[76:77]
	v_add_f64_e32 v[20:21], v[20:21], v[10:11]
	v_mul_f64_e32 v[10:11], v[68:69], v[76:77]
	s_delay_alu instid0(VALU_DEP_3) | instskip(NEXT) | instid1(VALU_DEP_2)
	v_fmac_f64_e32 v[24:25], v[68:69], v[74:75]
	v_fma_f64 v[10:11], v[66:67], v[74:75], -v[10:11]
	ds_load_b128 v[66:69], v86 offset:8400
	v_add_f64_e32 v[4:5], v[4:5], v[10:11]
	v_add_f64_e32 v[10:11], v[24:25], v[78:79]
	s_wait_dscnt 0x0
	v_mul_f64_e32 v[24:25], v[68:69], v[72:73]
	v_mul_f64_e32 v[72:73], v[66:67], v[72:73]
	s_delay_alu instid0(VALU_DEP_2) | instskip(NEXT) | instid1(VALU_DEP_2)
	v_fma_f64 v[24:25], v[66:67], v[70:71], -v[24:25]
	v_fmac_f64_e32 v[72:73], v[68:69], v[70:71]
	s_delay_alu instid0(VALU_DEP_2) | instskip(SKIP_1) | instid1(VALU_DEP_3)
	v_add_f64_e32 v[16:17], v[16:17], v[24:25]
	v_mul_f64_e32 v[24:25], v[68:69], v[76:77]
	v_add_f64_e32 v[18:19], v[72:73], v[18:19]
	s_delay_alu instid0(VALU_DEP_2) | instskip(SKIP_1) | instid1(VALU_DEP_2)
	v_fma_f64 v[24:25], v[66:67], v[74:75], -v[24:25]
	v_mul_f64_e32 v[66:67], v[66:67], v[76:77]
	v_add_f64_e32 v[24:25], v[12:13], v[24:25]
	s_delay_alu instid0(VALU_DEP_2) | instskip(NEXT) | instid1(VALU_DEP_1)
	v_fmac_f64_e32 v[66:67], v[68:69], v[74:75]
	v_add_f64_e32 v[74:75], v[66:67], v[14:15]
	ds_load_b128 v[12:15], v86 offset:224
	ds_load_b128 v[66:69], v87 offset:7168
	s_wait_dscnt 0x0
	v_mul_f64_e32 v[70:71], v[14:15], v[68:69]
	v_mul_f64_e32 v[72:73], v[12:13], v[68:69]
	s_delay_alu instid0(VALU_DEP_2) | instskip(NEXT) | instid1(VALU_DEP_2)
	v_fma_f64 v[70:71], v[12:13], v[66:67], -v[70:71]
	v_fmac_f64_e32 v[72:73], v[14:15], v[66:67]
	s_delay_alu instid0(VALU_DEP_2) | instskip(NEXT) | instid1(VALU_DEP_2)
	v_add_f64_e32 v[20:21], v[20:21], v[70:71]
	v_add_f64_e32 v[22:23], v[72:73], v[22:23]
	ds_load_b128 v[70:73], v87 offset:7424
	s_wait_dscnt 0x0
	v_mul_f64_e32 v[76:77], v[14:15], v[72:73]
	s_delay_alu instid0(VALU_DEP_1) | instskip(SKIP_1) | instid1(VALU_DEP_2)
	v_fma_f64 v[76:77], v[12:13], v[70:71], -v[76:77]
	v_mul_f64_e32 v[12:13], v[12:13], v[72:73]
	v_add_f64_e32 v[4:5], v[4:5], v[76:77]
	s_delay_alu instid0(VALU_DEP_2) | instskip(NEXT) | instid1(VALU_DEP_1)
	v_fmac_f64_e32 v[12:13], v[14:15], v[70:71]
	v_add_f64_e32 v[78:79], v[12:13], v[10:11]
	ds_load_b128 v[10:13], v86 offset:8416
	s_wait_dscnt 0x0
	v_mul_f64_e32 v[14:15], v[12:13], v[68:69]
	v_mul_f64_e32 v[68:69], v[10:11], v[68:69]
	s_delay_alu instid0(VALU_DEP_2) | instskip(NEXT) | instid1(VALU_DEP_2)
	v_fma_f64 v[14:15], v[10:11], v[66:67], -v[14:15]
	v_fmac_f64_e32 v[68:69], v[12:13], v[66:67]
	s_delay_alu instid0(VALU_DEP_2) | instskip(SKIP_1) | instid1(VALU_DEP_3)
	v_add_f64_e32 v[16:17], v[16:17], v[14:15]
	v_mul_f64_e32 v[14:15], v[12:13], v[72:73]
	v_add_f64_e32 v[18:19], v[68:69], v[18:19]
	s_delay_alu instid0(VALU_DEP_2) | instskip(SKIP_1) | instid1(VALU_DEP_1)
	v_fma_f64 v[14:15], v[10:11], v[70:71], -v[14:15]
	v_mul_f64_e32 v[10:11], v[10:11], v[72:73]
	v_fmac_f64_e32 v[10:11], v[12:13], v[70:71]
	ds_load_b128 v[66:69], v86 offset:240
	ds_load_b128 v[70:73], v87 offset:7680
	v_add_f64_e32 v[12:13], v[24:25], v[14:15]
	s_wait_dscnt 0x0
	v_mul_f64_e32 v[24:25], v[66:67], v[72:73]
	v_add_f64_e32 v[14:15], v[10:11], v[74:75]
	v_mul_f64_e32 v[10:11], v[68:69], v[72:73]
	ds_load_b128 v[74:77], v87 offset:7936
	v_fmac_f64_e32 v[24:25], v[68:69], v[70:71]
	v_fma_f64 v[10:11], v[66:67], v[70:71], -v[10:11]
	s_delay_alu instid0(VALU_DEP_2) | instskip(SKIP_2) | instid1(VALU_DEP_3)
	v_add_f64_e32 v[22:23], v[24:25], v[22:23]
	s_wait_dscnt 0x0
	v_mul_f64_e32 v[24:25], v[66:67], v[76:77]
	v_add_f64_e32 v[20:21], v[20:21], v[10:11]
	v_mul_f64_e32 v[10:11], v[68:69], v[76:77]
	s_delay_alu instid0(VALU_DEP_3) | instskip(NEXT) | instid1(VALU_DEP_2)
	v_fmac_f64_e32 v[24:25], v[68:69], v[74:75]
	v_fma_f64 v[10:11], v[66:67], v[74:75], -v[10:11]
	ds_load_b128 v[66:69], v86 offset:8432
	v_add_f64_e32 v[4:5], v[4:5], v[10:11]
	v_add_f64_e32 v[10:11], v[24:25], v[78:79]
	s_wait_dscnt 0x0
	v_mul_f64_e32 v[24:25], v[68:69], v[72:73]
	v_mul_f64_e32 v[72:73], v[66:67], v[72:73]
	s_delay_alu instid0(VALU_DEP_2) | instskip(NEXT) | instid1(VALU_DEP_2)
	v_fma_f64 v[24:25], v[66:67], v[70:71], -v[24:25]
	v_fmac_f64_e32 v[72:73], v[68:69], v[70:71]
	s_delay_alu instid0(VALU_DEP_2) | instskip(SKIP_1) | instid1(VALU_DEP_3)
	v_add_f64_e32 v[16:17], v[16:17], v[24:25]
	v_mul_f64_e32 v[24:25], v[68:69], v[76:77]
	v_add_f64_e32 v[18:19], v[72:73], v[18:19]
	s_delay_alu instid0(VALU_DEP_2) | instskip(SKIP_1) | instid1(VALU_DEP_2)
	v_fma_f64 v[24:25], v[66:67], v[74:75], -v[24:25]
	v_mul_f64_e32 v[66:67], v[66:67], v[76:77]
	v_add_f64_e32 v[24:25], v[12:13], v[24:25]
	s_delay_alu instid0(VALU_DEP_2) | instskip(NEXT) | instid1(VALU_DEP_1)
	v_fmac_f64_e32 v[66:67], v[68:69], v[74:75]
	v_add_f64_e32 v[74:75], v[66:67], v[14:15]
	ds_load_b128 v[12:15], v86 offset:256
	ds_load_b128 v[66:69], v87 offset:8192
	s_wait_dscnt 0x0
	v_mul_f64_e32 v[70:71], v[14:15], v[68:69]
	v_mul_f64_e32 v[72:73], v[12:13], v[68:69]
	s_delay_alu instid0(VALU_DEP_2) | instskip(NEXT) | instid1(VALU_DEP_2)
	v_fma_f64 v[70:71], v[12:13], v[66:67], -v[70:71]
	v_fmac_f64_e32 v[72:73], v[14:15], v[66:67]
	s_delay_alu instid0(VALU_DEP_2) | instskip(NEXT) | instid1(VALU_DEP_2)
	v_add_f64_e32 v[20:21], v[20:21], v[70:71]
	v_add_f64_e32 v[22:23], v[72:73], v[22:23]
	ds_load_b128 v[70:73], v87 offset:8448
	s_wait_dscnt 0x0
	v_mul_f64_e32 v[76:77], v[14:15], v[72:73]
	s_delay_alu instid0(VALU_DEP_1) | instskip(SKIP_1) | instid1(VALU_DEP_2)
	v_fma_f64 v[76:77], v[12:13], v[70:71], -v[76:77]
	v_mul_f64_e32 v[12:13], v[12:13], v[72:73]
	v_add_f64_e32 v[4:5], v[4:5], v[76:77]
	s_delay_alu instid0(VALU_DEP_2) | instskip(NEXT) | instid1(VALU_DEP_1)
	v_fmac_f64_e32 v[12:13], v[14:15], v[70:71]
	v_add_f64_e32 v[78:79], v[12:13], v[10:11]
	ds_load_b128 v[10:13], v86 offset:8448
	s_wait_dscnt 0x0
	v_mul_f64_e32 v[14:15], v[12:13], v[68:69]
	v_mul_f64_e32 v[68:69], v[10:11], v[68:69]
	s_delay_alu instid0(VALU_DEP_2) | instskip(NEXT) | instid1(VALU_DEP_2)
	v_fma_f64 v[14:15], v[10:11], v[66:67], -v[14:15]
	v_fmac_f64_e32 v[68:69], v[12:13], v[66:67]
	s_delay_alu instid0(VALU_DEP_2) | instskip(SKIP_1) | instid1(VALU_DEP_3)
	v_add_f64_e32 v[16:17], v[16:17], v[14:15]
	v_mul_f64_e32 v[14:15], v[12:13], v[72:73]
	v_add_f64_e32 v[18:19], v[68:69], v[18:19]
	s_delay_alu instid0(VALU_DEP_2) | instskip(SKIP_1) | instid1(VALU_DEP_1)
	v_fma_f64 v[14:15], v[10:11], v[70:71], -v[14:15]
	v_mul_f64_e32 v[10:11], v[10:11], v[72:73]
	v_fmac_f64_e32 v[10:11], v[12:13], v[70:71]
	ds_load_b128 v[66:69], v86 offset:272
	ds_load_b128 v[70:73], v87 offset:8704
	v_add_f64_e32 v[12:13], v[24:25], v[14:15]
	s_wait_dscnt 0x0
	v_mul_f64_e32 v[24:25], v[66:67], v[72:73]
	v_add_f64_e32 v[14:15], v[10:11], v[74:75]
	v_mul_f64_e32 v[10:11], v[68:69], v[72:73]
	ds_load_b128 v[74:77], v87 offset:8960
	v_fmac_f64_e32 v[24:25], v[68:69], v[70:71]
	v_fma_f64 v[10:11], v[66:67], v[70:71], -v[10:11]
	s_delay_alu instid0(VALU_DEP_2) | instskip(SKIP_2) | instid1(VALU_DEP_3)
	v_add_f64_e32 v[22:23], v[24:25], v[22:23]
	s_wait_dscnt 0x0
	v_mul_f64_e32 v[24:25], v[66:67], v[76:77]
	v_add_f64_e32 v[20:21], v[20:21], v[10:11]
	v_mul_f64_e32 v[10:11], v[68:69], v[76:77]
	s_delay_alu instid0(VALU_DEP_3) | instskip(NEXT) | instid1(VALU_DEP_2)
	v_fmac_f64_e32 v[24:25], v[68:69], v[74:75]
	v_fma_f64 v[10:11], v[66:67], v[74:75], -v[10:11]
	ds_load_b128 v[66:69], v86 offset:8464
	v_add_f64_e32 v[4:5], v[4:5], v[10:11]
	v_add_f64_e32 v[10:11], v[24:25], v[78:79]
	s_wait_dscnt 0x0
	v_mul_f64_e32 v[24:25], v[68:69], v[72:73]
	v_mul_f64_e32 v[72:73], v[66:67], v[72:73]
	s_delay_alu instid0(VALU_DEP_2) | instskip(NEXT) | instid1(VALU_DEP_2)
	v_fma_f64 v[24:25], v[66:67], v[70:71], -v[24:25]
	v_fmac_f64_e32 v[72:73], v[68:69], v[70:71]
	s_delay_alu instid0(VALU_DEP_2) | instskip(SKIP_1) | instid1(VALU_DEP_3)
	v_add_f64_e32 v[16:17], v[16:17], v[24:25]
	v_mul_f64_e32 v[24:25], v[68:69], v[76:77]
	v_add_f64_e32 v[18:19], v[72:73], v[18:19]
	s_delay_alu instid0(VALU_DEP_2) | instskip(SKIP_1) | instid1(VALU_DEP_2)
	v_fma_f64 v[24:25], v[66:67], v[74:75], -v[24:25]
	v_mul_f64_e32 v[66:67], v[66:67], v[76:77]
	v_add_f64_e32 v[24:25], v[12:13], v[24:25]
	s_delay_alu instid0(VALU_DEP_2) | instskip(NEXT) | instid1(VALU_DEP_1)
	v_fmac_f64_e32 v[66:67], v[68:69], v[74:75]
	v_add_f64_e32 v[74:75], v[66:67], v[14:15]
	ds_load_b128 v[12:15], v86 offset:288
	ds_load_b128 v[66:69], v87 offset:9216
	s_wait_dscnt 0x0
	v_mul_f64_e32 v[70:71], v[14:15], v[68:69]
	v_mul_f64_e32 v[72:73], v[12:13], v[68:69]
	s_delay_alu instid0(VALU_DEP_2) | instskip(NEXT) | instid1(VALU_DEP_2)
	v_fma_f64 v[70:71], v[12:13], v[66:67], -v[70:71]
	v_fmac_f64_e32 v[72:73], v[14:15], v[66:67]
	s_delay_alu instid0(VALU_DEP_2) | instskip(NEXT) | instid1(VALU_DEP_2)
	v_add_f64_e32 v[20:21], v[20:21], v[70:71]
	v_add_f64_e32 v[22:23], v[72:73], v[22:23]
	ds_load_b128 v[70:73], v87 offset:9472
	s_wait_dscnt 0x0
	v_mul_f64_e32 v[76:77], v[14:15], v[72:73]
	s_delay_alu instid0(VALU_DEP_1) | instskip(SKIP_1) | instid1(VALU_DEP_2)
	v_fma_f64 v[76:77], v[12:13], v[70:71], -v[76:77]
	v_mul_f64_e32 v[12:13], v[12:13], v[72:73]
	v_add_f64_e32 v[4:5], v[4:5], v[76:77]
	s_delay_alu instid0(VALU_DEP_2) | instskip(NEXT) | instid1(VALU_DEP_1)
	v_fmac_f64_e32 v[12:13], v[14:15], v[70:71]
	v_add_f64_e32 v[78:79], v[12:13], v[10:11]
	ds_load_b128 v[10:13], v86 offset:8480
	s_wait_dscnt 0x0
	v_mul_f64_e32 v[14:15], v[12:13], v[68:69]
	v_mul_f64_e32 v[68:69], v[10:11], v[68:69]
	s_delay_alu instid0(VALU_DEP_2) | instskip(NEXT) | instid1(VALU_DEP_2)
	v_fma_f64 v[14:15], v[10:11], v[66:67], -v[14:15]
	v_fmac_f64_e32 v[68:69], v[12:13], v[66:67]
	s_delay_alu instid0(VALU_DEP_2) | instskip(SKIP_1) | instid1(VALU_DEP_3)
	v_add_f64_e32 v[16:17], v[16:17], v[14:15]
	v_mul_f64_e32 v[14:15], v[12:13], v[72:73]
	v_add_f64_e32 v[18:19], v[68:69], v[18:19]
	s_delay_alu instid0(VALU_DEP_2) | instskip(SKIP_1) | instid1(VALU_DEP_1)
	v_fma_f64 v[14:15], v[10:11], v[70:71], -v[14:15]
	v_mul_f64_e32 v[10:11], v[10:11], v[72:73]
	v_fmac_f64_e32 v[10:11], v[12:13], v[70:71]
	ds_load_b128 v[66:69], v86 offset:304
	ds_load_b128 v[70:73], v87 offset:9728
	v_add_f64_e32 v[12:13], v[24:25], v[14:15]
	s_wait_dscnt 0x0
	v_mul_f64_e32 v[24:25], v[66:67], v[72:73]
	v_add_f64_e32 v[14:15], v[10:11], v[74:75]
	v_mul_f64_e32 v[10:11], v[68:69], v[72:73]
	ds_load_b128 v[74:77], v87 offset:9984
	v_fmac_f64_e32 v[24:25], v[68:69], v[70:71]
	v_fma_f64 v[10:11], v[66:67], v[70:71], -v[10:11]
	s_delay_alu instid0(VALU_DEP_2) | instskip(SKIP_2) | instid1(VALU_DEP_3)
	v_add_f64_e32 v[22:23], v[24:25], v[22:23]
	s_wait_dscnt 0x0
	v_mul_f64_e32 v[24:25], v[66:67], v[76:77]
	v_add_f64_e32 v[20:21], v[20:21], v[10:11]
	v_mul_f64_e32 v[10:11], v[68:69], v[76:77]
	s_delay_alu instid0(VALU_DEP_3) | instskip(NEXT) | instid1(VALU_DEP_2)
	v_fmac_f64_e32 v[24:25], v[68:69], v[74:75]
	v_fma_f64 v[10:11], v[66:67], v[74:75], -v[10:11]
	ds_load_b128 v[66:69], v86 offset:8496
	v_add_f64_e32 v[4:5], v[4:5], v[10:11]
	v_add_f64_e32 v[10:11], v[24:25], v[78:79]
	s_wait_dscnt 0x0
	v_mul_f64_e32 v[24:25], v[68:69], v[72:73]
	v_mul_f64_e32 v[72:73], v[66:67], v[72:73]
	s_delay_alu instid0(VALU_DEP_2) | instskip(NEXT) | instid1(VALU_DEP_2)
	v_fma_f64 v[24:25], v[66:67], v[70:71], -v[24:25]
	v_fmac_f64_e32 v[72:73], v[68:69], v[70:71]
	s_delay_alu instid0(VALU_DEP_2) | instskip(SKIP_1) | instid1(VALU_DEP_3)
	v_add_f64_e32 v[16:17], v[16:17], v[24:25]
	v_mul_f64_e32 v[24:25], v[68:69], v[76:77]
	v_add_f64_e32 v[18:19], v[72:73], v[18:19]
	s_delay_alu instid0(VALU_DEP_2) | instskip(SKIP_1) | instid1(VALU_DEP_2)
	v_fma_f64 v[24:25], v[66:67], v[74:75], -v[24:25]
	v_mul_f64_e32 v[66:67], v[66:67], v[76:77]
	v_add_f64_e32 v[24:25], v[12:13], v[24:25]
	s_delay_alu instid0(VALU_DEP_2) | instskip(NEXT) | instid1(VALU_DEP_1)
	v_fmac_f64_e32 v[66:67], v[68:69], v[74:75]
	v_add_f64_e32 v[74:75], v[66:67], v[14:15]
	ds_load_b128 v[12:15], v86 offset:320
	ds_load_b128 v[66:69], v87 offset:10240
	s_wait_dscnt 0x0
	v_mul_f64_e32 v[70:71], v[14:15], v[68:69]
	v_mul_f64_e32 v[72:73], v[12:13], v[68:69]
	s_delay_alu instid0(VALU_DEP_2) | instskip(NEXT) | instid1(VALU_DEP_2)
	v_fma_f64 v[70:71], v[12:13], v[66:67], -v[70:71]
	v_fmac_f64_e32 v[72:73], v[14:15], v[66:67]
	s_delay_alu instid0(VALU_DEP_2) | instskip(NEXT) | instid1(VALU_DEP_2)
	v_add_f64_e32 v[20:21], v[20:21], v[70:71]
	v_add_f64_e32 v[22:23], v[72:73], v[22:23]
	ds_load_b128 v[70:73], v87 offset:10496
	s_wait_dscnt 0x0
	v_mul_f64_e32 v[76:77], v[14:15], v[72:73]
	s_delay_alu instid0(VALU_DEP_1) | instskip(SKIP_1) | instid1(VALU_DEP_2)
	v_fma_f64 v[76:77], v[12:13], v[70:71], -v[76:77]
	v_mul_f64_e32 v[12:13], v[12:13], v[72:73]
	v_add_f64_e32 v[4:5], v[4:5], v[76:77]
	s_delay_alu instid0(VALU_DEP_2) | instskip(NEXT) | instid1(VALU_DEP_1)
	v_fmac_f64_e32 v[12:13], v[14:15], v[70:71]
	v_add_f64_e32 v[78:79], v[12:13], v[10:11]
	ds_load_b128 v[10:13], v86 offset:8512
	s_wait_dscnt 0x0
	v_mul_f64_e32 v[14:15], v[12:13], v[68:69]
	v_mul_f64_e32 v[68:69], v[10:11], v[68:69]
	s_delay_alu instid0(VALU_DEP_2) | instskip(NEXT) | instid1(VALU_DEP_2)
	v_fma_f64 v[14:15], v[10:11], v[66:67], -v[14:15]
	v_fmac_f64_e32 v[68:69], v[12:13], v[66:67]
	s_delay_alu instid0(VALU_DEP_2) | instskip(SKIP_1) | instid1(VALU_DEP_3)
	v_add_f64_e32 v[16:17], v[16:17], v[14:15]
	v_mul_f64_e32 v[14:15], v[12:13], v[72:73]
	v_add_f64_e32 v[18:19], v[68:69], v[18:19]
	s_delay_alu instid0(VALU_DEP_2) | instskip(SKIP_1) | instid1(VALU_DEP_1)
	v_fma_f64 v[14:15], v[10:11], v[70:71], -v[14:15]
	v_mul_f64_e32 v[10:11], v[10:11], v[72:73]
	v_fmac_f64_e32 v[10:11], v[12:13], v[70:71]
	ds_load_b128 v[66:69], v86 offset:336
	ds_load_b128 v[70:73], v87 offset:10752
	v_add_f64_e32 v[12:13], v[24:25], v[14:15]
	s_wait_dscnt 0x0
	v_mul_f64_e32 v[24:25], v[66:67], v[72:73]
	v_add_f64_e32 v[14:15], v[10:11], v[74:75]
	v_mul_f64_e32 v[10:11], v[68:69], v[72:73]
	ds_load_b128 v[74:77], v87 offset:11008
	v_fmac_f64_e32 v[24:25], v[68:69], v[70:71]
	v_fma_f64 v[10:11], v[66:67], v[70:71], -v[10:11]
	s_delay_alu instid0(VALU_DEP_2) | instskip(SKIP_2) | instid1(VALU_DEP_3)
	v_add_f64_e32 v[22:23], v[24:25], v[22:23]
	s_wait_dscnt 0x0
	v_mul_f64_e32 v[24:25], v[66:67], v[76:77]
	v_add_f64_e32 v[20:21], v[20:21], v[10:11]
	v_mul_f64_e32 v[10:11], v[68:69], v[76:77]
	s_delay_alu instid0(VALU_DEP_3) | instskip(NEXT) | instid1(VALU_DEP_2)
	v_fmac_f64_e32 v[24:25], v[68:69], v[74:75]
	v_fma_f64 v[10:11], v[66:67], v[74:75], -v[10:11]
	ds_load_b128 v[66:69], v86 offset:8528
	v_add_f64_e32 v[4:5], v[4:5], v[10:11]
	v_add_f64_e32 v[10:11], v[24:25], v[78:79]
	s_wait_dscnt 0x0
	v_mul_f64_e32 v[24:25], v[68:69], v[72:73]
	v_mul_f64_e32 v[72:73], v[66:67], v[72:73]
	s_delay_alu instid0(VALU_DEP_2) | instskip(NEXT) | instid1(VALU_DEP_2)
	v_fma_f64 v[24:25], v[66:67], v[70:71], -v[24:25]
	v_fmac_f64_e32 v[72:73], v[68:69], v[70:71]
	s_delay_alu instid0(VALU_DEP_2) | instskip(SKIP_1) | instid1(VALU_DEP_3)
	v_add_f64_e32 v[16:17], v[16:17], v[24:25]
	v_mul_f64_e32 v[24:25], v[68:69], v[76:77]
	v_add_f64_e32 v[18:19], v[72:73], v[18:19]
	s_delay_alu instid0(VALU_DEP_2) | instskip(SKIP_1) | instid1(VALU_DEP_2)
	v_fma_f64 v[24:25], v[66:67], v[74:75], -v[24:25]
	v_mul_f64_e32 v[66:67], v[66:67], v[76:77]
	v_add_f64_e32 v[24:25], v[12:13], v[24:25]
	s_delay_alu instid0(VALU_DEP_2) | instskip(NEXT) | instid1(VALU_DEP_1)
	v_fmac_f64_e32 v[66:67], v[68:69], v[74:75]
	v_add_f64_e32 v[74:75], v[66:67], v[14:15]
	ds_load_b128 v[12:15], v86 offset:352
	ds_load_b128 v[66:69], v87 offset:11264
	s_wait_dscnt 0x0
	v_mul_f64_e32 v[70:71], v[14:15], v[68:69]
	v_mul_f64_e32 v[72:73], v[12:13], v[68:69]
	s_delay_alu instid0(VALU_DEP_2) | instskip(NEXT) | instid1(VALU_DEP_2)
	v_fma_f64 v[70:71], v[12:13], v[66:67], -v[70:71]
	v_fmac_f64_e32 v[72:73], v[14:15], v[66:67]
	s_delay_alu instid0(VALU_DEP_2) | instskip(NEXT) | instid1(VALU_DEP_2)
	v_add_f64_e32 v[20:21], v[20:21], v[70:71]
	v_add_f64_e32 v[22:23], v[72:73], v[22:23]
	ds_load_b128 v[70:73], v87 offset:11520
	s_wait_dscnt 0x0
	v_mul_f64_e32 v[76:77], v[14:15], v[72:73]
	s_delay_alu instid0(VALU_DEP_1) | instskip(SKIP_1) | instid1(VALU_DEP_2)
	v_fma_f64 v[76:77], v[12:13], v[70:71], -v[76:77]
	v_mul_f64_e32 v[12:13], v[12:13], v[72:73]
	v_add_f64_e32 v[4:5], v[4:5], v[76:77]
	s_delay_alu instid0(VALU_DEP_2) | instskip(NEXT) | instid1(VALU_DEP_1)
	v_fmac_f64_e32 v[12:13], v[14:15], v[70:71]
	v_add_f64_e32 v[78:79], v[12:13], v[10:11]
	ds_load_b128 v[10:13], v86 offset:8544
	s_wait_dscnt 0x0
	v_mul_f64_e32 v[14:15], v[12:13], v[68:69]
	v_mul_f64_e32 v[68:69], v[10:11], v[68:69]
	s_delay_alu instid0(VALU_DEP_2) | instskip(NEXT) | instid1(VALU_DEP_2)
	v_fma_f64 v[14:15], v[10:11], v[66:67], -v[14:15]
	v_fmac_f64_e32 v[68:69], v[12:13], v[66:67]
	s_delay_alu instid0(VALU_DEP_2) | instskip(SKIP_1) | instid1(VALU_DEP_3)
	v_add_f64_e32 v[16:17], v[16:17], v[14:15]
	v_mul_f64_e32 v[14:15], v[12:13], v[72:73]
	v_add_f64_e32 v[18:19], v[68:69], v[18:19]
	s_delay_alu instid0(VALU_DEP_2) | instskip(SKIP_1) | instid1(VALU_DEP_1)
	v_fma_f64 v[14:15], v[10:11], v[70:71], -v[14:15]
	v_mul_f64_e32 v[10:11], v[10:11], v[72:73]
	v_fmac_f64_e32 v[10:11], v[12:13], v[70:71]
	ds_load_b128 v[66:69], v86 offset:368
	ds_load_b128 v[70:73], v87 offset:11776
	v_add_f64_e32 v[12:13], v[24:25], v[14:15]
	s_wait_dscnt 0x0
	v_mul_f64_e32 v[24:25], v[66:67], v[72:73]
	v_add_f64_e32 v[14:15], v[10:11], v[74:75]
	v_mul_f64_e32 v[10:11], v[68:69], v[72:73]
	ds_load_b128 v[74:77], v87 offset:12032
	v_fmac_f64_e32 v[24:25], v[68:69], v[70:71]
	v_fma_f64 v[10:11], v[66:67], v[70:71], -v[10:11]
	s_delay_alu instid0(VALU_DEP_2) | instskip(SKIP_2) | instid1(VALU_DEP_3)
	v_add_f64_e32 v[22:23], v[24:25], v[22:23]
	s_wait_dscnt 0x0
	v_mul_f64_e32 v[24:25], v[66:67], v[76:77]
	v_add_f64_e32 v[20:21], v[20:21], v[10:11]
	v_mul_f64_e32 v[10:11], v[68:69], v[76:77]
	s_delay_alu instid0(VALU_DEP_3) | instskip(NEXT) | instid1(VALU_DEP_2)
	v_fmac_f64_e32 v[24:25], v[68:69], v[74:75]
	v_fma_f64 v[10:11], v[66:67], v[74:75], -v[10:11]
	ds_load_b128 v[66:69], v86 offset:8560
	v_add_f64_e32 v[4:5], v[4:5], v[10:11]
	v_add_f64_e32 v[10:11], v[24:25], v[78:79]
	s_wait_dscnt 0x0
	v_mul_f64_e32 v[24:25], v[68:69], v[72:73]
	v_mul_f64_e32 v[72:73], v[66:67], v[72:73]
	s_delay_alu instid0(VALU_DEP_2) | instskip(NEXT) | instid1(VALU_DEP_2)
	v_fma_f64 v[24:25], v[66:67], v[70:71], -v[24:25]
	v_fmac_f64_e32 v[72:73], v[68:69], v[70:71]
	s_delay_alu instid0(VALU_DEP_2) | instskip(SKIP_1) | instid1(VALU_DEP_3)
	v_add_f64_e32 v[16:17], v[16:17], v[24:25]
	v_mul_f64_e32 v[24:25], v[68:69], v[76:77]
	v_add_f64_e32 v[18:19], v[72:73], v[18:19]
	s_delay_alu instid0(VALU_DEP_2) | instskip(SKIP_1) | instid1(VALU_DEP_2)
	v_fma_f64 v[24:25], v[66:67], v[74:75], -v[24:25]
	v_mul_f64_e32 v[66:67], v[66:67], v[76:77]
	v_add_f64_e32 v[24:25], v[12:13], v[24:25]
	s_delay_alu instid0(VALU_DEP_2) | instskip(NEXT) | instid1(VALU_DEP_1)
	v_fmac_f64_e32 v[66:67], v[68:69], v[74:75]
	v_add_f64_e32 v[74:75], v[66:67], v[14:15]
	ds_load_b128 v[66:69], v86 offset:384
	ds_load_b128 v[70:73], v87 offset:12288
	s_wait_dscnt 0x0
	v_mul_f64_e32 v[12:13], v[68:69], v[72:73]
	v_mul_f64_e32 v[14:15], v[66:67], v[72:73]
	s_delay_alu instid0(VALU_DEP_2) | instskip(NEXT) | instid1(VALU_DEP_2)
	v_fma_f64 v[12:13], v[66:67], v[70:71], -v[12:13]
	v_fmac_f64_e32 v[14:15], v[68:69], v[70:71]
	s_delay_alu instid0(VALU_DEP_2) | instskip(NEXT) | instid1(VALU_DEP_2)
	v_add_f64_e32 v[12:13], v[20:21], v[12:13]
	v_add_f64_e32 v[14:15], v[14:15], v[22:23]
	ds_load_b128 v[20:23], v87 offset:12544
	s_wait_dscnt 0x0
	v_mul_f64_e32 v[76:77], v[68:69], v[22:23]
	s_delay_alu instid0(VALU_DEP_1) | instskip(SKIP_1) | instid1(VALU_DEP_2)
	v_fma_f64 v[76:77], v[66:67], v[20:21], -v[76:77]
	v_mul_f64_e32 v[66:67], v[66:67], v[22:23]
	v_add_f64_e32 v[4:5], v[4:5], v[76:77]
	s_delay_alu instid0(VALU_DEP_2) | instskip(NEXT) | instid1(VALU_DEP_1)
	v_fmac_f64_e32 v[66:67], v[68:69], v[20:21]
	v_add_f64_e32 v[10:11], v[66:67], v[10:11]
	ds_load_b128 v[66:69], v86 offset:8576
	s_wait_dscnt 0x0
	v_mul_f64_e32 v[76:77], v[68:69], v[72:73]
	v_mul_f64_e32 v[72:73], v[66:67], v[72:73]
	s_delay_alu instid0(VALU_DEP_2) | instskip(NEXT) | instid1(VALU_DEP_2)
	v_fma_f64 v[76:77], v[66:67], v[70:71], -v[76:77]
	v_fmac_f64_e32 v[72:73], v[68:69], v[70:71]
	v_mul_f64_e32 v[70:71], v[68:69], v[22:23]
	v_mul_f64_e32 v[22:23], v[66:67], v[22:23]
	s_delay_alu instid0(VALU_DEP_4) | instskip(NEXT) | instid1(VALU_DEP_4)
	v_add_f64_e32 v[16:17], v[16:17], v[76:77]
	v_add_f64_e32 v[18:19], v[72:73], v[18:19]
	s_delay_alu instid0(VALU_DEP_4) | instskip(NEXT) | instid1(VALU_DEP_4)
	v_fma_f64 v[70:71], v[66:67], v[20:21], -v[70:71]
	v_fmac_f64_e32 v[22:23], v[68:69], v[20:21]
	s_delay_alu instid0(VALU_DEP_2)
	v_add_f64_e32 v[20:21], v[24:25], v[70:71]
	ds_load_b128 v[66:69], v86 offset:400
	ds_load_b128 v[70:73], v87 offset:12800
	v_add_f64_e32 v[22:23], v[22:23], v[74:75]
	s_wait_dscnt 0x0
	v_mul_f64_e32 v[74:75], v[66:67], v[72:73]
	v_mul_f64_e32 v[24:25], v[68:69], v[72:73]
	s_delay_alu instid0(VALU_DEP_2) | instskip(NEXT) | instid1(VALU_DEP_2)
	v_fmac_f64_e32 v[74:75], v[68:69], v[70:71]
	v_fma_f64 v[24:25], v[66:67], v[70:71], -v[24:25]
	s_delay_alu instid0(VALU_DEP_2) | instskip(SKIP_4) | instid1(VALU_DEP_1)
	v_add_f64_e32 v[14:15], v[74:75], v[14:15]
	ds_load_b128 v[74:77], v87 offset:13056
	v_add_f64_e32 v[12:13], v[12:13], v[24:25]
	s_wait_dscnt 0x0
	v_mul_f64_e32 v[24:25], v[68:69], v[76:77]
	v_fma_f64 v[24:25], v[66:67], v[74:75], -v[24:25]
	v_mul_f64_e32 v[66:67], v[66:67], v[76:77]
	s_delay_alu instid0(VALU_DEP_2) | instskip(NEXT) | instid1(VALU_DEP_2)
	v_add_f64_e32 v[4:5], v[4:5], v[24:25]
	v_fmac_f64_e32 v[66:67], v[68:69], v[74:75]
	s_delay_alu instid0(VALU_DEP_1) | instskip(SKIP_4) | instid1(VALU_DEP_2)
	v_add_f64_e32 v[10:11], v[66:67], v[10:11]
	ds_load_b128 v[66:69], v86 offset:8592
	s_wait_dscnt 0x0
	v_mul_f64_e32 v[24:25], v[68:69], v[72:73]
	v_mul_f64_e32 v[72:73], v[66:67], v[72:73]
	v_fma_f64 v[24:25], v[66:67], v[70:71], -v[24:25]
	s_delay_alu instid0(VALU_DEP_2) | instskip(NEXT) | instid1(VALU_DEP_2)
	v_fmac_f64_e32 v[72:73], v[68:69], v[70:71]
	v_add_f64_e32 v[16:17], v[16:17], v[24:25]
	v_mul_f64_e32 v[24:25], v[68:69], v[76:77]
	s_delay_alu instid0(VALU_DEP_3) | instskip(NEXT) | instid1(VALU_DEP_2)
	v_add_f64_e32 v[18:19], v[72:73], v[18:19]
	v_fma_f64 v[24:25], v[66:67], v[74:75], -v[24:25]
	v_mul_f64_e32 v[66:67], v[66:67], v[76:77]
	s_delay_alu instid0(VALU_DEP_2) | instskip(NEXT) | instid1(VALU_DEP_2)
	v_add_f64_e32 v[20:21], v[20:21], v[24:25]
	v_fmac_f64_e32 v[66:67], v[68:69], v[74:75]
	ds_load_b128 v[68:71], v86 offset:416
	ds_load_b128 v[72:75], v87 offset:13312
	s_wait_dscnt 0x0
	v_mul_f64_e32 v[24:25], v[70:71], v[74:75]
	v_add_f64_e32 v[22:23], v[66:67], v[22:23]
	v_mul_f64_e32 v[66:67], v[68:69], v[74:75]
	s_delay_alu instid0(VALU_DEP_3) | instskip(NEXT) | instid1(VALU_DEP_2)
	v_fma_f64 v[24:25], v[68:69], v[72:73], -v[24:25]
	v_fmac_f64_e32 v[66:67], v[70:71], v[72:73]
	s_delay_alu instid0(VALU_DEP_2) | instskip(NEXT) | instid1(VALU_DEP_2)
	v_add_f64_e32 v[24:25], v[12:13], v[24:25]
	v_add_f64_e32 v[66:67], v[66:67], v[14:15]
	ds_load_b128 v[12:15], v87 offset:13568
	s_wait_dscnt 0x0
	v_mul_f64_e32 v[76:77], v[70:71], v[14:15]
	s_delay_alu instid0(VALU_DEP_1) | instskip(SKIP_1) | instid1(VALU_DEP_2)
	v_fma_f64 v[76:77], v[68:69], v[12:13], -v[76:77]
	v_mul_f64_e32 v[68:69], v[68:69], v[14:15]
	v_add_f64_e32 v[4:5], v[4:5], v[76:77]
	s_delay_alu instid0(VALU_DEP_2) | instskip(NEXT) | instid1(VALU_DEP_1)
	v_fmac_f64_e32 v[68:69], v[70:71], v[12:13]
	v_add_f64_e32 v[10:11], v[68:69], v[10:11]
	ds_load_b128 v[68:71], v86 offset:8608
	s_wait_dscnt 0x0
	v_mul_f64_e32 v[76:77], v[70:71], v[74:75]
	v_mul_f64_e32 v[74:75], v[68:69], v[74:75]
	s_delay_alu instid0(VALU_DEP_2) | instskip(NEXT) | instid1(VALU_DEP_2)
	v_fma_f64 v[76:77], v[68:69], v[72:73], -v[76:77]
	v_fmac_f64_e32 v[74:75], v[70:71], v[72:73]
	v_mul_f64_e32 v[72:73], v[70:71], v[14:15]
	v_mul_f64_e32 v[14:15], v[68:69], v[14:15]
	s_delay_alu instid0(VALU_DEP_4) | instskip(NEXT) | instid1(VALU_DEP_4)
	v_add_f64_e32 v[16:17], v[16:17], v[76:77]
	v_add_f64_e32 v[18:19], v[74:75], v[18:19]
	s_delay_alu instid0(VALU_DEP_4) | instskip(NEXT) | instid1(VALU_DEP_4)
	v_fma_f64 v[72:73], v[68:69], v[12:13], -v[72:73]
	v_fmac_f64_e32 v[14:15], v[70:71], v[12:13]
	s_delay_alu instid0(VALU_DEP_2)
	v_add_f64_e32 v[12:13], v[20:21], v[72:73]
	ds_load_b128 v[68:71], v86 offset:432
	ds_load_b128 v[72:75], v87 offset:13824
	v_add_f64_e32 v[14:15], v[14:15], v[22:23]
	ds_load_b128 v[76:79], v87 offset:14080
	s_wait_dscnt 0x1
	v_mul_f64_e32 v[22:23], v[68:69], v[74:75]
	v_mul_f64_e32 v[20:21], v[70:71], v[74:75]
	s_delay_alu instid0(VALU_DEP_2) | instskip(NEXT) | instid1(VALU_DEP_2)
	v_fmac_f64_e32 v[22:23], v[70:71], v[72:73]
	v_fma_f64 v[20:21], v[68:69], v[72:73], -v[20:21]
	s_delay_alu instid0(VALU_DEP_2) | instskip(SKIP_2) | instid1(VALU_DEP_3)
	v_add_f64_e32 v[22:23], v[22:23], v[66:67]
	s_wait_dscnt 0x0
	v_mul_f64_e32 v[66:67], v[68:69], v[78:79]
	v_add_f64_e32 v[20:21], v[24:25], v[20:21]
	v_mul_f64_e32 v[24:25], v[70:71], v[78:79]
	s_delay_alu instid0(VALU_DEP_3) | instskip(NEXT) | instid1(VALU_DEP_2)
	v_fmac_f64_e32 v[66:67], v[70:71], v[76:77]
	v_fma_f64 v[24:25], v[68:69], v[76:77], -v[24:25]
	s_delay_alu instid0(VALU_DEP_2)
	v_add_f64_e32 v[10:11], v[66:67], v[10:11]
	ds_load_b128 v[66:69], v86 offset:8624
	v_add_f64_e32 v[4:5], v[4:5], v[24:25]
	s_wait_dscnt 0x0
	v_mul_f64_e32 v[24:25], v[68:69], v[74:75]
	v_mul_f64_e32 v[70:71], v[66:67], v[74:75]
	s_delay_alu instid0(VALU_DEP_2) | instskip(NEXT) | instid1(VALU_DEP_2)
	v_fma_f64 v[24:25], v[66:67], v[72:73], -v[24:25]
	v_fmac_f64_e32 v[70:71], v[68:69], v[72:73]
	s_delay_alu instid0(VALU_DEP_2) | instskip(SKIP_1) | instid1(VALU_DEP_3)
	v_add_f64_e32 v[16:17], v[16:17], v[24:25]
	v_mul_f64_e32 v[24:25], v[68:69], v[78:79]
	v_add_f64_e32 v[18:19], v[70:71], v[18:19]
	s_delay_alu instid0(VALU_DEP_2) | instskip(SKIP_1) | instid1(VALU_DEP_2)
	v_fma_f64 v[24:25], v[66:67], v[76:77], -v[24:25]
	v_mul_f64_e32 v[66:67], v[66:67], v[78:79]
	v_add_f64_e32 v[24:25], v[12:13], v[24:25]
	s_delay_alu instid0(VALU_DEP_2)
	v_fmac_f64_e32 v[66:67], v[68:69], v[76:77]
	ds_load_b128 v[68:71], v86 offset:448
	ds_load_b128 v[72:75], v87 offset:14336
	s_wait_dscnt 0x0
	v_mul_f64_e32 v[12:13], v[70:71], v[74:75]
	v_add_f64_e32 v[66:67], v[66:67], v[14:15]
	v_mul_f64_e32 v[14:15], v[68:69], v[74:75]
	s_delay_alu instid0(VALU_DEP_3) | instskip(NEXT) | instid1(VALU_DEP_2)
	v_fma_f64 v[12:13], v[68:69], v[72:73], -v[12:13]
	v_fmac_f64_e32 v[14:15], v[70:71], v[72:73]
	s_delay_alu instid0(VALU_DEP_2) | instskip(NEXT) | instid1(VALU_DEP_2)
	v_add_f64_e32 v[12:13], v[20:21], v[12:13]
	v_add_f64_e32 v[14:15], v[14:15], v[22:23]
	ds_load_b128 v[20:23], v87 offset:14592
	s_wait_dscnt 0x0
	v_mul_f64_e32 v[76:77], v[70:71], v[22:23]
	s_delay_alu instid0(VALU_DEP_1) | instskip(SKIP_1) | instid1(VALU_DEP_2)
	v_fma_f64 v[76:77], v[68:69], v[20:21], -v[76:77]
	v_mul_f64_e32 v[68:69], v[68:69], v[22:23]
	v_add_f64_e32 v[4:5], v[4:5], v[76:77]
	s_delay_alu instid0(VALU_DEP_2) | instskip(NEXT) | instid1(VALU_DEP_1)
	v_fmac_f64_e32 v[68:69], v[70:71], v[20:21]
	v_add_f64_e32 v[10:11], v[68:69], v[10:11]
	ds_load_b128 v[68:71], v86 offset:8640
	s_wait_dscnt 0x0
	v_mul_f64_e32 v[76:77], v[70:71], v[74:75]
	v_mul_f64_e32 v[74:75], v[68:69], v[74:75]
	s_delay_alu instid0(VALU_DEP_2) | instskip(NEXT) | instid1(VALU_DEP_2)
	v_fma_f64 v[76:77], v[68:69], v[72:73], -v[76:77]
	v_fmac_f64_e32 v[74:75], v[70:71], v[72:73]
	v_mul_f64_e32 v[72:73], v[70:71], v[22:23]
	v_mul_f64_e32 v[22:23], v[68:69], v[22:23]
	s_delay_alu instid0(VALU_DEP_4) | instskip(NEXT) | instid1(VALU_DEP_4)
	v_add_f64_e32 v[16:17], v[16:17], v[76:77]
	v_add_f64_e32 v[18:19], v[74:75], v[18:19]
	s_delay_alu instid0(VALU_DEP_4) | instskip(NEXT) | instid1(VALU_DEP_4)
	v_fma_f64 v[72:73], v[68:69], v[20:21], -v[72:73]
	v_fmac_f64_e32 v[22:23], v[70:71], v[20:21]
	s_delay_alu instid0(VALU_DEP_2) | instskip(NEXT) | instid1(VALU_DEP_2)
	v_add_f64_e32 v[20:21], v[24:25], v[72:73]
	v_add_f64_e32 v[22:23], v[22:23], v[66:67]
	ds_load_b128 v[66:69], v86 offset:464
	ds_load_b128 v[70:73], v87 offset:14848
	s_wait_dscnt 0x0
	v_mul_f64_e32 v[74:75], v[66:67], v[72:73]
	v_mul_f64_e32 v[24:25], v[68:69], v[72:73]
	s_delay_alu instid0(VALU_DEP_2) | instskip(NEXT) | instid1(VALU_DEP_2)
	v_fmac_f64_e32 v[74:75], v[68:69], v[70:71]
	v_fma_f64 v[24:25], v[66:67], v[70:71], -v[24:25]
	s_delay_alu instid0(VALU_DEP_2) | instskip(SKIP_4) | instid1(VALU_DEP_1)
	v_add_f64_e32 v[14:15], v[74:75], v[14:15]
	ds_load_b128 v[74:77], v87 offset:15104
	v_add_f64_e32 v[12:13], v[12:13], v[24:25]
	s_wait_dscnt 0x0
	v_mul_f64_e32 v[24:25], v[68:69], v[76:77]
	v_fma_f64 v[24:25], v[66:67], v[74:75], -v[24:25]
	v_mul_f64_e32 v[66:67], v[66:67], v[76:77]
	s_delay_alu instid0(VALU_DEP_2) | instskip(NEXT) | instid1(VALU_DEP_2)
	v_add_f64_e32 v[4:5], v[4:5], v[24:25]
	v_fmac_f64_e32 v[66:67], v[68:69], v[74:75]
	s_delay_alu instid0(VALU_DEP_1) | instskip(SKIP_4) | instid1(VALU_DEP_2)
	v_add_f64_e32 v[10:11], v[66:67], v[10:11]
	ds_load_b128 v[66:69], v86 offset:8656
	s_wait_dscnt 0x0
	v_mul_f64_e32 v[24:25], v[68:69], v[72:73]
	v_mul_f64_e32 v[72:73], v[66:67], v[72:73]
	v_fma_f64 v[24:25], v[66:67], v[70:71], -v[24:25]
	s_delay_alu instid0(VALU_DEP_2) | instskip(NEXT) | instid1(VALU_DEP_2)
	v_fmac_f64_e32 v[72:73], v[68:69], v[70:71]
	v_add_f64_e32 v[16:17], v[16:17], v[24:25]
	v_mul_f64_e32 v[24:25], v[68:69], v[76:77]
	s_delay_alu instid0(VALU_DEP_3) | instskip(NEXT) | instid1(VALU_DEP_2)
	v_add_f64_e32 v[18:19], v[72:73], v[18:19]
	v_fma_f64 v[24:25], v[66:67], v[74:75], -v[24:25]
	v_mul_f64_e32 v[66:67], v[66:67], v[76:77]
	s_delay_alu instid0(VALU_DEP_2) | instskip(NEXT) | instid1(VALU_DEP_2)
	v_add_f64_e32 v[20:21], v[20:21], v[24:25]
	v_fmac_f64_e32 v[66:67], v[68:69], v[74:75]
	s_delay_alu instid0(VALU_DEP_1)
	v_add_f64_e32 v[22:23], v[66:67], v[22:23]
	ds_load_b128 v[66:69], v86 offset:480
	ds_load_b128 v[70:73], v87 offset:15360
	;; [unrolled: 1-line block ×3, first 2 shown]
	s_wait_dscnt 0x1
	v_mul_f64_e32 v[24:25], v[68:69], v[72:73]
	v_mul_f64_e32 v[74:75], v[66:67], v[72:73]
	s_delay_alu instid0(VALU_DEP_2) | instskip(NEXT) | instid1(VALU_DEP_2)
	v_fma_f64 v[24:25], v[66:67], v[70:71], -v[24:25]
	v_fmac_f64_e32 v[74:75], v[68:69], v[70:71]
	s_delay_alu instid0(VALU_DEP_2) | instskip(NEXT) | instid1(VALU_DEP_2)
	v_add_f64_e32 v[12:13], v[12:13], v[24:25]
	v_add_f64_e32 v[24:25], v[74:75], v[14:15]
	s_wait_dscnt 0x0
	v_mul_f64_e32 v[14:15], v[68:69], v[82:83]
	s_delay_alu instid0(VALU_DEP_1) | instskip(SKIP_1) | instid1(VALU_DEP_2)
	v_fma_f64 v[14:15], v[66:67], v[80:81], -v[14:15]
	v_mul_f64_e32 v[66:67], v[66:67], v[82:83]
	v_add_f64_e32 v[76:77], v[4:5], v[14:15]
	s_delay_alu instid0(VALU_DEP_2) | instskip(NEXT) | instid1(VALU_DEP_1)
	v_fmac_f64_e32 v[66:67], v[68:69], v[80:81]
	v_add_f64_e32 v[78:79], v[66:67], v[10:11]
	ds_load_b128 v[66:69], v86 offset:8672
	s_wait_dscnt 0x0
	v_mul_f64_e32 v[4:5], v[68:69], v[72:73]
	v_mul_f64_e32 v[10:11], v[66:67], v[72:73]
	s_delay_alu instid0(VALU_DEP_2) | instskip(NEXT) | instid1(VALU_DEP_2)
	v_fma_f64 v[4:5], v[66:67], v[70:71], -v[4:5]
	v_fmac_f64_e32 v[10:11], v[68:69], v[70:71]
	s_delay_alu instid0(VALU_DEP_2) | instskip(SKIP_1) | instid1(VALU_DEP_3)
	v_add_f64_e32 v[70:71], v[16:17], v[4:5]
	v_mul_f64_e32 v[4:5], v[68:69], v[82:83]
	v_add_f64_e32 v[72:73], v[10:11], v[18:19]
	v_mul_f64_e32 v[10:11], v[66:67], v[82:83]
	s_delay_alu instid0(VALU_DEP_3) | instskip(NEXT) | instid1(VALU_DEP_2)
	v_fma_f64 v[4:5], v[66:67], v[80:81], -v[4:5]
	v_fmac_f64_e32 v[10:11], v[68:69], v[80:81]
	s_delay_alu instid0(VALU_DEP_2)
	v_add_f64_e32 v[4:5], v[20:21], v[4:5]
	ds_load_b128 v[18:21], v86 offset:496
	ds_load_b128 v[14:17], v87 offset:15872
	v_add_f64_e32 v[74:75], v[10:11], v[22:23]
	s_wait_dscnt 0x0
	v_mul_f64_e32 v[10:11], v[20:21], v[16:17]
	v_mul_f64_e32 v[22:23], v[18:19], v[16:17]
	s_delay_alu instid0(VALU_DEP_2) | instskip(NEXT) | instid1(VALU_DEP_2)
	v_fma_f64 v[10:11], v[18:19], v[14:15], -v[10:11]
	v_fmac_f64_e32 v[22:23], v[20:21], v[14:15]
	s_delay_alu instid0(VALU_DEP_2) | instskip(SKIP_4) | instid1(VALU_DEP_1)
	v_add_f64_e32 v[66:67], v[12:13], v[10:11]
	ds_load_b128 v[10:13], v87 offset:16128
	v_add_f64_e32 v[68:69], v[22:23], v[24:25]
	s_wait_dscnt 0x0
	v_mul_f64_e32 v[22:23], v[20:21], v[12:13]
	v_fma_f64 v[22:23], v[18:19], v[10:11], -v[22:23]
	v_mul_f64_e32 v[18:19], v[18:19], v[12:13]
	s_delay_alu instid0(VALU_DEP_2) | instskip(NEXT) | instid1(VALU_DEP_2)
	v_add_f64_e32 v[22:23], v[76:77], v[22:23]
	v_fmac_f64_e32 v[18:19], v[20:21], v[10:11]
	s_delay_alu instid0(VALU_DEP_1)
	v_add_f64_e32 v[24:25], v[18:19], v[78:79]
	ds_load_b128 v[18:21], v86 offset:8688
	s_wait_dscnt 0x0
	s_barrier_signal -1
	s_barrier_wait -1
	v_mul_f64_e32 v[76:77], v[20:21], v[16:17]
	v_mul_f64_e32 v[16:17], v[18:19], v[16:17]
	s_delay_alu instid0(VALU_DEP_2) | instskip(NEXT) | instid1(VALU_DEP_2)
	v_fma_f64 v[76:77], v[18:19], v[14:15], -v[76:77]
	v_fmac_f64_e32 v[16:17], v[20:21], v[14:15]
	v_mul_f64_e32 v[14:15], v[20:21], v[12:13]
	v_mul_f64_e32 v[12:13], v[18:19], v[12:13]
	s_delay_alu instid0(VALU_DEP_4) | instskip(NEXT) | instid1(VALU_DEP_4)
	v_add_f64_e32 v[70:71], v[70:71], v[76:77]
	v_add_f64_e32 v[72:73], v[16:17], v[72:73]
	s_delay_alu instid0(VALU_DEP_4) | instskip(NEXT) | instid1(VALU_DEP_4)
	v_fma_f64 v[14:15], v[18:19], v[10:11], -v[14:15]
	v_fmac_f64_e32 v[12:13], v[20:21], v[10:11]
	s_delay_alu instid0(VALU_DEP_2) | instskip(NEXT) | instid1(VALU_DEP_2)
	v_add_f64_e32 v[76:77], v[4:5], v[14:15]
	v_add_f64_e32 v[74:75], v[12:13], v[74:75]
	s_cbranch_scc1 .LBB128_59
.LBB128_11:                             ;   Parent Loop BB128_4 Depth=1
                                        ;     Parent Loop BB128_8 Depth=2
                                        ; =>    This Inner Loop Header: Depth=3
	v_add_nc_u64_e32 v[12:13], s[36:37], v[26:27]
	v_cmp_eq_u64_e64 s7, s[36:37], v[56:57]
	v_add_nc_u64_e32 v[10:11], v[62:63], v[58:59]
	s_delay_alu instid0(VALU_DEP_3) | instskip(SKIP_3) | instid1(SALU_CYCLE_1)
	v_cmp_gt_i64_e64 s5, v[12:13], v[50:51]
	v_cmp_le_i64_e64 s6, s[40:41], v[12:13]
	s_and_b32 s52, s46, s7
	s_or_b32 s7, vcc_lo, s5
	s_or_b32 s7, s7, s52
	s_delay_alu instid0(SALU_CYCLE_1) | instskip(NEXT) | instid1(SALU_CYCLE_1)
	s_nor_b32 s7, s6, s7
	s_and_saveexec_b32 s8, s7
	s_delay_alu instid0(SALU_CYCLE_1)
	s_xor_b32 s7, exec_lo, s8
	s_cbranch_execz .LBB128_13
; %bb.12:                               ;   in Loop: Header=BB128_11 Depth=3
	global_load_b128 v[14:17], v[10:11], off
	s_wait_loadcnt 0x0
	v_xor_b32_e32 v17, 0x80000000, v17
	ds_store_b128 v88, v[14:17]
.LBB128_13:                             ;   in Loop: Header=BB128_11 Depth=3
	s_wait_xcnt 0x0
	s_or_saveexec_b32 s7, s7
	s_xor_b32 s51, s52, -1
	s_xor_b32 exec_lo, exec_lo, s7
	s_cbranch_execz .LBB128_19
; %bb.14:                               ;   in Loop: Header=BB128_11 Depth=3
	s_and_saveexec_b32 s8, s51
	s_delay_alu instid0(SALU_CYCLE_1)
	s_xor_b32 s8, exec_lo, s8
; %bb.15:                               ;   in Loop: Header=BB128_11 Depth=3
	v_dual_mov_b32 v14, v2 :: v_dual_mov_b32 v15, v2
	v_dual_mov_b32 v16, v2 :: v_dual_mov_b32 v17, v2
	ds_store_b128 v88, v[14:17]
; %bb.16:                               ;   in Loop: Header=BB128_11 Depth=3
	s_and_not1_saveexec_b32 s8, s8
; %bb.17:                               ;   in Loop: Header=BB128_11 Depth=3
	v_dual_mov_b32 v4, v2 :: v_dual_mov_b32 v5, v2
	ds_store_b128 v88, v[2:5]
; %bb.18:                               ;   in Loop: Header=BB128_11 Depth=3
	s_or_b32 exec_lo, exec_lo, s8
.LBB128_19:                             ;   in Loop: Header=BB128_11 Depth=3
	s_delay_alu instid0(SALU_CYCLE_1) | instskip(SKIP_3) | instid1(VALU_DEP_3)
	s_or_b32 exec_lo, exec_lo, s7
	v_add_nc_u64_e32 v[4:5], 16, v[12:13]
	v_cmp_eq_u64_e64 s8, s[36:37], v[60:61]
	v_add_nc_u64_e32 v[14:15], v[54:55], v[58:59]
	v_cmp_gt_i64_e64 s9, v[4:5], v[50:51]
	v_cmp_le_i64_e64 s7, s[40:41], v[4:5]
	s_and_b32 s53, s46, s8
	s_or_b32 s8, vcc_lo, s9
	s_delay_alu instid0(SALU_CYCLE_1) | instskip(NEXT) | instid1(SALU_CYCLE_1)
	s_or_b32 s8, s8, s53
	s_nor_b32 s8, s7, s8
	s_delay_alu instid0(SALU_CYCLE_1) | instskip(NEXT) | instid1(SALU_CYCLE_1)
	s_and_saveexec_b32 s9, s8
	s_xor_b32 s8, exec_lo, s9
	s_cbranch_execz .LBB128_21
; %bb.20:                               ;   in Loop: Header=BB128_11 Depth=3
	global_load_b128 v[16:19], v[14:15], off
	s_wait_loadcnt 0x0
	v_xor_b32_e32 v19, 0x80000000, v19
	ds_store_b128 v88, v[16:19] offset:256
.LBB128_21:                             ;   in Loop: Header=BB128_11 Depth=3
	s_wait_xcnt 0x0
	s_and_not1_saveexec_b32 s8, s8
	s_cbranch_execz .LBB128_27
; %bb.22:                               ;   in Loop: Header=BB128_11 Depth=3
	s_xor_b32 s9, s53, -1
	s_delay_alu instid0(SALU_CYCLE_1) | instskip(NEXT) | instid1(SALU_CYCLE_1)
	s_and_saveexec_b32 s53, s9
	s_xor_b32 s9, exec_lo, s53
; %bb.23:                               ;   in Loop: Header=BB128_11 Depth=3
	v_dual_mov_b32 v16, v2 :: v_dual_mov_b32 v17, v2
	v_dual_mov_b32 v18, v2 :: v_dual_mov_b32 v19, v2
	ds_store_b128 v88, v[16:19] offset:256
; %bb.24:                               ;   in Loop: Header=BB128_11 Depth=3
	s_and_not1_saveexec_b32 s9, s9
; %bb.25:                               ;   in Loop: Header=BB128_11 Depth=3
	v_dual_mov_b32 v4, v2 :: v_dual_mov_b32 v5, v2
	ds_store_b128 v88, v[2:5] offset:256
; %bb.26:                               ;   in Loop: Header=BB128_11 Depth=3
	s_or_b32 exec_lo, exec_lo, s9
.LBB128_27:                             ;   in Loop: Header=BB128_11 Depth=3
	s_delay_alu instid0(SALU_CYCLE_1) | instskip(SKIP_2) | instid1(VALU_DEP_2)
	s_or_b32 exec_lo, exec_lo, s8
	v_add_nc_u64_e32 v[4:5], 16, v[56:57]
	v_cmp_gt_i64_e64 s9, v[12:13], v[52:53]
	v_cmp_eq_u64_e64 s8, s[36:37], v[4:5]
	s_or_b32 s9, s4, s9
	s_and_b32 s8, s46, s8
	s_delay_alu instid0(SALU_CYCLE_1) | instskip(NEXT) | instid1(SALU_CYCLE_1)
	s_or_b32 s9, s9, s8
	s_nor_b32 s6, s6, s9
	s_delay_alu instid0(SALU_CYCLE_1) | instskip(NEXT) | instid1(SALU_CYCLE_1)
	s_and_saveexec_b32 s9, s6
	s_xor_b32 s6, exec_lo, s9
	s_cbranch_execz .LBB128_29
; %bb.28:                               ;   in Loop: Header=BB128_11 Depth=3
	global_load_b128 v[10:13], v[10:11], off offset:256
	s_wait_loadcnt 0x0
	v_xor_b32_e32 v13, 0x80000000, v13
	ds_store_b128 v88, v[10:13] offset:8192
.LBB128_29:                             ;   in Loop: Header=BB128_11 Depth=3
	s_wait_xcnt 0x0
	s_and_not1_saveexec_b32 s6, s6
	s_cbranch_execz .LBB128_35
; %bb.30:                               ;   in Loop: Header=BB128_11 Depth=3
	s_xor_b32 s8, s8, -1
	s_delay_alu instid0(SALU_CYCLE_1) | instskip(NEXT) | instid1(SALU_CYCLE_1)
	s_and_saveexec_b32 s9, s8
	s_xor_b32 s8, exec_lo, s9
; %bb.31:                               ;   in Loop: Header=BB128_11 Depth=3
	v_dual_mov_b32 v10, v2 :: v_dual_mov_b32 v11, v2
	v_dual_mov_b32 v12, v2 :: v_dual_mov_b32 v13, v2
	ds_store_b128 v88, v[10:13] offset:8192
; %bb.32:                               ;   in Loop: Header=BB128_11 Depth=3
	s_and_not1_saveexec_b32 s8, s8
; %bb.33:                               ;   in Loop: Header=BB128_11 Depth=3
	v_dual_mov_b32 v4, v2 :: v_dual_mov_b32 v5, v2
	ds_store_b128 v88, v[2:5] offset:8192
; %bb.34:                               ;   in Loop: Header=BB128_11 Depth=3
	s_or_b32 exec_lo, exec_lo, s8
.LBB128_35:                             ;   in Loop: Header=BB128_11 Depth=3
	s_delay_alu instid0(SALU_CYCLE_1) | instskip(SKIP_1) | instid1(SALU_CYCLE_1)
	s_or_b32 exec_lo, exec_lo, s6
	s_or_b32 s5, s4, s5
	s_or_b32 s5, s5, s52
	s_delay_alu instid0(SALU_CYCLE_1) | instskip(NEXT) | instid1(SALU_CYCLE_1)
	s_nor_b32 s5, s7, s5
	s_and_saveexec_b32 s6, s5
	s_delay_alu instid0(SALU_CYCLE_1)
	s_xor_b32 s5, exec_lo, s6
	s_cbranch_execz .LBB128_37
; %bb.36:                               ;   in Loop: Header=BB128_11 Depth=3
	global_load_b128 v[10:13], v[14:15], off offset:256
	s_wait_loadcnt 0x0
	v_xor_b32_e32 v13, 0x80000000, v13
	ds_store_b128 v88, v[10:13] offset:8448
.LBB128_37:                             ;   in Loop: Header=BB128_11 Depth=3
	s_wait_xcnt 0x0
	s_and_not1_saveexec_b32 s5, s5
	s_cbranch_execz .LBB128_43
; %bb.38:                               ;   in Loop: Header=BB128_11 Depth=3
	s_and_saveexec_b32 s6, s51
	s_delay_alu instid0(SALU_CYCLE_1)
	s_xor_b32 s6, exec_lo, s6
; %bb.39:                               ;   in Loop: Header=BB128_11 Depth=3
	v_dual_mov_b32 v10, v2 :: v_dual_mov_b32 v11, v2
	v_dual_mov_b32 v12, v2 :: v_dual_mov_b32 v13, v2
	ds_store_b128 v88, v[10:13] offset:8448
; %bb.40:                               ;   in Loop: Header=BB128_11 Depth=3
	s_and_not1_saveexec_b32 s6, s6
; %bb.41:                               ;   in Loop: Header=BB128_11 Depth=3
	v_dual_mov_b32 v4, v2 :: v_dual_mov_b32 v5, v2
	ds_store_b128 v88, v[2:5] offset:8448
; %bb.42:                               ;   in Loop: Header=BB128_11 Depth=3
	s_or_b32 exec_lo, exec_lo, s6
.LBB128_43:                             ;   in Loop: Header=BB128_11 Depth=3
	s_delay_alu instid0(SALU_CYCLE_1) | instskip(SKIP_2) | instid1(VALU_DEP_2)
	s_or_b32 exec_lo, exec_lo, s5
	v_add_nc_u64_e32 v[4:5], s[36:37], v[0:1]
	v_add_nc_u64_e32 v[10:11], v[64:65], v[36:37]
	v_cmp_le_i64_e64 s5, s[40:41], v[4:5]
	s_nor_b32 s6, s5, s0
	s_delay_alu instid0(SALU_CYCLE_1) | instskip(NEXT) | instid1(SALU_CYCLE_1)
	s_and_saveexec_b32 s7, s6
	s_xor_b32 s6, exec_lo, s7
	s_cbranch_execz .LBB128_45
; %bb.44:                               ;   in Loop: Header=BB128_11 Depth=3
	global_load_b128 v[12:15], v[10:11], off offset:-256
	s_wait_loadcnt 0x0
	ds_store_2addr_b64 v89, v[12:13], v[14:15] offset1:1
.LBB128_45:                             ;   in Loop: Header=BB128_11 Depth=3
	s_wait_xcnt 0x0
	s_and_not1_saveexec_b32 s6, s6
; %bb.46:                               ;   in Loop: Header=BB128_11 Depth=3
	v_dual_mov_b32 v12, v2 :: v_dual_mov_b32 v13, v2
	v_dual_mov_b32 v14, v2 :: v_dual_mov_b32 v15, v2
	ds_store_b128 v89, v[12:15]
; %bb.47:                               ;   in Loop: Header=BB128_11 Depth=3
	s_or_b32 exec_lo, exec_lo, s6
	s_nor_b32 s5, s5, s1
	s_delay_alu instid0(SALU_CYCLE_1) | instskip(NEXT) | instid1(SALU_CYCLE_1)
	s_and_saveexec_b32 s6, s5
	s_xor_b32 s5, exec_lo, s6
	s_cbranch_execz .LBB128_49
; %bb.48:                               ;   in Loop: Header=BB128_11 Depth=3
	global_load_b128 v[10:13], v[10:11], off
	v_add_nc_u32_e32 v14, 0x100, v89
	s_wait_loadcnt 0x0
	ds_store_2addr_b64 v14, v[10:11], v[12:13] offset1:1
.LBB128_49:                             ;   in Loop: Header=BB128_11 Depth=3
	s_wait_xcnt 0x0
	s_and_not1_saveexec_b32 s5, s5
; %bb.50:                               ;   in Loop: Header=BB128_11 Depth=3
	v_dual_mov_b32 v10, v2 :: v_dual_mov_b32 v11, v2
	v_dual_mov_b32 v12, v2 :: v_dual_mov_b32 v13, v2
	ds_store_b128 v89, v[10:13] offset:256
; %bb.51:                               ;   in Loop: Header=BB128_11 Depth=3
	s_or_b32 exec_lo, exec_lo, s5
	v_cmp_le_i64_e64 s5, s[20:21], v[4:5]
	v_add_nc_u64_e32 v[4:5], v[64:65], v[30:31]
	s_nor_b32 s6, s5, s0
	s_delay_alu instid0(SALU_CYCLE_1) | instskip(NEXT) | instid1(SALU_CYCLE_1)
	s_and_saveexec_b32 s7, s6
	s_xor_b32 s6, exec_lo, s7
	s_cbranch_execz .LBB128_53
; %bb.52:                               ;   in Loop: Header=BB128_11 Depth=3
	global_load_b128 v[10:13], v[4:5], off offset:-256
	v_add_nc_u32_e32 v14, 0x2000, v89
	s_wait_loadcnt 0x0
	ds_store_2addr_b64 v14, v[10:11], v[12:13] offset1:1
.LBB128_53:                             ;   in Loop: Header=BB128_11 Depth=3
	s_wait_xcnt 0x0
	s_and_not1_saveexec_b32 s6, s6
; %bb.54:                               ;   in Loop: Header=BB128_11 Depth=3
	v_dual_mov_b32 v10, v2 :: v_dual_mov_b32 v11, v2
	v_dual_mov_b32 v12, v2 :: v_dual_mov_b32 v13, v2
	ds_store_b128 v89, v[10:13] offset:8192
; %bb.55:                               ;   in Loop: Header=BB128_11 Depth=3
	s_or_b32 exec_lo, exec_lo, s6
	s_nor_b32 s5, s5, s1
	s_delay_alu instid0(SALU_CYCLE_1) | instskip(NEXT) | instid1(SALU_CYCLE_1)
	s_and_saveexec_b32 s6, s5
	s_xor_b32 s5, exec_lo, s6
	s_cbranch_execz .LBB128_57
; %bb.56:                               ;   in Loop: Header=BB128_11 Depth=3
	global_load_b128 v[10:13], v[4:5], off
	s_wait_xcnt 0x0
	v_add_nc_u32_e32 v4, 0x2100, v89
	s_wait_loadcnt 0x0
	ds_store_2addr_b64 v4, v[10:11], v[12:13] offset1:1
.LBB128_57:                             ;   in Loop: Header=BB128_11 Depth=3
	s_and_not1_saveexec_b32 s5, s5
	s_cbranch_execz .LBB128_10
; %bb.58:                               ;   in Loop: Header=BB128_11 Depth=3
	v_dual_mov_b32 v10, v2 :: v_dual_mov_b32 v11, v2
	v_dual_mov_b32 v12, v2 :: v_dual_mov_b32 v13, v2
	ds_store_b128 v89, v[10:13] offset:8448
	s_branch .LBB128_10
.LBB128_59:                             ;   in Loop: Header=BB128_8 Depth=2
	s_delay_alu instid0(VALU_DEP_1) | instskip(SKIP_2) | instid1(VALU_DEP_2)
	v_mul_u64_e32 v[4:5], s[28:29], v[50:51]
	v_cmp_gt_i32_e32 vcc_lo, s38, v50
	s_and_b32 s5, s2, vcc_lo
	v_lshl_add_u64 v[4:5], v[4:5], 4, s[26:27]
	s_and_saveexec_b32 s4, s5
	s_cbranch_execz .LBB128_61
; %bb.60:                               ;   in Loop: Header=BB128_8 Depth=2
	s_delay_alu instid0(VALU_DEP_1)
	v_lshl_add_u64 v[14:15], v[28:29], 4, v[4:5]
	v_mul_f64_e32 v[16:17], v[8:9], v[68:69]
	v_mul_f64_e32 v[18:19], v[6:7], v[68:69]
	global_load_b128 v[10:13], v[14:15], off
	v_fma_f64 v[16:17], v[6:7], v[66:67], -v[16:17]
	v_fmac_f64_e32 v[18:19], v[8:9], v[66:67]
	s_wait_loadcnt 0x0
	s_delay_alu instid0(VALU_DEP_2) | instskip(NEXT) | instid1(VALU_DEP_2)
	v_add_f64_e32 v[10:11], v[10:11], v[16:17]
	v_add_f64_e32 v[12:13], v[18:19], v[12:13]
	global_store_b128 v[14:15], v[10:13], off
.LBB128_61:                             ;   in Loop: Header=BB128_8 Depth=2
	s_wait_xcnt 0x0
	s_or_b32 exec_lo, exec_lo, s4
	s_and_b32 s5, s3, vcc_lo
	s_delay_alu instid0(SALU_CYCLE_1)
	s_and_saveexec_b32 s4, s5
	s_cbranch_execz .LBB128_63
; %bb.62:                               ;   in Loop: Header=BB128_8 Depth=2
	v_lshl_add_u64 v[4:5], v[34:35], 4, v[4:5]
	v_mul_f64_e32 v[14:15], v[8:9], v[24:25]
	v_mul_f64_e32 v[16:17], v[6:7], v[24:25]
	global_load_b128 v[10:13], v[4:5], off
	v_fma_f64 v[14:15], v[6:7], v[22:23], -v[14:15]
	v_fmac_f64_e32 v[16:17], v[8:9], v[22:23]
	s_wait_loadcnt 0x0
	s_delay_alu instid0(VALU_DEP_2) | instskip(NEXT) | instid1(VALU_DEP_2)
	v_add_f64_e32 v[10:11], v[10:11], v[14:15]
	v_add_f64_e32 v[12:13], v[16:17], v[12:13]
	global_store_b128 v[4:5], v[10:13], off
.LBB128_63:                             ;   in Loop: Header=BB128_8 Depth=2
	s_wait_xcnt 0x0
	s_or_b32 exec_lo, exec_lo, s4
	v_add_nc_u32_e32 v4, 16, v50
	s_delay_alu instid0(VALU_DEP_1) | instskip(SKIP_1) | instid1(VALU_DEP_2)
	v_ashrrev_i32_e32 v5, 31, v4
	v_cmp_gt_i32_e32 vcc_lo, s38, v4
	v_mul_u64_e32 v[10:11], s[28:29], v[4:5]
	s_and_b32 s5, s2, vcc_lo
	s_delay_alu instid0(VALU_DEP_1)
	v_lshl_add_u64 v[4:5], v[10:11], 4, s[26:27]
	s_and_saveexec_b32 s4, s5
	s_cbranch_execz .LBB128_65
; %bb.64:                               ;   in Loop: Header=BB128_8 Depth=2
	s_delay_alu instid0(VALU_DEP_1)
	v_lshl_add_u64 v[14:15], v[28:29], 4, v[4:5]
	v_mul_f64_e32 v[16:17], v[8:9], v[72:73]
	v_mul_f64_e32 v[18:19], v[6:7], v[72:73]
	global_load_b128 v[10:13], v[14:15], off
	v_fma_f64 v[16:17], v[6:7], v[70:71], -v[16:17]
	v_fmac_f64_e32 v[18:19], v[8:9], v[70:71]
	s_wait_loadcnt 0x0
	s_delay_alu instid0(VALU_DEP_2) | instskip(NEXT) | instid1(VALU_DEP_2)
	v_add_f64_e32 v[10:11], v[10:11], v[16:17]
	v_add_f64_e32 v[12:13], v[18:19], v[12:13]
	global_store_b128 v[14:15], v[10:13], off
.LBB128_65:                             ;   in Loop: Header=BB128_8 Depth=2
	s_wait_xcnt 0x0
	s_or_b32 exec_lo, exec_lo, s4
	s_and_b32 s5, s3, vcc_lo
	s_delay_alu instid0(SALU_CYCLE_1)
	s_and_saveexec_b32 s4, s5
	s_cbranch_execz .LBB128_7
; %bb.66:                               ;   in Loop: Header=BB128_8 Depth=2
	v_lshl_add_u64 v[4:5], v[34:35], 4, v[4:5]
	v_mul_f64_e32 v[14:15], v[8:9], v[74:75]
	v_mul_f64_e32 v[16:17], v[6:7], v[74:75]
	global_load_b128 v[10:13], v[4:5], off
	v_fma_f64 v[14:15], v[6:7], v[76:77], -v[14:15]
	v_fmac_f64_e32 v[16:17], v[8:9], v[76:77]
	s_wait_loadcnt 0x0
	s_delay_alu instid0(VALU_DEP_2) | instskip(NEXT) | instid1(VALU_DEP_2)
	v_add_f64_e32 v[10:11], v[10:11], v[14:15]
	v_add_f64_e32 v[12:13], v[16:17], v[12:13]
	global_store_b128 v[4:5], v[10:13], off
	s_branch .LBB128_7
.LBB128_67:
	s_sendmsg sendmsg(MSG_DEALLOC_VGPRS)
	s_endpgm
	.section	.rodata,"a",@progbits
	.p2align	6, 0x0
	.amdhsa_kernel _ZL30rocblas_trmm_outofplace_kernelI19rocblas_complex_numIdELi32ELi2ELb0ELb0ELb1ELb1EPKS1_S2_S1_Ev17rocblas_diagonal_iiT6_lPT7_lllS7_lllPT8_llli
		.amdhsa_group_segment_fixed_size 32768
		.amdhsa_private_segment_fixed_size 0
		.amdhsa_kernarg_size 392
		.amdhsa_user_sgpr_count 2
		.amdhsa_user_sgpr_dispatch_ptr 0
		.amdhsa_user_sgpr_queue_ptr 0
		.amdhsa_user_sgpr_kernarg_segment_ptr 1
		.amdhsa_user_sgpr_dispatch_id 0
		.amdhsa_user_sgpr_kernarg_preload_length 0
		.amdhsa_user_sgpr_kernarg_preload_offset 0
		.amdhsa_user_sgpr_private_segment_size 0
		.amdhsa_wavefront_size32 1
		.amdhsa_uses_dynamic_stack 0
		.amdhsa_enable_private_segment 0
		.amdhsa_system_sgpr_workgroup_id_x 1
		.amdhsa_system_sgpr_workgroup_id_y 1
		.amdhsa_system_sgpr_workgroup_id_z 1
		.amdhsa_system_sgpr_workgroup_info 0
		.amdhsa_system_vgpr_workitem_id 1
		.amdhsa_next_free_vgpr 98
		.amdhsa_next_free_sgpr 54
		.amdhsa_named_barrier_count 0
		.amdhsa_reserve_vcc 1
		.amdhsa_float_round_mode_32 0
		.amdhsa_float_round_mode_16_64 0
		.amdhsa_float_denorm_mode_32 3
		.amdhsa_float_denorm_mode_16_64 3
		.amdhsa_fp16_overflow 0
		.amdhsa_memory_ordered 1
		.amdhsa_forward_progress 1
		.amdhsa_inst_pref_size 65
		.amdhsa_round_robin_scheduling 0
		.amdhsa_exception_fp_ieee_invalid_op 0
		.amdhsa_exception_fp_denorm_src 0
		.amdhsa_exception_fp_ieee_div_zero 0
		.amdhsa_exception_fp_ieee_overflow 0
		.amdhsa_exception_fp_ieee_underflow 0
		.amdhsa_exception_fp_ieee_inexact 0
		.amdhsa_exception_int_div_zero 0
	.end_amdhsa_kernel
	.section	.text._ZL30rocblas_trmm_outofplace_kernelI19rocblas_complex_numIdELi32ELi2ELb0ELb0ELb1ELb1EPKS1_S2_S1_Ev17rocblas_diagonal_iiT6_lPT7_lllS7_lllPT8_llli,"axG",@progbits,_ZL30rocblas_trmm_outofplace_kernelI19rocblas_complex_numIdELi32ELi2ELb0ELb0ELb1ELb1EPKS1_S2_S1_Ev17rocblas_diagonal_iiT6_lPT7_lllS7_lllPT8_llli,comdat
.Lfunc_end128:
	.size	_ZL30rocblas_trmm_outofplace_kernelI19rocblas_complex_numIdELi32ELi2ELb0ELb0ELb1ELb1EPKS1_S2_S1_Ev17rocblas_diagonal_iiT6_lPT7_lllS7_lllPT8_llli, .Lfunc_end128-_ZL30rocblas_trmm_outofplace_kernelI19rocblas_complex_numIdELi32ELi2ELb0ELb0ELb1ELb1EPKS1_S2_S1_Ev17rocblas_diagonal_iiT6_lPT7_lllS7_lllPT8_llli
                                        ; -- End function
	.set _ZL30rocblas_trmm_outofplace_kernelI19rocblas_complex_numIdELi32ELi2ELb0ELb0ELb1ELb1EPKS1_S2_S1_Ev17rocblas_diagonal_iiT6_lPT7_lllS7_lllPT8_llli.num_vgpr, 98
	.set _ZL30rocblas_trmm_outofplace_kernelI19rocblas_complex_numIdELi32ELi2ELb0ELb0ELb1ELb1EPKS1_S2_S1_Ev17rocblas_diagonal_iiT6_lPT7_lllS7_lllPT8_llli.num_agpr, 0
	.set _ZL30rocblas_trmm_outofplace_kernelI19rocblas_complex_numIdELi32ELi2ELb0ELb0ELb1ELb1EPKS1_S2_S1_Ev17rocblas_diagonal_iiT6_lPT7_lllS7_lllPT8_llli.numbered_sgpr, 54
	.set _ZL30rocblas_trmm_outofplace_kernelI19rocblas_complex_numIdELi32ELi2ELb0ELb0ELb1ELb1EPKS1_S2_S1_Ev17rocblas_diagonal_iiT6_lPT7_lllS7_lllPT8_llli.num_named_barrier, 0
	.set _ZL30rocblas_trmm_outofplace_kernelI19rocblas_complex_numIdELi32ELi2ELb0ELb0ELb1ELb1EPKS1_S2_S1_Ev17rocblas_diagonal_iiT6_lPT7_lllS7_lllPT8_llli.private_seg_size, 0
	.set _ZL30rocblas_trmm_outofplace_kernelI19rocblas_complex_numIdELi32ELi2ELb0ELb0ELb1ELb1EPKS1_S2_S1_Ev17rocblas_diagonal_iiT6_lPT7_lllS7_lllPT8_llli.uses_vcc, 1
	.set _ZL30rocblas_trmm_outofplace_kernelI19rocblas_complex_numIdELi32ELi2ELb0ELb0ELb1ELb1EPKS1_S2_S1_Ev17rocblas_diagonal_iiT6_lPT7_lllS7_lllPT8_llli.uses_flat_scratch, 0
	.set _ZL30rocblas_trmm_outofplace_kernelI19rocblas_complex_numIdELi32ELi2ELb0ELb0ELb1ELb1EPKS1_S2_S1_Ev17rocblas_diagonal_iiT6_lPT7_lllS7_lllPT8_llli.has_dyn_sized_stack, 0
	.set _ZL30rocblas_trmm_outofplace_kernelI19rocblas_complex_numIdELi32ELi2ELb0ELb0ELb1ELb1EPKS1_S2_S1_Ev17rocblas_diagonal_iiT6_lPT7_lllS7_lllPT8_llli.has_recursion, 0
	.set _ZL30rocblas_trmm_outofplace_kernelI19rocblas_complex_numIdELi32ELi2ELb0ELb0ELb1ELb1EPKS1_S2_S1_Ev17rocblas_diagonal_iiT6_lPT7_lllS7_lllPT8_llli.has_indirect_call, 0
	.section	.AMDGPU.csdata,"",@progbits
; Kernel info:
; codeLenInByte = 8312
; TotalNumSgprs: 56
; NumVgprs: 98
; ScratchSize: 0
; MemoryBound: 0
; FloatMode: 240
; IeeeMode: 1
; LDSByteSize: 32768 bytes/workgroup (compile time only)
; SGPRBlocks: 0
; VGPRBlocks: 6
; NumSGPRsForWavesPerEU: 56
; NumVGPRsForWavesPerEU: 98
; NamedBarCnt: 0
; Occupancy: 9
; WaveLimiterHint : 0
; COMPUTE_PGM_RSRC2:SCRATCH_EN: 0
; COMPUTE_PGM_RSRC2:USER_SGPR: 2
; COMPUTE_PGM_RSRC2:TRAP_HANDLER: 0
; COMPUTE_PGM_RSRC2:TGID_X_EN: 1
; COMPUTE_PGM_RSRC2:TGID_Y_EN: 1
; COMPUTE_PGM_RSRC2:TGID_Z_EN: 1
; COMPUTE_PGM_RSRC2:TIDIG_COMP_CNT: 1
	.section	.text._ZL30rocblas_trmm_outofplace_kernelI19rocblas_complex_numIdELi32ELi2ELb0ELb0ELb1ELb1ES1_KS1_S1_Ev17rocblas_diagonal_iiT6_lPT7_lllS6_lllPT8_llli,"axG",@progbits,_ZL30rocblas_trmm_outofplace_kernelI19rocblas_complex_numIdELi32ELi2ELb0ELb0ELb1ELb1ES1_KS1_S1_Ev17rocblas_diagonal_iiT6_lPT7_lllS6_lllPT8_llli,comdat
	.globl	_ZL30rocblas_trmm_outofplace_kernelI19rocblas_complex_numIdELi32ELi2ELb0ELb0ELb1ELb1ES1_KS1_S1_Ev17rocblas_diagonal_iiT6_lPT7_lllS6_lllPT8_llli ; -- Begin function _ZL30rocblas_trmm_outofplace_kernelI19rocblas_complex_numIdELi32ELi2ELb0ELb0ELb1ELb1ES1_KS1_S1_Ev17rocblas_diagonal_iiT6_lPT7_lllS6_lllPT8_llli
	.p2align	8
	.type	_ZL30rocblas_trmm_outofplace_kernelI19rocblas_complex_numIdELi32ELi2ELb0ELb0ELb1ELb1ES1_KS1_S1_Ev17rocblas_diagonal_iiT6_lPT7_lllS6_lllPT8_llli,@function
_ZL30rocblas_trmm_outofplace_kernelI19rocblas_complex_numIdELi32ELi2ELb0ELb0ELb1ELb1ES1_KS1_S1_Ev17rocblas_diagonal_iiT6_lPT7_lllS6_lllPT8_llli: ; @_ZL30rocblas_trmm_outofplace_kernelI19rocblas_complex_numIdELi32ELi2ELb0ELb0ELb1ELb1ES1_KS1_S1_Ev17rocblas_diagonal_iiT6_lPT7_lllS6_lllPT8_llli
; %bb.0:
	s_load_b32 s33, s[0:1], 0x88
	s_bfe_u32 s2, ttmp6, 0x40014
	s_lshr_b32 s3, ttmp7, 16
	s_add_co_i32 s2, s2, 1
	s_bfe_u32 s5, ttmp6, 0x40008
	s_mul_i32 s4, s3, s2
	s_getreg_b32 s2, hwreg(HW_REG_IB_STS2, 6, 4)
	s_add_co_i32 s5, s5, s4
	s_cmp_eq_u32 s2, 0
	s_cselect_b32 s34, s3, s5
	s_wait_kmcnt 0x0
	s_cmp_ge_u32 s34, s33
	s_cbranch_scc1 .LBB129_66
; %bb.1:
	s_load_b128 s[28:31], s[0:1], 0x10
	s_wait_kmcnt 0x0
	v_cmp_eq_f64_e64 s3, s[28:29], 0
	v_cmp_eq_f64_e64 s4, s[30:31], 0
	s_and_b32 s3, s3, s4
	s_delay_alu instid0(SALU_CYCLE_1)
	s_and_b32 vcc_lo, exec_lo, s3
	s_cbranch_vccnz .LBB129_66
; %bb.2:
	s_clause 0x1
	s_load_b96 s[36:38], s[0:1], 0x0
	s_load_b512 s[4:19], s[0:1], 0x28
	s_bfe_u32 s39, ttmp6, 0x4000c
	s_bfe_u32 s41, ttmp6, 0x40010
	s_and_b32 s40, ttmp7, 0xffff
	s_add_co_i32 s39, s39, 1
	s_add_co_i32 s41, s41, 1
	s_and_b32 s3, ttmp6, 15
	s_bfe_u32 s42, ttmp6, 0x40004
	s_mul_i32 s39, ttmp9, s39
	s_mul_i32 s41, s40, s41
	v_and_b32_e32 v20, 0x3ff, v0
	v_bfe_u32 v0, v0, 10, 10
	v_mov_b32_e32 v2, 0
	s_add_co_i32 s3, s3, s39
	s_add_co_i32 s42, s42, s41
	s_load_b256 s[20:27], s[0:1], 0x68
	s_delay_alu instid0(VALU_DEP_1)
	v_dual_mov_b32 v21, v2 :: v_dual_lshlrev_b32 v82, 9, v0
	v_mov_b32_e32 v1, v2
	s_wait_kmcnt 0x0
	s_add_co_i32 s43, s38, -1
	v_dual_lshlrev_b32 v3, 4, v20 :: v_dual_mov_b32 v5, v2
	s_ashr_i32 s44, s43, 31
	v_mul_u64_e32 v[6:7], s[16:17], v[0:1]
	s_lshr_b32 s44, s44, 27
	v_mul_u64_e32 v[8:9], s[8:9], v[20:21]
	s_add_co_i32 s43, s43, s44
	v_or_b32_e32 v83, 0x4000, v3
	s_ashr_i32 s39, s43, 5
	s_cmp_eq_u32 s2, 0
	v_add_nc_u32_e32 v84, v82, v3
	s_cselect_b32 s2, ttmp9, s3
	s_cselect_b32 s44, s40, s42
	v_lshl_add_u32 v22, s2, 5, v20
	v_lshlrev_b32_e32 v4, 4, v0
	s_cmp_le_i32 s44, s39
	s_mov_b32 s2, s37
	s_cselect_b32 s45, -1, 0
	v_ashrrev_i32_e32 v23, 31, v22
	v_add_nc_u64_e32 v[4:5], 0x100, v[4:5]
	s_cmp_eq_u32 s36, 0x84
	v_add_nc_u32_e32 v3, 0x100, v3
	s_cselect_b32 s46, -1, 0
	s_ashr_i32 s3, s37, 31
	v_add_nc_u32_e32 v28, 16, v22
	v_add_nc_u32_e32 v85, v83, v82
	v_mul_u64_e32 v[24:25], s[16:17], v[4:5]
	v_sub_nc_u64_e32 v[4:5], s[2:3], v[22:23]
	s_lshl_b64 s[2:3], s[6:7], 4
	s_lshl_b64 s[6:7], s[22:23], 4
	s_add_nc_u64 s[4:5], s[4:5], s[2:3]
	s_add_nc_u64 s[20:21], s[20:21], s[6:7]
	v_mad_nc_u64_u32 v[26:27], s8, v3, s[4:5]
	s_lshl_b64 s[6:7], s[14:15], 4
	s_add_nc_u64 s[22:23], s[0:1], 0x90
	s_add_nc_u64 s[6:7], s[12:13], s[6:7]
	v_cmp_gt_i64_e64 s0, 1, v[4:5]
	v_cmp_gt_i64_e64 s1, 17, v[4:5]
	v_lshl_add_u64 v[4:5], v[22:23], 4, s[6:7]
	v_lshlrev_b64_e32 v[30:31], 4, v[6:7]
	v_cmp_gt_i32_e64 s2, s37, v22
	v_lshl_add_u32 v86, s44, 5, v0
	v_lshl_add_u64 v[34:35], v[8:9], 4, s[4:5]
	v_mad_u32 v27, s9, v3, v27
	v_add_nc_u64_e32 v[32:33], 0x100, v[4:5]
	v_mov_b32_e32 v3, 0x3ff00000
	v_cmp_gt_i32_e64 s3, s37, v28
	v_ashrrev_i32_e32 v29, 31, v28
	s_ashr_i32 s41, s38, 31
	s_mov_b32 s40, s38
	s_mov_b32 s35, 0
	s_lshl_b64 s[42:43], s[8:9], 9
	s_lshl_b64 s[16:17], s[16:17], 9
	s_add_nc_u64 s[12:13], s[40:41], -16
	s_lshl_b64 s[14:15], s[18:19], 4
	s_lshl_b64 s[10:11], s[10:11], 4
	s_branch .LBB129_4
.LBB129_3:                              ;   in Loop: Header=BB129_4 Depth=1
	s_add_co_i32 s34, s34, 0x10000
	s_delay_alu instid0(SALU_CYCLE_1)
	s_cmp_ge_u32 s34, s33
	s_cbranch_scc1 .LBB129_66
.LBB129_4:                              ; =>This Loop Header: Depth=1
                                        ;     Child Loop BB129_7 Depth 2
                                        ;       Child Loop BB129_10 Depth 3
	s_and_not1_b32 vcc_lo, exec_lo, s45
	s_cbranch_vccnz .LBB129_3
; %bb.5:                                ;   in Loop: Header=BB129_4 Depth=1
	s_load_b32 s47, s[22:23], 0x4
	v_mad_nc_u64_u32 v[36:37], s14, s34, v[32:33]
	v_mad_nc_u64_u32 v[38:39], s10, s34, v[34:35]
	v_mad_nc_u64_u32 v[40:41], s10, s34, v[26:27]
	s_mul_i32 s6, s11, s34
	s_mul_u64 s[4:5], s[26:27], s[34:35]
	v_mov_b32_e32 v42, v86
	s_lshl_b64 s[4:5], s[4:5], 4
	s_mov_b32 s49, s44
	s_add_nc_u64 s[18:19], s[20:21], s[4:5]
	s_delay_alu instid0(VALU_DEP_4) | instskip(NEXT) | instid1(VALU_DEP_3)
	v_mad_u32 v37, s15, s34, v37
	v_dual_add_nc_u32 v39, s6, v39 :: v_dual_add_nc_u32 v41, s6, v41
	s_wait_kmcnt 0x0
	s_lshl_b32 s48, s47, 5
	s_branch .LBB129_7
.LBB129_6:                              ;   in Loop: Header=BB129_7 Depth=2
	s_wait_xcnt 0x0
	s_or_b32 exec_lo, exec_lo, s4
	v_add_nc_u32_e32 v42, s48, v42
	s_add_co_i32 s49, s47, s49
	s_delay_alu instid0(SALU_CYCLE_1)
	s_cmp_gt_i32 s49, s39
	s_cbranch_scc1 .LBB129_3
.LBB129_7:                              ;   Parent Loop BB129_4 Depth=1
                                        ; =>  This Loop Header: Depth=2
                                        ;       Child Loop BB129_10 Depth 3
	s_lshl_b32 s50, s49, 5
	v_mov_b64_e32 v[62:63], 0
	v_add_nc_u32_e32 v44, s50, v0
	v_mov_b64_e32 v[64:65], 0
	v_mov_b64_e32 v[18:19], 0
	;; [unrolled: 1-line block ×7, first 2 shown]
	v_ashrrev_i32_e32 v45, 31, v44
	s_cmp_lt_i32 s49, 0
	s_cbranch_scc1 .LBB129_58
; %bb.8:                                ;   in Loop: Header=BB129_7 Depth=2
	v_sub_nc_u64_e32 v[4:5], 0, v[20:21]
	v_ashrrev_i32_e32 v43, 31, v42
	v_add_nc_u64_e32 v[46:47], 16, v[44:45]
	v_mov_b64_e32 v[70:71], 0
	v_mov_b64_e32 v[48:49], v[40:41]
	;; [unrolled: 1-line block ×4, first 2 shown]
	v_add_nc_u64_e32 v[50:51], v[4:5], v[42:43]
	v_mov_b64_e32 v[66:67], 0
	v_mov_b64_e32 v[16:17], 0
	v_lshlrev_b64_e32 v[52:53], 4, v[42:43]
	v_cmp_le_i64_e64 s4, s[40:41], v[46:47]
	v_mov_b64_e32 v[18:19], 0
	v_mov_b64_e32 v[64:65], 0
	v_add_nc_u64_e32 v[54:55], 16, v[50:51]
	v_add_nc_u64_e32 v[56:57], -16, v[50:51]
	v_mov_b64_e32 v[62:63], 0
	v_mov_b64_e32 v[58:59], v[38:39]
	;; [unrolled: 1-line block ×3, first 2 shown]
	s_mov_b64 s[36:37], 0
	v_cmp_le_i32_e32 vcc_lo, s38, v44
	s_branch .LBB129_10
.LBB129_9:                              ;   in Loop: Header=BB129_10 Depth=3
	s_or_b32 exec_lo, exec_lo, s5
	s_wait_dscnt 0x0
	s_barrier_signal -1
	s_barrier_wait -1
	ds_load_b128 v[74:77], v82
	ds_load_b128 v[12:15], v82 offset:16
	ds_load_b128 v[8:11], v82 offset:32
	;; [unrolled: 1-line block ×3, first 2 shown]
	ds_load_b128 v[88:91], v83
	v_add_nc_u64_e32 v[60:61], s[16:17], v[60:61]
	v_add_nc_u64_e32 v[58:59], s[42:43], v[58:59]
	;; [unrolled: 1-line block ×3, first 2 shown]
	s_add_nc_u64 s[36:37], s[36:37], 32
	s_delay_alu instid0(SALU_CYCLE_1) | instskip(NEXT) | instid1(SALU_CYCLE_1)
	s_sub_co_i32 s5, s36, 32
	s_cmp_ge_i32 s5, s50
	s_wait_dscnt 0x0
	v_mul_f64_e32 v[78:79], v[76:77], v[90:91]
	v_mul_f64_e32 v[80:81], v[74:75], v[90:91]
	s_delay_alu instid0(VALU_DEP_2) | instskip(NEXT) | instid1(VALU_DEP_2)
	v_fma_f64 v[78:79], v[74:75], v[88:89], -v[78:79]
	v_fmac_f64_e32 v[80:81], v[76:77], v[88:89]
	s_delay_alu instid0(VALU_DEP_2) | instskip(NEXT) | instid1(VALU_DEP_2)
	v_add_f64_e32 v[78:79], v[62:63], v[78:79]
	v_add_f64_e32 v[80:81], v[80:81], v[64:65]
	ds_load_b128 v[62:65], v83 offset:256
	s_wait_dscnt 0x0
	v_mul_f64_e32 v[92:93], v[76:77], v[64:65]
	v_mul_f64_e32 v[94:95], v[74:75], v[64:65]
	s_delay_alu instid0(VALU_DEP_2) | instskip(NEXT) | instid1(VALU_DEP_2)
	v_fma_f64 v[92:93], v[74:75], v[62:63], -v[92:93]
	v_fmac_f64_e32 v[94:95], v[76:77], v[62:63]
	s_delay_alu instid0(VALU_DEP_2) | instskip(NEXT) | instid1(VALU_DEP_2)
	v_add_f64_e32 v[74:75], v[18:19], v[92:93]
	v_add_f64_e32 v[76:77], v[94:95], v[16:17]
	ds_load_b128 v[16:19], v82 offset:8192
	s_wait_dscnt 0x0
	v_mul_f64_e32 v[92:93], v[18:19], v[90:91]
	v_mul_f64_e32 v[90:91], v[16:17], v[90:91]
	s_delay_alu instid0(VALU_DEP_2) | instskip(NEXT) | instid1(VALU_DEP_2)
	v_fma_f64 v[92:93], v[16:17], v[88:89], -v[92:93]
	v_fmac_f64_e32 v[90:91], v[18:19], v[88:89]
	v_mul_f64_e32 v[88:89], v[18:19], v[64:65]
	s_delay_alu instid0(VALU_DEP_3) | instskip(NEXT) | instid1(VALU_DEP_3)
	v_add_f64_e32 v[66:67], v[66:67], v[92:93]
	v_add_f64_e32 v[68:69], v[90:91], v[68:69]
	s_delay_alu instid0(VALU_DEP_3) | instskip(SKIP_1) | instid1(VALU_DEP_1)
	v_fma_f64 v[88:89], v[16:17], v[62:63], -v[88:89]
	v_mul_f64_e32 v[16:17], v[16:17], v[64:65]
	v_fmac_f64_e32 v[16:17], v[18:19], v[62:63]
	s_delay_alu instid0(VALU_DEP_3) | instskip(NEXT) | instid1(VALU_DEP_2)
	v_add_f64_e32 v[62:63], v[72:73], v[88:89]
	v_add_f64_e32 v[64:65], v[16:17], v[70:71]
	ds_load_b128 v[16:19], v83 offset:512
	s_wait_dscnt 0x0
	v_mul_f64_e32 v[70:71], v[14:15], v[18:19]
	v_mul_f64_e32 v[72:73], v[12:13], v[18:19]
	s_delay_alu instid0(VALU_DEP_2) | instskip(NEXT) | instid1(VALU_DEP_2)
	v_fma_f64 v[70:71], v[12:13], v[16:17], -v[70:71]
	v_fmac_f64_e32 v[72:73], v[14:15], v[16:17]
	s_delay_alu instid0(VALU_DEP_2) | instskip(NEXT) | instid1(VALU_DEP_2)
	v_add_f64_e32 v[70:71], v[78:79], v[70:71]
	v_add_f64_e32 v[72:73], v[72:73], v[80:81]
	ds_load_b128 v[78:81], v83 offset:768
	s_wait_dscnt 0x0
	v_mul_f64_e32 v[88:89], v[14:15], v[80:81]
	v_mul_f64_e32 v[90:91], v[12:13], v[80:81]
	s_delay_alu instid0(VALU_DEP_2) | instskip(NEXT) | instid1(VALU_DEP_2)
	v_fma_f64 v[88:89], v[12:13], v[78:79], -v[88:89]
	v_fmac_f64_e32 v[90:91], v[14:15], v[78:79]
	s_delay_alu instid0(VALU_DEP_2) | instskip(NEXT) | instid1(VALU_DEP_2)
	;; [unrolled: 10-line block ×3, first 2 shown]
	v_add_f64_e32 v[16:17], v[66:67], v[88:89]
	v_add_f64_e32 v[18:19], v[18:19], v[68:69]
	v_mul_f64_e32 v[66:67], v[76:77], v[80:81]
	v_mul_f64_e32 v[68:69], v[74:75], v[80:81]
	s_delay_alu instid0(VALU_DEP_2) | instskip(NEXT) | instid1(VALU_DEP_2)
	v_fma_f64 v[66:67], v[74:75], v[78:79], -v[66:67]
	v_fmac_f64_e32 v[68:69], v[76:77], v[78:79]
	s_delay_alu instid0(VALU_DEP_2) | instskip(NEXT) | instid1(VALU_DEP_2)
	v_add_f64_e32 v[62:63], v[62:63], v[66:67]
	v_add_f64_e32 v[64:65], v[68:69], v[64:65]
	ds_load_b128 v[66:69], v83 offset:1024
	s_wait_dscnt 0x0
	v_mul_f64_e32 v[74:75], v[10:11], v[68:69]
	v_mul_f64_e32 v[76:77], v[8:9], v[68:69]
	s_delay_alu instid0(VALU_DEP_2) | instskip(NEXT) | instid1(VALU_DEP_2)
	v_fma_f64 v[74:75], v[8:9], v[66:67], -v[74:75]
	v_fmac_f64_e32 v[76:77], v[10:11], v[66:67]
	s_delay_alu instid0(VALU_DEP_2) | instskip(NEXT) | instid1(VALU_DEP_2)
	v_add_f64_e32 v[74:75], v[70:71], v[74:75]
	v_add_f64_e32 v[76:77], v[76:77], v[72:73]
	ds_load_b128 v[70:73], v83 offset:1280
	s_wait_dscnt 0x0
	v_mul_f64_e32 v[78:79], v[10:11], v[72:73]
	s_delay_alu instid0(VALU_DEP_1) | instskip(SKIP_1) | instid1(VALU_DEP_2)
	v_fma_f64 v[78:79], v[8:9], v[70:71], -v[78:79]
	v_mul_f64_e32 v[8:9], v[8:9], v[72:73]
	v_add_f64_e32 v[78:79], v[12:13], v[78:79]
	s_delay_alu instid0(VALU_DEP_2) | instskip(NEXT) | instid1(VALU_DEP_1)
	v_fmac_f64_e32 v[8:9], v[10:11], v[70:71]
	v_add_f64_e32 v[80:81], v[8:9], v[14:15]
	ds_load_b128 v[8:11], v82 offset:8224
	s_wait_dscnt 0x0
	v_mul_f64_e32 v[12:13], v[10:11], v[68:69]
	v_mul_f64_e32 v[14:15], v[8:9], v[68:69]
	s_delay_alu instid0(VALU_DEP_2) | instskip(NEXT) | instid1(VALU_DEP_2)
	v_fma_f64 v[12:13], v[8:9], v[66:67], -v[12:13]
	v_fmac_f64_e32 v[14:15], v[10:11], v[66:67]
	s_delay_alu instid0(VALU_DEP_2) | instskip(SKIP_1) | instid1(VALU_DEP_3)
	v_add_f64_e32 v[66:67], v[16:17], v[12:13]
	v_mul_f64_e32 v[12:13], v[10:11], v[72:73]
	v_add_f64_e32 v[68:69], v[14:15], v[18:19]
	s_delay_alu instid0(VALU_DEP_2) | instskip(SKIP_1) | instid1(VALU_DEP_2)
	v_fma_f64 v[12:13], v[8:9], v[70:71], -v[12:13]
	v_mul_f64_e32 v[8:9], v[8:9], v[72:73]
	v_add_f64_e32 v[62:63], v[62:63], v[12:13]
	s_delay_alu instid0(VALU_DEP_2)
	v_fmac_f64_e32 v[8:9], v[10:11], v[70:71]
	ds_load_b128 v[12:15], v83 offset:1536
	s_wait_dscnt 0x0
	v_mul_f64_e32 v[10:11], v[4:5], v[14:15]
	v_add_f64_e32 v[64:65], v[8:9], v[64:65]
	v_mul_f64_e32 v[8:9], v[6:7], v[14:15]
	s_delay_alu instid0(VALU_DEP_3) | instskip(NEXT) | instid1(VALU_DEP_2)
	v_fmac_f64_e32 v[10:11], v[6:7], v[12:13]
	v_fma_f64 v[8:9], v[4:5], v[12:13], -v[8:9]
	s_delay_alu instid0(VALU_DEP_2) | instskip(NEXT) | instid1(VALU_DEP_2)
	v_add_f64_e32 v[18:19], v[10:11], v[76:77]
	v_add_f64_e32 v[16:17], v[74:75], v[8:9]
	ds_load_b128 v[8:11], v83 offset:1792
	s_wait_dscnt 0x0
	v_mul_f64_e32 v[70:71], v[6:7], v[10:11]
	v_mul_f64_e32 v[72:73], v[4:5], v[10:11]
	s_delay_alu instid0(VALU_DEP_2) | instskip(NEXT) | instid1(VALU_DEP_2)
	v_fma_f64 v[70:71], v[4:5], v[8:9], -v[70:71]
	v_fmac_f64_e32 v[72:73], v[6:7], v[8:9]
	s_delay_alu instid0(VALU_DEP_2) | instskip(NEXT) | instid1(VALU_DEP_2)
	v_add_f64_e32 v[4:5], v[78:79], v[70:71]
	v_add_f64_e32 v[6:7], v[72:73], v[80:81]
	ds_load_b128 v[70:73], v82 offset:8240
	s_wait_dscnt 0x0
	v_mul_f64_e32 v[74:75], v[72:73], v[14:15]
	v_mul_f64_e32 v[14:15], v[70:71], v[14:15]
	s_delay_alu instid0(VALU_DEP_2) | instskip(NEXT) | instid1(VALU_DEP_2)
	v_fma_f64 v[74:75], v[70:71], v[12:13], -v[74:75]
	v_fmac_f64_e32 v[14:15], v[72:73], v[12:13]
	s_delay_alu instid0(VALU_DEP_2) | instskip(SKIP_2) | instid1(VALU_DEP_4)
	v_add_f64_e32 v[12:13], v[66:67], v[74:75]
	v_mul_f64_e32 v[66:67], v[72:73], v[10:11]
	v_mul_f64_e32 v[10:11], v[70:71], v[10:11]
	v_add_f64_e32 v[14:15], v[14:15], v[68:69]
	s_delay_alu instid0(VALU_DEP_3) | instskip(NEXT) | instid1(VALU_DEP_3)
	v_fma_f64 v[66:67], v[70:71], v[8:9], -v[66:67]
	v_fmac_f64_e32 v[10:11], v[72:73], v[8:9]
	s_delay_alu instid0(VALU_DEP_2) | instskip(NEXT) | instid1(VALU_DEP_2)
	v_add_f64_e32 v[8:9], v[62:63], v[66:67]
	v_add_f64_e32 v[10:11], v[10:11], v[64:65]
	ds_load_b128 v[62:65], v82 offset:64
	ds_load_b128 v[66:69], v83 offset:2048
	s_wait_dscnt 0x0
	v_mul_f64_e32 v[70:71], v[64:65], v[68:69]
	v_mul_f64_e32 v[72:73], v[62:63], v[68:69]
	s_delay_alu instid0(VALU_DEP_2) | instskip(NEXT) | instid1(VALU_DEP_2)
	v_fma_f64 v[70:71], v[62:63], v[66:67], -v[70:71]
	v_fmac_f64_e32 v[72:73], v[64:65], v[66:67]
	s_delay_alu instid0(VALU_DEP_2) | instskip(NEXT) | instid1(VALU_DEP_2)
	v_add_f64_e32 v[16:17], v[16:17], v[70:71]
	v_add_f64_e32 v[18:19], v[72:73], v[18:19]
	ds_load_b128 v[70:73], v83 offset:2304
	s_wait_dscnt 0x0
	v_mul_f64_e32 v[74:75], v[64:65], v[72:73]
	s_delay_alu instid0(VALU_DEP_1) | instskip(SKIP_1) | instid1(VALU_DEP_2)
	v_fma_f64 v[74:75], v[62:63], v[70:71], -v[74:75]
	v_mul_f64_e32 v[62:63], v[62:63], v[72:73]
	v_add_f64_e32 v[74:75], v[4:5], v[74:75]
	s_delay_alu instid0(VALU_DEP_2) | instskip(NEXT) | instid1(VALU_DEP_1)
	v_fmac_f64_e32 v[62:63], v[64:65], v[70:71]
	v_add_f64_e32 v[76:77], v[62:63], v[6:7]
	ds_load_b128 v[4:7], v82 offset:8256
	s_wait_dscnt 0x0
	v_mul_f64_e32 v[62:63], v[6:7], v[68:69]
	v_mul_f64_e32 v[64:65], v[4:5], v[68:69]
	s_delay_alu instid0(VALU_DEP_2) | instskip(NEXT) | instid1(VALU_DEP_2)
	v_fma_f64 v[62:63], v[4:5], v[66:67], -v[62:63]
	v_fmac_f64_e32 v[64:65], v[6:7], v[66:67]
	s_delay_alu instid0(VALU_DEP_2) | instskip(SKIP_1) | instid1(VALU_DEP_3)
	v_add_f64_e32 v[12:13], v[12:13], v[62:63]
	v_mul_f64_e32 v[62:63], v[6:7], v[72:73]
	v_add_f64_e32 v[14:15], v[64:65], v[14:15]
	s_delay_alu instid0(VALU_DEP_2) | instskip(SKIP_1) | instid1(VALU_DEP_2)
	v_fma_f64 v[62:63], v[4:5], v[70:71], -v[62:63]
	v_mul_f64_e32 v[4:5], v[4:5], v[72:73]
	v_add_f64_e32 v[8:9], v[8:9], v[62:63]
	s_delay_alu instid0(VALU_DEP_2) | instskip(NEXT) | instid1(VALU_DEP_1)
	v_fmac_f64_e32 v[4:5], v[6:7], v[70:71]
	v_add_f64_e32 v[10:11], v[4:5], v[10:11]
	ds_load_b128 v[4:7], v82 offset:80
	ds_load_b128 v[62:65], v83 offset:2560
	s_wait_dscnt 0x0
	v_mul_f64_e32 v[66:67], v[6:7], v[64:65]
	v_mul_f64_e32 v[68:69], v[4:5], v[64:65]
	s_delay_alu instid0(VALU_DEP_2) | instskip(NEXT) | instid1(VALU_DEP_2)
	v_fma_f64 v[66:67], v[4:5], v[62:63], -v[66:67]
	v_fmac_f64_e32 v[68:69], v[6:7], v[62:63]
	s_delay_alu instid0(VALU_DEP_2) | instskip(NEXT) | instid1(VALU_DEP_2)
	v_add_f64_e32 v[16:17], v[16:17], v[66:67]
	v_add_f64_e32 v[18:19], v[68:69], v[18:19]
	ds_load_b128 v[66:69], v83 offset:2816
	s_wait_dscnt 0x0
	v_mul_f64_e32 v[70:71], v[6:7], v[68:69]
	v_mul_f64_e32 v[72:73], v[4:5], v[68:69]
	s_delay_alu instid0(VALU_DEP_2) | instskip(NEXT) | instid1(VALU_DEP_2)
	v_fma_f64 v[70:71], v[4:5], v[66:67], -v[70:71]
	v_fmac_f64_e32 v[72:73], v[6:7], v[66:67]
	s_delay_alu instid0(VALU_DEP_2) | instskip(NEXT) | instid1(VALU_DEP_2)
	v_add_f64_e32 v[4:5], v[74:75], v[70:71]
	v_add_f64_e32 v[6:7], v[72:73], v[76:77]
	ds_load_b128 v[70:73], v82 offset:8272
	s_wait_dscnt 0x0
	v_mul_f64_e32 v[74:75], v[72:73], v[64:65]
	v_mul_f64_e32 v[64:65], v[70:71], v[64:65]
	s_delay_alu instid0(VALU_DEP_2) | instskip(NEXT) | instid1(VALU_DEP_2)
	v_fma_f64 v[74:75], v[70:71], v[62:63], -v[74:75]
	v_fmac_f64_e32 v[64:65], v[72:73], v[62:63]
	v_mul_f64_e32 v[62:63], v[72:73], v[68:69]
	s_delay_alu instid0(VALU_DEP_3) | instskip(NEXT) | instid1(VALU_DEP_3)
	v_add_f64_e32 v[12:13], v[12:13], v[74:75]
	v_add_f64_e32 v[14:15], v[64:65], v[14:15]
	v_mul_f64_e32 v[64:65], v[70:71], v[68:69]
	s_delay_alu instid0(VALU_DEP_4) | instskip(NEXT) | instid1(VALU_DEP_2)
	v_fma_f64 v[62:63], v[70:71], v[66:67], -v[62:63]
	v_fmac_f64_e32 v[64:65], v[72:73], v[66:67]
	s_delay_alu instid0(VALU_DEP_2) | instskip(NEXT) | instid1(VALU_DEP_2)
	v_add_f64_e32 v[70:71], v[8:9], v[62:63]
	v_add_f64_e32 v[72:73], v[64:65], v[10:11]
	ds_load_b128 v[8:11], v82 offset:96
	ds_load_b128 v[62:65], v83 offset:3072
	s_wait_dscnt 0x0
	v_mul_f64_e32 v[66:67], v[10:11], v[64:65]
	v_mul_f64_e32 v[68:69], v[8:9], v[64:65]
	s_delay_alu instid0(VALU_DEP_2) | instskip(NEXT) | instid1(VALU_DEP_2)
	v_fma_f64 v[66:67], v[8:9], v[62:63], -v[66:67]
	v_fmac_f64_e32 v[68:69], v[10:11], v[62:63]
	s_delay_alu instid0(VALU_DEP_2) | instskip(NEXT) | instid1(VALU_DEP_2)
	v_add_f64_e32 v[16:17], v[16:17], v[66:67]
	v_add_f64_e32 v[18:19], v[68:69], v[18:19]
	ds_load_b128 v[66:69], v83 offset:3328
	s_wait_dscnt 0x0
	v_mul_f64_e32 v[74:75], v[10:11], v[68:69]
	s_delay_alu instid0(VALU_DEP_1) | instskip(SKIP_1) | instid1(VALU_DEP_2)
	v_fma_f64 v[74:75], v[8:9], v[66:67], -v[74:75]
	v_mul_f64_e32 v[8:9], v[8:9], v[68:69]
	v_add_f64_e32 v[74:75], v[4:5], v[74:75]
	s_delay_alu instid0(VALU_DEP_2) | instskip(NEXT) | instid1(VALU_DEP_1)
	v_fmac_f64_e32 v[8:9], v[10:11], v[66:67]
	v_add_f64_e32 v[76:77], v[8:9], v[6:7]
	ds_load_b128 v[4:7], v82 offset:8288
	s_wait_dscnt 0x0
	v_mul_f64_e32 v[8:9], v[6:7], v[64:65]
	v_mul_f64_e32 v[10:11], v[4:5], v[64:65]
	s_delay_alu instid0(VALU_DEP_2) | instskip(NEXT) | instid1(VALU_DEP_2)
	v_fma_f64 v[8:9], v[4:5], v[62:63], -v[8:9]
	v_fmac_f64_e32 v[10:11], v[6:7], v[62:63]
	s_delay_alu instid0(VALU_DEP_2) | instskip(SKIP_1) | instid1(VALU_DEP_3)
	v_add_f64_e32 v[12:13], v[12:13], v[8:9]
	v_mul_f64_e32 v[8:9], v[6:7], v[68:69]
	v_add_f64_e32 v[14:15], v[10:11], v[14:15]
	s_delay_alu instid0(VALU_DEP_2) | instskip(SKIP_1) | instid1(VALU_DEP_2)
	v_fma_f64 v[8:9], v[4:5], v[66:67], -v[8:9]
	v_mul_f64_e32 v[4:5], v[4:5], v[68:69]
	v_add_f64_e32 v[8:9], v[70:71], v[8:9]
	s_delay_alu instid0(VALU_DEP_2) | instskip(NEXT) | instid1(VALU_DEP_1)
	v_fmac_f64_e32 v[4:5], v[6:7], v[66:67]
	v_add_f64_e32 v[10:11], v[4:5], v[72:73]
	ds_load_b128 v[4:7], v82 offset:112
	ds_load_b128 v[62:65], v83 offset:3584
	s_wait_dscnt 0x0
	v_mul_f64_e32 v[66:67], v[6:7], v[64:65]
	v_mul_f64_e32 v[68:69], v[4:5], v[64:65]
	s_delay_alu instid0(VALU_DEP_2) | instskip(NEXT) | instid1(VALU_DEP_2)
	v_fma_f64 v[66:67], v[4:5], v[62:63], -v[66:67]
	v_fmac_f64_e32 v[68:69], v[6:7], v[62:63]
	s_delay_alu instid0(VALU_DEP_2) | instskip(NEXT) | instid1(VALU_DEP_2)
	v_add_f64_e32 v[16:17], v[16:17], v[66:67]
	v_add_f64_e32 v[18:19], v[68:69], v[18:19]
	ds_load_b128 v[66:69], v83 offset:3840
	s_wait_dscnt 0x0
	v_mul_f64_e32 v[70:71], v[6:7], v[68:69]
	v_mul_f64_e32 v[72:73], v[4:5], v[68:69]
	s_delay_alu instid0(VALU_DEP_2) | instskip(NEXT) | instid1(VALU_DEP_2)
	v_fma_f64 v[70:71], v[4:5], v[66:67], -v[70:71]
	v_fmac_f64_e32 v[72:73], v[6:7], v[66:67]
	s_delay_alu instid0(VALU_DEP_2) | instskip(NEXT) | instid1(VALU_DEP_2)
	v_add_f64_e32 v[4:5], v[74:75], v[70:71]
	v_add_f64_e32 v[6:7], v[72:73], v[76:77]
	ds_load_b128 v[70:73], v82 offset:8304
	s_wait_dscnt 0x0
	v_mul_f64_e32 v[74:75], v[72:73], v[64:65]
	v_mul_f64_e32 v[64:65], v[70:71], v[64:65]
	s_delay_alu instid0(VALU_DEP_2) | instskip(NEXT) | instid1(VALU_DEP_2)
	v_fma_f64 v[74:75], v[70:71], v[62:63], -v[74:75]
	v_fmac_f64_e32 v[64:65], v[72:73], v[62:63]
	v_mul_f64_e32 v[62:63], v[72:73], v[68:69]
	s_delay_alu instid0(VALU_DEP_3) | instskip(NEXT) | instid1(VALU_DEP_3)
	v_add_f64_e32 v[12:13], v[12:13], v[74:75]
	v_add_f64_e32 v[14:15], v[64:65], v[14:15]
	v_mul_f64_e32 v[64:65], v[70:71], v[68:69]
	s_delay_alu instid0(VALU_DEP_4) | instskip(NEXT) | instid1(VALU_DEP_2)
	v_fma_f64 v[62:63], v[70:71], v[66:67], -v[62:63]
	v_fmac_f64_e32 v[64:65], v[72:73], v[66:67]
	s_delay_alu instid0(VALU_DEP_2) | instskip(NEXT) | instid1(VALU_DEP_2)
	v_add_f64_e32 v[70:71], v[8:9], v[62:63]
	v_add_f64_e32 v[72:73], v[64:65], v[10:11]
	ds_load_b128 v[8:11], v82 offset:128
	ds_load_b128 v[62:65], v83 offset:4096
	s_wait_dscnt 0x0
	v_mul_f64_e32 v[66:67], v[10:11], v[64:65]
	v_mul_f64_e32 v[68:69], v[8:9], v[64:65]
	s_delay_alu instid0(VALU_DEP_2) | instskip(NEXT) | instid1(VALU_DEP_2)
	v_fma_f64 v[66:67], v[8:9], v[62:63], -v[66:67]
	v_fmac_f64_e32 v[68:69], v[10:11], v[62:63]
	s_delay_alu instid0(VALU_DEP_2) | instskip(NEXT) | instid1(VALU_DEP_2)
	v_add_f64_e32 v[16:17], v[16:17], v[66:67]
	v_add_f64_e32 v[18:19], v[68:69], v[18:19]
	ds_load_b128 v[66:69], v83 offset:4352
	s_wait_dscnt 0x0
	v_mul_f64_e32 v[74:75], v[10:11], v[68:69]
	s_delay_alu instid0(VALU_DEP_1) | instskip(SKIP_1) | instid1(VALU_DEP_2)
	v_fma_f64 v[74:75], v[8:9], v[66:67], -v[74:75]
	v_mul_f64_e32 v[8:9], v[8:9], v[68:69]
	v_add_f64_e32 v[74:75], v[4:5], v[74:75]
	s_delay_alu instid0(VALU_DEP_2) | instskip(NEXT) | instid1(VALU_DEP_1)
	v_fmac_f64_e32 v[8:9], v[10:11], v[66:67]
	v_add_f64_e32 v[76:77], v[8:9], v[6:7]
	ds_load_b128 v[4:7], v82 offset:8320
	s_wait_dscnt 0x0
	v_mul_f64_e32 v[8:9], v[6:7], v[64:65]
	v_mul_f64_e32 v[10:11], v[4:5], v[64:65]
	s_delay_alu instid0(VALU_DEP_2) | instskip(NEXT) | instid1(VALU_DEP_2)
	v_fma_f64 v[8:9], v[4:5], v[62:63], -v[8:9]
	v_fmac_f64_e32 v[10:11], v[6:7], v[62:63]
	s_delay_alu instid0(VALU_DEP_2) | instskip(SKIP_1) | instid1(VALU_DEP_3)
	v_add_f64_e32 v[12:13], v[12:13], v[8:9]
	v_mul_f64_e32 v[8:9], v[6:7], v[68:69]
	v_add_f64_e32 v[14:15], v[10:11], v[14:15]
	s_delay_alu instid0(VALU_DEP_2) | instskip(SKIP_1) | instid1(VALU_DEP_2)
	v_fma_f64 v[8:9], v[4:5], v[66:67], -v[8:9]
	v_mul_f64_e32 v[4:5], v[4:5], v[68:69]
	v_add_f64_e32 v[8:9], v[70:71], v[8:9]
	s_delay_alu instid0(VALU_DEP_2) | instskip(NEXT) | instid1(VALU_DEP_1)
	v_fmac_f64_e32 v[4:5], v[6:7], v[66:67]
	v_add_f64_e32 v[10:11], v[4:5], v[72:73]
	ds_load_b128 v[4:7], v82 offset:144
	ds_load_b128 v[62:65], v83 offset:4608
	s_wait_dscnt 0x0
	v_mul_f64_e32 v[66:67], v[6:7], v[64:65]
	v_mul_f64_e32 v[68:69], v[4:5], v[64:65]
	s_delay_alu instid0(VALU_DEP_2) | instskip(NEXT) | instid1(VALU_DEP_2)
	v_fma_f64 v[66:67], v[4:5], v[62:63], -v[66:67]
	v_fmac_f64_e32 v[68:69], v[6:7], v[62:63]
	s_delay_alu instid0(VALU_DEP_2) | instskip(NEXT) | instid1(VALU_DEP_2)
	v_add_f64_e32 v[16:17], v[16:17], v[66:67]
	v_add_f64_e32 v[18:19], v[68:69], v[18:19]
	ds_load_b128 v[66:69], v83 offset:4864
	s_wait_dscnt 0x0
	v_mul_f64_e32 v[70:71], v[6:7], v[68:69]
	v_mul_f64_e32 v[72:73], v[4:5], v[68:69]
	s_delay_alu instid0(VALU_DEP_2) | instskip(NEXT) | instid1(VALU_DEP_2)
	v_fma_f64 v[70:71], v[4:5], v[66:67], -v[70:71]
	v_fmac_f64_e32 v[72:73], v[6:7], v[66:67]
	s_delay_alu instid0(VALU_DEP_2) | instskip(NEXT) | instid1(VALU_DEP_2)
	v_add_f64_e32 v[4:5], v[74:75], v[70:71]
	v_add_f64_e32 v[6:7], v[72:73], v[76:77]
	ds_load_b128 v[70:73], v82 offset:8336
	s_wait_dscnt 0x0
	v_mul_f64_e32 v[74:75], v[72:73], v[64:65]
	v_mul_f64_e32 v[64:65], v[70:71], v[64:65]
	s_delay_alu instid0(VALU_DEP_2) | instskip(NEXT) | instid1(VALU_DEP_2)
	v_fma_f64 v[74:75], v[70:71], v[62:63], -v[74:75]
	v_fmac_f64_e32 v[64:65], v[72:73], v[62:63]
	v_mul_f64_e32 v[62:63], v[72:73], v[68:69]
	s_delay_alu instid0(VALU_DEP_3) | instskip(NEXT) | instid1(VALU_DEP_3)
	v_add_f64_e32 v[12:13], v[12:13], v[74:75]
	v_add_f64_e32 v[14:15], v[64:65], v[14:15]
	v_mul_f64_e32 v[64:65], v[70:71], v[68:69]
	s_delay_alu instid0(VALU_DEP_4) | instskip(NEXT) | instid1(VALU_DEP_2)
	v_fma_f64 v[62:63], v[70:71], v[66:67], -v[62:63]
	v_fmac_f64_e32 v[64:65], v[72:73], v[66:67]
	s_delay_alu instid0(VALU_DEP_2) | instskip(NEXT) | instid1(VALU_DEP_2)
	v_add_f64_e32 v[70:71], v[8:9], v[62:63]
	v_add_f64_e32 v[72:73], v[64:65], v[10:11]
	ds_load_b128 v[8:11], v82 offset:160
	ds_load_b128 v[62:65], v83 offset:5120
	s_wait_dscnt 0x0
	v_mul_f64_e32 v[66:67], v[10:11], v[64:65]
	v_mul_f64_e32 v[68:69], v[8:9], v[64:65]
	s_delay_alu instid0(VALU_DEP_2) | instskip(NEXT) | instid1(VALU_DEP_2)
	v_fma_f64 v[66:67], v[8:9], v[62:63], -v[66:67]
	v_fmac_f64_e32 v[68:69], v[10:11], v[62:63]
	s_delay_alu instid0(VALU_DEP_2) | instskip(NEXT) | instid1(VALU_DEP_2)
	v_add_f64_e32 v[16:17], v[16:17], v[66:67]
	v_add_f64_e32 v[18:19], v[68:69], v[18:19]
	ds_load_b128 v[66:69], v83 offset:5376
	s_wait_dscnt 0x0
	v_mul_f64_e32 v[74:75], v[10:11], v[68:69]
	s_delay_alu instid0(VALU_DEP_1) | instskip(SKIP_1) | instid1(VALU_DEP_2)
	v_fma_f64 v[74:75], v[8:9], v[66:67], -v[74:75]
	v_mul_f64_e32 v[8:9], v[8:9], v[68:69]
	v_add_f64_e32 v[74:75], v[4:5], v[74:75]
	s_delay_alu instid0(VALU_DEP_2) | instskip(NEXT) | instid1(VALU_DEP_1)
	v_fmac_f64_e32 v[8:9], v[10:11], v[66:67]
	v_add_f64_e32 v[76:77], v[8:9], v[6:7]
	ds_load_b128 v[4:7], v82 offset:8352
	s_wait_dscnt 0x0
	v_mul_f64_e32 v[8:9], v[6:7], v[64:65]
	v_mul_f64_e32 v[10:11], v[4:5], v[64:65]
	s_delay_alu instid0(VALU_DEP_2) | instskip(NEXT) | instid1(VALU_DEP_2)
	v_fma_f64 v[8:9], v[4:5], v[62:63], -v[8:9]
	v_fmac_f64_e32 v[10:11], v[6:7], v[62:63]
	s_delay_alu instid0(VALU_DEP_2) | instskip(SKIP_1) | instid1(VALU_DEP_3)
	v_add_f64_e32 v[12:13], v[12:13], v[8:9]
	v_mul_f64_e32 v[8:9], v[6:7], v[68:69]
	v_add_f64_e32 v[14:15], v[10:11], v[14:15]
	s_delay_alu instid0(VALU_DEP_2) | instskip(SKIP_1) | instid1(VALU_DEP_2)
	v_fma_f64 v[8:9], v[4:5], v[66:67], -v[8:9]
	v_mul_f64_e32 v[4:5], v[4:5], v[68:69]
	v_add_f64_e32 v[8:9], v[70:71], v[8:9]
	s_delay_alu instid0(VALU_DEP_2) | instskip(NEXT) | instid1(VALU_DEP_1)
	v_fmac_f64_e32 v[4:5], v[6:7], v[66:67]
	v_add_f64_e32 v[10:11], v[4:5], v[72:73]
	ds_load_b128 v[4:7], v82 offset:176
	ds_load_b128 v[62:65], v83 offset:5632
	s_wait_dscnt 0x0
	v_mul_f64_e32 v[66:67], v[6:7], v[64:65]
	v_mul_f64_e32 v[68:69], v[4:5], v[64:65]
	s_delay_alu instid0(VALU_DEP_2) | instskip(NEXT) | instid1(VALU_DEP_2)
	v_fma_f64 v[66:67], v[4:5], v[62:63], -v[66:67]
	v_fmac_f64_e32 v[68:69], v[6:7], v[62:63]
	s_delay_alu instid0(VALU_DEP_2) | instskip(NEXT) | instid1(VALU_DEP_2)
	v_add_f64_e32 v[16:17], v[16:17], v[66:67]
	v_add_f64_e32 v[18:19], v[68:69], v[18:19]
	ds_load_b128 v[66:69], v83 offset:5888
	s_wait_dscnt 0x0
	v_mul_f64_e32 v[70:71], v[6:7], v[68:69]
	v_mul_f64_e32 v[72:73], v[4:5], v[68:69]
	s_delay_alu instid0(VALU_DEP_2) | instskip(NEXT) | instid1(VALU_DEP_2)
	v_fma_f64 v[70:71], v[4:5], v[66:67], -v[70:71]
	v_fmac_f64_e32 v[72:73], v[6:7], v[66:67]
	s_delay_alu instid0(VALU_DEP_2) | instskip(NEXT) | instid1(VALU_DEP_2)
	v_add_f64_e32 v[4:5], v[74:75], v[70:71]
	v_add_f64_e32 v[6:7], v[72:73], v[76:77]
	ds_load_b128 v[70:73], v82 offset:8368
	s_wait_dscnt 0x0
	v_mul_f64_e32 v[74:75], v[72:73], v[64:65]
	v_mul_f64_e32 v[64:65], v[70:71], v[64:65]
	s_delay_alu instid0(VALU_DEP_2) | instskip(NEXT) | instid1(VALU_DEP_2)
	v_fma_f64 v[74:75], v[70:71], v[62:63], -v[74:75]
	v_fmac_f64_e32 v[64:65], v[72:73], v[62:63]
	v_mul_f64_e32 v[62:63], v[72:73], v[68:69]
	s_delay_alu instid0(VALU_DEP_3) | instskip(NEXT) | instid1(VALU_DEP_3)
	v_add_f64_e32 v[12:13], v[12:13], v[74:75]
	v_add_f64_e32 v[14:15], v[64:65], v[14:15]
	v_mul_f64_e32 v[64:65], v[70:71], v[68:69]
	s_delay_alu instid0(VALU_DEP_4) | instskip(NEXT) | instid1(VALU_DEP_2)
	v_fma_f64 v[62:63], v[70:71], v[66:67], -v[62:63]
	v_fmac_f64_e32 v[64:65], v[72:73], v[66:67]
	s_delay_alu instid0(VALU_DEP_2) | instskip(NEXT) | instid1(VALU_DEP_2)
	v_add_f64_e32 v[70:71], v[8:9], v[62:63]
	v_add_f64_e32 v[72:73], v[64:65], v[10:11]
	ds_load_b128 v[8:11], v82 offset:192
	ds_load_b128 v[62:65], v83 offset:6144
	s_wait_dscnt 0x0
	v_mul_f64_e32 v[66:67], v[10:11], v[64:65]
	v_mul_f64_e32 v[68:69], v[8:9], v[64:65]
	s_delay_alu instid0(VALU_DEP_2) | instskip(NEXT) | instid1(VALU_DEP_2)
	v_fma_f64 v[66:67], v[8:9], v[62:63], -v[66:67]
	v_fmac_f64_e32 v[68:69], v[10:11], v[62:63]
	s_delay_alu instid0(VALU_DEP_2) | instskip(NEXT) | instid1(VALU_DEP_2)
	v_add_f64_e32 v[16:17], v[16:17], v[66:67]
	v_add_f64_e32 v[18:19], v[68:69], v[18:19]
	ds_load_b128 v[66:69], v83 offset:6400
	s_wait_dscnt 0x0
	v_mul_f64_e32 v[74:75], v[10:11], v[68:69]
	s_delay_alu instid0(VALU_DEP_1) | instskip(SKIP_1) | instid1(VALU_DEP_2)
	v_fma_f64 v[74:75], v[8:9], v[66:67], -v[74:75]
	v_mul_f64_e32 v[8:9], v[8:9], v[68:69]
	v_add_f64_e32 v[74:75], v[4:5], v[74:75]
	s_delay_alu instid0(VALU_DEP_2) | instskip(NEXT) | instid1(VALU_DEP_1)
	v_fmac_f64_e32 v[8:9], v[10:11], v[66:67]
	v_add_f64_e32 v[76:77], v[8:9], v[6:7]
	ds_load_b128 v[4:7], v82 offset:8384
	s_wait_dscnt 0x0
	v_mul_f64_e32 v[8:9], v[6:7], v[64:65]
	v_mul_f64_e32 v[10:11], v[4:5], v[64:65]
	s_delay_alu instid0(VALU_DEP_2) | instskip(NEXT) | instid1(VALU_DEP_2)
	v_fma_f64 v[8:9], v[4:5], v[62:63], -v[8:9]
	v_fmac_f64_e32 v[10:11], v[6:7], v[62:63]
	s_delay_alu instid0(VALU_DEP_2) | instskip(SKIP_1) | instid1(VALU_DEP_3)
	v_add_f64_e32 v[12:13], v[12:13], v[8:9]
	v_mul_f64_e32 v[8:9], v[6:7], v[68:69]
	v_add_f64_e32 v[14:15], v[10:11], v[14:15]
	s_delay_alu instid0(VALU_DEP_2) | instskip(SKIP_1) | instid1(VALU_DEP_2)
	v_fma_f64 v[8:9], v[4:5], v[66:67], -v[8:9]
	v_mul_f64_e32 v[4:5], v[4:5], v[68:69]
	v_add_f64_e32 v[8:9], v[70:71], v[8:9]
	s_delay_alu instid0(VALU_DEP_2) | instskip(NEXT) | instid1(VALU_DEP_1)
	v_fmac_f64_e32 v[4:5], v[6:7], v[66:67]
	v_add_f64_e32 v[10:11], v[4:5], v[72:73]
	ds_load_b128 v[4:7], v82 offset:208
	ds_load_b128 v[62:65], v83 offset:6656
	s_wait_dscnt 0x0
	v_mul_f64_e32 v[66:67], v[6:7], v[64:65]
	v_mul_f64_e32 v[68:69], v[4:5], v[64:65]
	s_delay_alu instid0(VALU_DEP_2) | instskip(NEXT) | instid1(VALU_DEP_2)
	v_fma_f64 v[66:67], v[4:5], v[62:63], -v[66:67]
	v_fmac_f64_e32 v[68:69], v[6:7], v[62:63]
	s_delay_alu instid0(VALU_DEP_2) | instskip(NEXT) | instid1(VALU_DEP_2)
	v_add_f64_e32 v[16:17], v[16:17], v[66:67]
	v_add_f64_e32 v[18:19], v[68:69], v[18:19]
	ds_load_b128 v[66:69], v83 offset:6912
	s_wait_dscnt 0x0
	v_mul_f64_e32 v[70:71], v[6:7], v[68:69]
	v_mul_f64_e32 v[72:73], v[4:5], v[68:69]
	s_delay_alu instid0(VALU_DEP_2) | instskip(NEXT) | instid1(VALU_DEP_2)
	v_fma_f64 v[70:71], v[4:5], v[66:67], -v[70:71]
	v_fmac_f64_e32 v[72:73], v[6:7], v[66:67]
	s_delay_alu instid0(VALU_DEP_2) | instskip(NEXT) | instid1(VALU_DEP_2)
	v_add_f64_e32 v[4:5], v[74:75], v[70:71]
	v_add_f64_e32 v[6:7], v[72:73], v[76:77]
	ds_load_b128 v[70:73], v82 offset:8400
	s_wait_dscnt 0x0
	v_mul_f64_e32 v[74:75], v[72:73], v[64:65]
	v_mul_f64_e32 v[64:65], v[70:71], v[64:65]
	s_delay_alu instid0(VALU_DEP_2) | instskip(NEXT) | instid1(VALU_DEP_2)
	v_fma_f64 v[74:75], v[70:71], v[62:63], -v[74:75]
	v_fmac_f64_e32 v[64:65], v[72:73], v[62:63]
	v_mul_f64_e32 v[62:63], v[72:73], v[68:69]
	s_delay_alu instid0(VALU_DEP_3) | instskip(NEXT) | instid1(VALU_DEP_3)
	v_add_f64_e32 v[12:13], v[12:13], v[74:75]
	v_add_f64_e32 v[14:15], v[64:65], v[14:15]
	v_mul_f64_e32 v[64:65], v[70:71], v[68:69]
	s_delay_alu instid0(VALU_DEP_4) | instskip(NEXT) | instid1(VALU_DEP_2)
	v_fma_f64 v[62:63], v[70:71], v[66:67], -v[62:63]
	v_fmac_f64_e32 v[64:65], v[72:73], v[66:67]
	s_delay_alu instid0(VALU_DEP_2) | instskip(NEXT) | instid1(VALU_DEP_2)
	v_add_f64_e32 v[70:71], v[8:9], v[62:63]
	v_add_f64_e32 v[72:73], v[64:65], v[10:11]
	ds_load_b128 v[8:11], v82 offset:224
	ds_load_b128 v[62:65], v83 offset:7168
	s_wait_dscnt 0x0
	v_mul_f64_e32 v[66:67], v[10:11], v[64:65]
	v_mul_f64_e32 v[68:69], v[8:9], v[64:65]
	s_delay_alu instid0(VALU_DEP_2) | instskip(NEXT) | instid1(VALU_DEP_2)
	v_fma_f64 v[66:67], v[8:9], v[62:63], -v[66:67]
	v_fmac_f64_e32 v[68:69], v[10:11], v[62:63]
	s_delay_alu instid0(VALU_DEP_2) | instskip(NEXT) | instid1(VALU_DEP_2)
	v_add_f64_e32 v[16:17], v[16:17], v[66:67]
	v_add_f64_e32 v[18:19], v[68:69], v[18:19]
	ds_load_b128 v[66:69], v83 offset:7424
	s_wait_dscnt 0x0
	v_mul_f64_e32 v[74:75], v[10:11], v[68:69]
	s_delay_alu instid0(VALU_DEP_1) | instskip(SKIP_1) | instid1(VALU_DEP_2)
	v_fma_f64 v[74:75], v[8:9], v[66:67], -v[74:75]
	v_mul_f64_e32 v[8:9], v[8:9], v[68:69]
	v_add_f64_e32 v[74:75], v[4:5], v[74:75]
	s_delay_alu instid0(VALU_DEP_2) | instskip(NEXT) | instid1(VALU_DEP_1)
	v_fmac_f64_e32 v[8:9], v[10:11], v[66:67]
	v_add_f64_e32 v[76:77], v[8:9], v[6:7]
	ds_load_b128 v[4:7], v82 offset:8416
	s_wait_dscnt 0x0
	v_mul_f64_e32 v[8:9], v[6:7], v[64:65]
	v_mul_f64_e32 v[10:11], v[4:5], v[64:65]
	s_delay_alu instid0(VALU_DEP_2) | instskip(NEXT) | instid1(VALU_DEP_2)
	v_fma_f64 v[8:9], v[4:5], v[62:63], -v[8:9]
	v_fmac_f64_e32 v[10:11], v[6:7], v[62:63]
	s_delay_alu instid0(VALU_DEP_2) | instskip(SKIP_1) | instid1(VALU_DEP_3)
	v_add_f64_e32 v[12:13], v[12:13], v[8:9]
	v_mul_f64_e32 v[8:9], v[6:7], v[68:69]
	v_add_f64_e32 v[14:15], v[10:11], v[14:15]
	s_delay_alu instid0(VALU_DEP_2) | instskip(SKIP_1) | instid1(VALU_DEP_2)
	v_fma_f64 v[8:9], v[4:5], v[66:67], -v[8:9]
	v_mul_f64_e32 v[4:5], v[4:5], v[68:69]
	v_add_f64_e32 v[8:9], v[70:71], v[8:9]
	s_delay_alu instid0(VALU_DEP_2) | instskip(NEXT) | instid1(VALU_DEP_1)
	v_fmac_f64_e32 v[4:5], v[6:7], v[66:67]
	v_add_f64_e32 v[10:11], v[4:5], v[72:73]
	ds_load_b128 v[4:7], v82 offset:240
	ds_load_b128 v[62:65], v83 offset:7680
	s_wait_dscnt 0x0
	v_mul_f64_e32 v[66:67], v[6:7], v[64:65]
	v_mul_f64_e32 v[68:69], v[4:5], v[64:65]
	s_delay_alu instid0(VALU_DEP_2) | instskip(NEXT) | instid1(VALU_DEP_2)
	v_fma_f64 v[66:67], v[4:5], v[62:63], -v[66:67]
	v_fmac_f64_e32 v[68:69], v[6:7], v[62:63]
	s_delay_alu instid0(VALU_DEP_2) | instskip(NEXT) | instid1(VALU_DEP_2)
	v_add_f64_e32 v[16:17], v[16:17], v[66:67]
	v_add_f64_e32 v[18:19], v[68:69], v[18:19]
	ds_load_b128 v[66:69], v83 offset:7936
	s_wait_dscnt 0x0
	v_mul_f64_e32 v[70:71], v[6:7], v[68:69]
	v_mul_f64_e32 v[72:73], v[4:5], v[68:69]
	s_delay_alu instid0(VALU_DEP_2) | instskip(NEXT) | instid1(VALU_DEP_2)
	v_fma_f64 v[70:71], v[4:5], v[66:67], -v[70:71]
	v_fmac_f64_e32 v[72:73], v[6:7], v[66:67]
	s_delay_alu instid0(VALU_DEP_2) | instskip(NEXT) | instid1(VALU_DEP_2)
	v_add_f64_e32 v[4:5], v[74:75], v[70:71]
	v_add_f64_e32 v[6:7], v[72:73], v[76:77]
	ds_load_b128 v[70:73], v82 offset:8432
	s_wait_dscnt 0x0
	v_mul_f64_e32 v[74:75], v[72:73], v[64:65]
	v_mul_f64_e32 v[64:65], v[70:71], v[64:65]
	s_delay_alu instid0(VALU_DEP_2) | instskip(NEXT) | instid1(VALU_DEP_2)
	v_fma_f64 v[74:75], v[70:71], v[62:63], -v[74:75]
	v_fmac_f64_e32 v[64:65], v[72:73], v[62:63]
	v_mul_f64_e32 v[62:63], v[72:73], v[68:69]
	s_delay_alu instid0(VALU_DEP_3) | instskip(NEXT) | instid1(VALU_DEP_3)
	v_add_f64_e32 v[12:13], v[12:13], v[74:75]
	v_add_f64_e32 v[14:15], v[64:65], v[14:15]
	v_mul_f64_e32 v[64:65], v[70:71], v[68:69]
	s_delay_alu instid0(VALU_DEP_4) | instskip(NEXT) | instid1(VALU_DEP_2)
	v_fma_f64 v[62:63], v[70:71], v[66:67], -v[62:63]
	v_fmac_f64_e32 v[64:65], v[72:73], v[66:67]
	s_delay_alu instid0(VALU_DEP_2) | instskip(NEXT) | instid1(VALU_DEP_2)
	v_add_f64_e32 v[70:71], v[8:9], v[62:63]
	v_add_f64_e32 v[72:73], v[64:65], v[10:11]
	ds_load_b128 v[8:11], v82 offset:256
	ds_load_b128 v[62:65], v83 offset:8192
	s_wait_dscnt 0x0
	v_mul_f64_e32 v[66:67], v[10:11], v[64:65]
	v_mul_f64_e32 v[68:69], v[8:9], v[64:65]
	s_delay_alu instid0(VALU_DEP_2) | instskip(NEXT) | instid1(VALU_DEP_2)
	v_fma_f64 v[66:67], v[8:9], v[62:63], -v[66:67]
	v_fmac_f64_e32 v[68:69], v[10:11], v[62:63]
	s_delay_alu instid0(VALU_DEP_2) | instskip(NEXT) | instid1(VALU_DEP_2)
	v_add_f64_e32 v[16:17], v[16:17], v[66:67]
	v_add_f64_e32 v[18:19], v[68:69], v[18:19]
	ds_load_b128 v[66:69], v83 offset:8448
	s_wait_dscnt 0x0
	v_mul_f64_e32 v[74:75], v[10:11], v[68:69]
	s_delay_alu instid0(VALU_DEP_1) | instskip(SKIP_1) | instid1(VALU_DEP_2)
	v_fma_f64 v[74:75], v[8:9], v[66:67], -v[74:75]
	v_mul_f64_e32 v[8:9], v[8:9], v[68:69]
	v_add_f64_e32 v[74:75], v[4:5], v[74:75]
	s_delay_alu instid0(VALU_DEP_2) | instskip(NEXT) | instid1(VALU_DEP_1)
	v_fmac_f64_e32 v[8:9], v[10:11], v[66:67]
	v_add_f64_e32 v[76:77], v[8:9], v[6:7]
	ds_load_b128 v[4:7], v82 offset:8448
	s_wait_dscnt 0x0
	v_mul_f64_e32 v[8:9], v[6:7], v[64:65]
	v_mul_f64_e32 v[10:11], v[4:5], v[64:65]
	s_delay_alu instid0(VALU_DEP_2) | instskip(NEXT) | instid1(VALU_DEP_2)
	v_fma_f64 v[8:9], v[4:5], v[62:63], -v[8:9]
	v_fmac_f64_e32 v[10:11], v[6:7], v[62:63]
	s_delay_alu instid0(VALU_DEP_2) | instskip(SKIP_1) | instid1(VALU_DEP_3)
	v_add_f64_e32 v[12:13], v[12:13], v[8:9]
	v_mul_f64_e32 v[8:9], v[6:7], v[68:69]
	v_add_f64_e32 v[14:15], v[10:11], v[14:15]
	s_delay_alu instid0(VALU_DEP_2) | instskip(SKIP_1) | instid1(VALU_DEP_2)
	v_fma_f64 v[8:9], v[4:5], v[66:67], -v[8:9]
	v_mul_f64_e32 v[4:5], v[4:5], v[68:69]
	v_add_f64_e32 v[8:9], v[70:71], v[8:9]
	s_delay_alu instid0(VALU_DEP_2) | instskip(NEXT) | instid1(VALU_DEP_1)
	v_fmac_f64_e32 v[4:5], v[6:7], v[66:67]
	v_add_f64_e32 v[10:11], v[4:5], v[72:73]
	ds_load_b128 v[4:7], v82 offset:272
	ds_load_b128 v[62:65], v83 offset:8704
	s_wait_dscnt 0x0
	v_mul_f64_e32 v[66:67], v[6:7], v[64:65]
	v_mul_f64_e32 v[68:69], v[4:5], v[64:65]
	s_delay_alu instid0(VALU_DEP_2) | instskip(NEXT) | instid1(VALU_DEP_2)
	v_fma_f64 v[66:67], v[4:5], v[62:63], -v[66:67]
	v_fmac_f64_e32 v[68:69], v[6:7], v[62:63]
	s_delay_alu instid0(VALU_DEP_2) | instskip(NEXT) | instid1(VALU_DEP_2)
	v_add_f64_e32 v[16:17], v[16:17], v[66:67]
	v_add_f64_e32 v[18:19], v[68:69], v[18:19]
	ds_load_b128 v[66:69], v83 offset:8960
	s_wait_dscnt 0x0
	v_mul_f64_e32 v[70:71], v[6:7], v[68:69]
	v_mul_f64_e32 v[72:73], v[4:5], v[68:69]
	s_delay_alu instid0(VALU_DEP_2) | instskip(NEXT) | instid1(VALU_DEP_2)
	v_fma_f64 v[70:71], v[4:5], v[66:67], -v[70:71]
	v_fmac_f64_e32 v[72:73], v[6:7], v[66:67]
	s_delay_alu instid0(VALU_DEP_2) | instskip(NEXT) | instid1(VALU_DEP_2)
	v_add_f64_e32 v[4:5], v[74:75], v[70:71]
	v_add_f64_e32 v[6:7], v[72:73], v[76:77]
	ds_load_b128 v[70:73], v82 offset:8464
	s_wait_dscnt 0x0
	v_mul_f64_e32 v[74:75], v[72:73], v[64:65]
	v_mul_f64_e32 v[64:65], v[70:71], v[64:65]
	s_delay_alu instid0(VALU_DEP_2) | instskip(NEXT) | instid1(VALU_DEP_2)
	v_fma_f64 v[74:75], v[70:71], v[62:63], -v[74:75]
	v_fmac_f64_e32 v[64:65], v[72:73], v[62:63]
	v_mul_f64_e32 v[62:63], v[72:73], v[68:69]
	s_delay_alu instid0(VALU_DEP_3) | instskip(NEXT) | instid1(VALU_DEP_3)
	v_add_f64_e32 v[12:13], v[12:13], v[74:75]
	v_add_f64_e32 v[14:15], v[64:65], v[14:15]
	v_mul_f64_e32 v[64:65], v[70:71], v[68:69]
	s_delay_alu instid0(VALU_DEP_4) | instskip(NEXT) | instid1(VALU_DEP_2)
	v_fma_f64 v[62:63], v[70:71], v[66:67], -v[62:63]
	v_fmac_f64_e32 v[64:65], v[72:73], v[66:67]
	s_delay_alu instid0(VALU_DEP_2) | instskip(NEXT) | instid1(VALU_DEP_2)
	v_add_f64_e32 v[70:71], v[8:9], v[62:63]
	v_add_f64_e32 v[72:73], v[64:65], v[10:11]
	ds_load_b128 v[8:11], v82 offset:288
	ds_load_b128 v[62:65], v83 offset:9216
	s_wait_dscnt 0x0
	v_mul_f64_e32 v[66:67], v[10:11], v[64:65]
	v_mul_f64_e32 v[68:69], v[8:9], v[64:65]
	s_delay_alu instid0(VALU_DEP_2) | instskip(NEXT) | instid1(VALU_DEP_2)
	v_fma_f64 v[66:67], v[8:9], v[62:63], -v[66:67]
	v_fmac_f64_e32 v[68:69], v[10:11], v[62:63]
	s_delay_alu instid0(VALU_DEP_2) | instskip(NEXT) | instid1(VALU_DEP_2)
	v_add_f64_e32 v[16:17], v[16:17], v[66:67]
	v_add_f64_e32 v[18:19], v[68:69], v[18:19]
	ds_load_b128 v[66:69], v83 offset:9472
	s_wait_dscnt 0x0
	v_mul_f64_e32 v[74:75], v[10:11], v[68:69]
	s_delay_alu instid0(VALU_DEP_1) | instskip(SKIP_1) | instid1(VALU_DEP_2)
	v_fma_f64 v[74:75], v[8:9], v[66:67], -v[74:75]
	v_mul_f64_e32 v[8:9], v[8:9], v[68:69]
	v_add_f64_e32 v[74:75], v[4:5], v[74:75]
	s_delay_alu instid0(VALU_DEP_2) | instskip(NEXT) | instid1(VALU_DEP_1)
	v_fmac_f64_e32 v[8:9], v[10:11], v[66:67]
	v_add_f64_e32 v[76:77], v[8:9], v[6:7]
	ds_load_b128 v[4:7], v82 offset:8480
	s_wait_dscnt 0x0
	v_mul_f64_e32 v[8:9], v[6:7], v[64:65]
	v_mul_f64_e32 v[10:11], v[4:5], v[64:65]
	s_delay_alu instid0(VALU_DEP_2) | instskip(NEXT) | instid1(VALU_DEP_2)
	v_fma_f64 v[8:9], v[4:5], v[62:63], -v[8:9]
	v_fmac_f64_e32 v[10:11], v[6:7], v[62:63]
	s_delay_alu instid0(VALU_DEP_2) | instskip(SKIP_1) | instid1(VALU_DEP_3)
	v_add_f64_e32 v[12:13], v[12:13], v[8:9]
	v_mul_f64_e32 v[8:9], v[6:7], v[68:69]
	v_add_f64_e32 v[14:15], v[10:11], v[14:15]
	s_delay_alu instid0(VALU_DEP_2) | instskip(SKIP_1) | instid1(VALU_DEP_2)
	v_fma_f64 v[8:9], v[4:5], v[66:67], -v[8:9]
	v_mul_f64_e32 v[4:5], v[4:5], v[68:69]
	v_add_f64_e32 v[8:9], v[70:71], v[8:9]
	s_delay_alu instid0(VALU_DEP_2) | instskip(NEXT) | instid1(VALU_DEP_1)
	v_fmac_f64_e32 v[4:5], v[6:7], v[66:67]
	v_add_f64_e32 v[10:11], v[4:5], v[72:73]
	ds_load_b128 v[4:7], v82 offset:304
	ds_load_b128 v[62:65], v83 offset:9728
	s_wait_dscnt 0x0
	v_mul_f64_e32 v[66:67], v[6:7], v[64:65]
	v_mul_f64_e32 v[68:69], v[4:5], v[64:65]
	s_delay_alu instid0(VALU_DEP_2) | instskip(NEXT) | instid1(VALU_DEP_2)
	v_fma_f64 v[66:67], v[4:5], v[62:63], -v[66:67]
	v_fmac_f64_e32 v[68:69], v[6:7], v[62:63]
	s_delay_alu instid0(VALU_DEP_2) | instskip(NEXT) | instid1(VALU_DEP_2)
	v_add_f64_e32 v[16:17], v[16:17], v[66:67]
	v_add_f64_e32 v[18:19], v[68:69], v[18:19]
	ds_load_b128 v[66:69], v83 offset:9984
	s_wait_dscnt 0x0
	v_mul_f64_e32 v[70:71], v[6:7], v[68:69]
	v_mul_f64_e32 v[72:73], v[4:5], v[68:69]
	s_delay_alu instid0(VALU_DEP_2) | instskip(NEXT) | instid1(VALU_DEP_2)
	v_fma_f64 v[70:71], v[4:5], v[66:67], -v[70:71]
	v_fmac_f64_e32 v[72:73], v[6:7], v[66:67]
	s_delay_alu instid0(VALU_DEP_2) | instskip(NEXT) | instid1(VALU_DEP_2)
	v_add_f64_e32 v[4:5], v[74:75], v[70:71]
	v_add_f64_e32 v[6:7], v[72:73], v[76:77]
	ds_load_b128 v[70:73], v82 offset:8496
	s_wait_dscnt 0x0
	v_mul_f64_e32 v[74:75], v[72:73], v[64:65]
	v_mul_f64_e32 v[64:65], v[70:71], v[64:65]
	s_delay_alu instid0(VALU_DEP_2) | instskip(NEXT) | instid1(VALU_DEP_2)
	v_fma_f64 v[74:75], v[70:71], v[62:63], -v[74:75]
	v_fmac_f64_e32 v[64:65], v[72:73], v[62:63]
	v_mul_f64_e32 v[62:63], v[72:73], v[68:69]
	s_delay_alu instid0(VALU_DEP_3) | instskip(NEXT) | instid1(VALU_DEP_3)
	v_add_f64_e32 v[12:13], v[12:13], v[74:75]
	v_add_f64_e32 v[14:15], v[64:65], v[14:15]
	v_mul_f64_e32 v[64:65], v[70:71], v[68:69]
	s_delay_alu instid0(VALU_DEP_4) | instskip(NEXT) | instid1(VALU_DEP_2)
	v_fma_f64 v[62:63], v[70:71], v[66:67], -v[62:63]
	v_fmac_f64_e32 v[64:65], v[72:73], v[66:67]
	s_delay_alu instid0(VALU_DEP_2) | instskip(NEXT) | instid1(VALU_DEP_2)
	v_add_f64_e32 v[70:71], v[8:9], v[62:63]
	v_add_f64_e32 v[72:73], v[64:65], v[10:11]
	ds_load_b128 v[8:11], v82 offset:320
	ds_load_b128 v[62:65], v83 offset:10240
	s_wait_dscnt 0x0
	v_mul_f64_e32 v[66:67], v[10:11], v[64:65]
	v_mul_f64_e32 v[68:69], v[8:9], v[64:65]
	s_delay_alu instid0(VALU_DEP_2) | instskip(NEXT) | instid1(VALU_DEP_2)
	v_fma_f64 v[66:67], v[8:9], v[62:63], -v[66:67]
	v_fmac_f64_e32 v[68:69], v[10:11], v[62:63]
	s_delay_alu instid0(VALU_DEP_2) | instskip(NEXT) | instid1(VALU_DEP_2)
	v_add_f64_e32 v[16:17], v[16:17], v[66:67]
	v_add_f64_e32 v[18:19], v[68:69], v[18:19]
	ds_load_b128 v[66:69], v83 offset:10496
	s_wait_dscnt 0x0
	v_mul_f64_e32 v[74:75], v[10:11], v[68:69]
	s_delay_alu instid0(VALU_DEP_1) | instskip(SKIP_1) | instid1(VALU_DEP_2)
	v_fma_f64 v[74:75], v[8:9], v[66:67], -v[74:75]
	v_mul_f64_e32 v[8:9], v[8:9], v[68:69]
	v_add_f64_e32 v[74:75], v[4:5], v[74:75]
	s_delay_alu instid0(VALU_DEP_2) | instskip(NEXT) | instid1(VALU_DEP_1)
	v_fmac_f64_e32 v[8:9], v[10:11], v[66:67]
	v_add_f64_e32 v[76:77], v[8:9], v[6:7]
	ds_load_b128 v[4:7], v82 offset:8512
	s_wait_dscnt 0x0
	v_mul_f64_e32 v[8:9], v[6:7], v[64:65]
	v_mul_f64_e32 v[10:11], v[4:5], v[64:65]
	s_delay_alu instid0(VALU_DEP_2) | instskip(NEXT) | instid1(VALU_DEP_2)
	v_fma_f64 v[8:9], v[4:5], v[62:63], -v[8:9]
	v_fmac_f64_e32 v[10:11], v[6:7], v[62:63]
	s_delay_alu instid0(VALU_DEP_2) | instskip(SKIP_1) | instid1(VALU_DEP_3)
	v_add_f64_e32 v[12:13], v[12:13], v[8:9]
	v_mul_f64_e32 v[8:9], v[6:7], v[68:69]
	v_add_f64_e32 v[14:15], v[10:11], v[14:15]
	s_delay_alu instid0(VALU_DEP_2) | instskip(SKIP_1) | instid1(VALU_DEP_2)
	v_fma_f64 v[8:9], v[4:5], v[66:67], -v[8:9]
	v_mul_f64_e32 v[4:5], v[4:5], v[68:69]
	v_add_f64_e32 v[8:9], v[70:71], v[8:9]
	s_delay_alu instid0(VALU_DEP_2) | instskip(NEXT) | instid1(VALU_DEP_1)
	v_fmac_f64_e32 v[4:5], v[6:7], v[66:67]
	v_add_f64_e32 v[10:11], v[4:5], v[72:73]
	ds_load_b128 v[4:7], v82 offset:336
	ds_load_b128 v[62:65], v83 offset:10752
	s_wait_dscnt 0x0
	v_mul_f64_e32 v[66:67], v[6:7], v[64:65]
	v_mul_f64_e32 v[68:69], v[4:5], v[64:65]
	s_delay_alu instid0(VALU_DEP_2) | instskip(NEXT) | instid1(VALU_DEP_2)
	v_fma_f64 v[66:67], v[4:5], v[62:63], -v[66:67]
	v_fmac_f64_e32 v[68:69], v[6:7], v[62:63]
	s_delay_alu instid0(VALU_DEP_2) | instskip(NEXT) | instid1(VALU_DEP_2)
	v_add_f64_e32 v[16:17], v[16:17], v[66:67]
	v_add_f64_e32 v[18:19], v[68:69], v[18:19]
	ds_load_b128 v[66:69], v83 offset:11008
	s_wait_dscnt 0x0
	v_mul_f64_e32 v[70:71], v[6:7], v[68:69]
	v_mul_f64_e32 v[72:73], v[4:5], v[68:69]
	s_delay_alu instid0(VALU_DEP_2) | instskip(NEXT) | instid1(VALU_DEP_2)
	v_fma_f64 v[70:71], v[4:5], v[66:67], -v[70:71]
	v_fmac_f64_e32 v[72:73], v[6:7], v[66:67]
	s_delay_alu instid0(VALU_DEP_2) | instskip(NEXT) | instid1(VALU_DEP_2)
	v_add_f64_e32 v[4:5], v[74:75], v[70:71]
	v_add_f64_e32 v[6:7], v[72:73], v[76:77]
	ds_load_b128 v[70:73], v82 offset:8528
	s_wait_dscnt 0x0
	v_mul_f64_e32 v[74:75], v[72:73], v[64:65]
	v_mul_f64_e32 v[64:65], v[70:71], v[64:65]
	s_delay_alu instid0(VALU_DEP_2) | instskip(NEXT) | instid1(VALU_DEP_2)
	v_fma_f64 v[74:75], v[70:71], v[62:63], -v[74:75]
	v_fmac_f64_e32 v[64:65], v[72:73], v[62:63]
	v_mul_f64_e32 v[62:63], v[72:73], v[68:69]
	s_delay_alu instid0(VALU_DEP_3) | instskip(NEXT) | instid1(VALU_DEP_3)
	v_add_f64_e32 v[12:13], v[12:13], v[74:75]
	v_add_f64_e32 v[14:15], v[64:65], v[14:15]
	v_mul_f64_e32 v[64:65], v[70:71], v[68:69]
	s_delay_alu instid0(VALU_DEP_4) | instskip(NEXT) | instid1(VALU_DEP_2)
	v_fma_f64 v[62:63], v[70:71], v[66:67], -v[62:63]
	v_fmac_f64_e32 v[64:65], v[72:73], v[66:67]
	s_delay_alu instid0(VALU_DEP_2) | instskip(NEXT) | instid1(VALU_DEP_2)
	v_add_f64_e32 v[70:71], v[8:9], v[62:63]
	v_add_f64_e32 v[72:73], v[64:65], v[10:11]
	ds_load_b128 v[8:11], v82 offset:352
	ds_load_b128 v[62:65], v83 offset:11264
	s_wait_dscnt 0x0
	v_mul_f64_e32 v[66:67], v[10:11], v[64:65]
	v_mul_f64_e32 v[68:69], v[8:9], v[64:65]
	s_delay_alu instid0(VALU_DEP_2) | instskip(NEXT) | instid1(VALU_DEP_2)
	v_fma_f64 v[66:67], v[8:9], v[62:63], -v[66:67]
	v_fmac_f64_e32 v[68:69], v[10:11], v[62:63]
	s_delay_alu instid0(VALU_DEP_2) | instskip(NEXT) | instid1(VALU_DEP_2)
	v_add_f64_e32 v[16:17], v[16:17], v[66:67]
	v_add_f64_e32 v[18:19], v[68:69], v[18:19]
	ds_load_b128 v[66:69], v83 offset:11520
	s_wait_dscnt 0x0
	v_mul_f64_e32 v[74:75], v[10:11], v[68:69]
	s_delay_alu instid0(VALU_DEP_1) | instskip(SKIP_1) | instid1(VALU_DEP_2)
	v_fma_f64 v[74:75], v[8:9], v[66:67], -v[74:75]
	v_mul_f64_e32 v[8:9], v[8:9], v[68:69]
	v_add_f64_e32 v[74:75], v[4:5], v[74:75]
	s_delay_alu instid0(VALU_DEP_2) | instskip(NEXT) | instid1(VALU_DEP_1)
	v_fmac_f64_e32 v[8:9], v[10:11], v[66:67]
	v_add_f64_e32 v[76:77], v[8:9], v[6:7]
	ds_load_b128 v[4:7], v82 offset:8544
	s_wait_dscnt 0x0
	v_mul_f64_e32 v[8:9], v[6:7], v[64:65]
	v_mul_f64_e32 v[10:11], v[4:5], v[64:65]
	s_delay_alu instid0(VALU_DEP_2) | instskip(NEXT) | instid1(VALU_DEP_2)
	v_fma_f64 v[8:9], v[4:5], v[62:63], -v[8:9]
	v_fmac_f64_e32 v[10:11], v[6:7], v[62:63]
	s_delay_alu instid0(VALU_DEP_2) | instskip(SKIP_1) | instid1(VALU_DEP_3)
	v_add_f64_e32 v[12:13], v[12:13], v[8:9]
	v_mul_f64_e32 v[8:9], v[6:7], v[68:69]
	v_add_f64_e32 v[14:15], v[10:11], v[14:15]
	s_delay_alu instid0(VALU_DEP_2) | instskip(SKIP_1) | instid1(VALU_DEP_2)
	v_fma_f64 v[8:9], v[4:5], v[66:67], -v[8:9]
	v_mul_f64_e32 v[4:5], v[4:5], v[68:69]
	v_add_f64_e32 v[8:9], v[70:71], v[8:9]
	s_delay_alu instid0(VALU_DEP_2) | instskip(NEXT) | instid1(VALU_DEP_1)
	v_fmac_f64_e32 v[4:5], v[6:7], v[66:67]
	v_add_f64_e32 v[10:11], v[4:5], v[72:73]
	ds_load_b128 v[4:7], v82 offset:368
	ds_load_b128 v[62:65], v83 offset:11776
	s_wait_dscnt 0x0
	v_mul_f64_e32 v[66:67], v[6:7], v[64:65]
	v_mul_f64_e32 v[68:69], v[4:5], v[64:65]
	s_delay_alu instid0(VALU_DEP_2) | instskip(NEXT) | instid1(VALU_DEP_2)
	v_fma_f64 v[66:67], v[4:5], v[62:63], -v[66:67]
	v_fmac_f64_e32 v[68:69], v[6:7], v[62:63]
	s_delay_alu instid0(VALU_DEP_2) | instskip(NEXT) | instid1(VALU_DEP_2)
	v_add_f64_e32 v[16:17], v[16:17], v[66:67]
	v_add_f64_e32 v[18:19], v[68:69], v[18:19]
	ds_load_b128 v[66:69], v83 offset:12032
	s_wait_dscnt 0x0
	v_mul_f64_e32 v[70:71], v[6:7], v[68:69]
	v_mul_f64_e32 v[72:73], v[4:5], v[68:69]
	s_delay_alu instid0(VALU_DEP_2) | instskip(NEXT) | instid1(VALU_DEP_2)
	v_fma_f64 v[70:71], v[4:5], v[66:67], -v[70:71]
	v_fmac_f64_e32 v[72:73], v[6:7], v[66:67]
	s_delay_alu instid0(VALU_DEP_2) | instskip(NEXT) | instid1(VALU_DEP_2)
	v_add_f64_e32 v[4:5], v[74:75], v[70:71]
	v_add_f64_e32 v[6:7], v[72:73], v[76:77]
	ds_load_b128 v[70:73], v82 offset:8560
	s_wait_dscnt 0x0
	v_mul_f64_e32 v[74:75], v[72:73], v[64:65]
	v_mul_f64_e32 v[64:65], v[70:71], v[64:65]
	s_delay_alu instid0(VALU_DEP_2) | instskip(NEXT) | instid1(VALU_DEP_2)
	v_fma_f64 v[74:75], v[70:71], v[62:63], -v[74:75]
	v_fmac_f64_e32 v[64:65], v[72:73], v[62:63]
	v_mul_f64_e32 v[62:63], v[72:73], v[68:69]
	s_delay_alu instid0(VALU_DEP_3) | instskip(NEXT) | instid1(VALU_DEP_3)
	v_add_f64_e32 v[12:13], v[12:13], v[74:75]
	v_add_f64_e32 v[14:15], v[64:65], v[14:15]
	v_mul_f64_e32 v[64:65], v[70:71], v[68:69]
	s_delay_alu instid0(VALU_DEP_4) | instskip(NEXT) | instid1(VALU_DEP_2)
	v_fma_f64 v[62:63], v[70:71], v[66:67], -v[62:63]
	v_fmac_f64_e32 v[64:65], v[72:73], v[66:67]
	s_delay_alu instid0(VALU_DEP_2) | instskip(NEXT) | instid1(VALU_DEP_2)
	v_add_f64_e32 v[70:71], v[8:9], v[62:63]
	v_add_f64_e32 v[72:73], v[64:65], v[10:11]
	ds_load_b128 v[62:65], v82 offset:384
	ds_load_b128 v[66:69], v83 offset:12288
	s_wait_dscnt 0x0
	v_mul_f64_e32 v[8:9], v[64:65], v[68:69]
	v_mul_f64_e32 v[10:11], v[62:63], v[68:69]
	s_delay_alu instid0(VALU_DEP_2) | instskip(NEXT) | instid1(VALU_DEP_2)
	v_fma_f64 v[8:9], v[62:63], v[66:67], -v[8:9]
	v_fmac_f64_e32 v[10:11], v[64:65], v[66:67]
	s_delay_alu instid0(VALU_DEP_2) | instskip(NEXT) | instid1(VALU_DEP_2)
	v_add_f64_e32 v[8:9], v[16:17], v[8:9]
	v_add_f64_e32 v[10:11], v[10:11], v[18:19]
	ds_load_b128 v[16:19], v83 offset:12544
	s_wait_dscnt 0x0
	v_mul_f64_e32 v[74:75], v[64:65], v[18:19]
	s_delay_alu instid0(VALU_DEP_1) | instskip(SKIP_1) | instid1(VALU_DEP_2)
	v_fma_f64 v[74:75], v[62:63], v[16:17], -v[74:75]
	v_mul_f64_e32 v[62:63], v[62:63], v[18:19]
	v_add_f64_e32 v[74:75], v[4:5], v[74:75]
	s_delay_alu instid0(VALU_DEP_2) | instskip(NEXT) | instid1(VALU_DEP_1)
	v_fmac_f64_e32 v[62:63], v[64:65], v[16:17]
	v_add_f64_e32 v[76:77], v[62:63], v[6:7]
	ds_load_b128 v[4:7], v82 offset:8576
	s_wait_dscnt 0x0
	v_mul_f64_e32 v[62:63], v[6:7], v[68:69]
	v_mul_f64_e32 v[64:65], v[4:5], v[68:69]
	s_delay_alu instid0(VALU_DEP_2) | instskip(NEXT) | instid1(VALU_DEP_2)
	v_fma_f64 v[62:63], v[4:5], v[66:67], -v[62:63]
	v_fmac_f64_e32 v[64:65], v[6:7], v[66:67]
	s_delay_alu instid0(VALU_DEP_2) | instskip(SKIP_1) | instid1(VALU_DEP_3)
	v_add_f64_e32 v[12:13], v[12:13], v[62:63]
	v_mul_f64_e32 v[62:63], v[6:7], v[18:19]
	v_add_f64_e32 v[14:15], v[64:65], v[14:15]
	s_delay_alu instid0(VALU_DEP_2) | instskip(SKIP_1) | instid1(VALU_DEP_1)
	v_fma_f64 v[62:63], v[4:5], v[16:17], -v[62:63]
	v_mul_f64_e32 v[4:5], v[4:5], v[18:19]
	v_fmac_f64_e32 v[4:5], v[6:7], v[16:17]
	s_delay_alu instid0(VALU_DEP_3) | instskip(NEXT) | instid1(VALU_DEP_2)
	v_add_f64_e32 v[16:17], v[70:71], v[62:63]
	v_add_f64_e32 v[18:19], v[4:5], v[72:73]
	ds_load_b128 v[4:7], v82 offset:400
	ds_load_b128 v[62:65], v83 offset:12800
	s_wait_dscnt 0x0
	v_mul_f64_e32 v[66:67], v[6:7], v[64:65]
	v_mul_f64_e32 v[68:69], v[4:5], v[64:65]
	s_delay_alu instid0(VALU_DEP_2) | instskip(NEXT) | instid1(VALU_DEP_2)
	v_fma_f64 v[66:67], v[4:5], v[62:63], -v[66:67]
	v_fmac_f64_e32 v[68:69], v[6:7], v[62:63]
	s_delay_alu instid0(VALU_DEP_2) | instskip(NEXT) | instid1(VALU_DEP_2)
	v_add_f64_e32 v[8:9], v[8:9], v[66:67]
	v_add_f64_e32 v[10:11], v[68:69], v[10:11]
	ds_load_b128 v[66:69], v83 offset:13056
	s_wait_dscnt 0x0
	v_mul_f64_e32 v[70:71], v[6:7], v[68:69]
	v_mul_f64_e32 v[72:73], v[4:5], v[68:69]
	s_delay_alu instid0(VALU_DEP_2) | instskip(NEXT) | instid1(VALU_DEP_2)
	v_fma_f64 v[70:71], v[4:5], v[66:67], -v[70:71]
	v_fmac_f64_e32 v[72:73], v[6:7], v[66:67]
	s_delay_alu instid0(VALU_DEP_2) | instskip(NEXT) | instid1(VALU_DEP_2)
	v_add_f64_e32 v[4:5], v[74:75], v[70:71]
	v_add_f64_e32 v[6:7], v[72:73], v[76:77]
	ds_load_b128 v[70:73], v82 offset:8592
	s_wait_dscnt 0x0
	v_mul_f64_e32 v[74:75], v[72:73], v[64:65]
	v_mul_f64_e32 v[64:65], v[70:71], v[64:65]
	s_delay_alu instid0(VALU_DEP_2) | instskip(NEXT) | instid1(VALU_DEP_2)
	v_fma_f64 v[74:75], v[70:71], v[62:63], -v[74:75]
	v_fmac_f64_e32 v[64:65], v[72:73], v[62:63]
	v_mul_f64_e32 v[62:63], v[72:73], v[68:69]
	s_delay_alu instid0(VALU_DEP_3) | instskip(NEXT) | instid1(VALU_DEP_3)
	v_add_f64_e32 v[12:13], v[12:13], v[74:75]
	v_add_f64_e32 v[14:15], v[64:65], v[14:15]
	v_mul_f64_e32 v[64:65], v[70:71], v[68:69]
	s_delay_alu instid0(VALU_DEP_4) | instskip(NEXT) | instid1(VALU_DEP_2)
	v_fma_f64 v[62:63], v[70:71], v[66:67], -v[62:63]
	v_fmac_f64_e32 v[64:65], v[72:73], v[66:67]
	ds_load_b128 v[66:69], v82 offset:416
	ds_load_b128 v[70:73], v83 offset:13312
	v_add_f64_e32 v[16:17], v[16:17], v[62:63]
	s_wait_dscnt 0x0
	v_mul_f64_e32 v[62:63], v[68:69], v[72:73]
	v_add_f64_e32 v[18:19], v[64:65], v[18:19]
	v_mul_f64_e32 v[64:65], v[66:67], v[72:73]
	s_delay_alu instid0(VALU_DEP_3) | instskip(NEXT) | instid1(VALU_DEP_2)
	v_fma_f64 v[62:63], v[66:67], v[70:71], -v[62:63]
	v_fmac_f64_e32 v[64:65], v[68:69], v[70:71]
	s_delay_alu instid0(VALU_DEP_2) | instskip(NEXT) | instid1(VALU_DEP_2)
	v_add_f64_e32 v[62:63], v[8:9], v[62:63]
	v_add_f64_e32 v[64:65], v[64:65], v[10:11]
	ds_load_b128 v[8:11], v83 offset:13568
	s_wait_dscnt 0x0
	v_mul_f64_e32 v[74:75], v[68:69], v[10:11]
	s_delay_alu instid0(VALU_DEP_1) | instskip(SKIP_1) | instid1(VALU_DEP_2)
	v_fma_f64 v[74:75], v[66:67], v[8:9], -v[74:75]
	v_mul_f64_e32 v[66:67], v[66:67], v[10:11]
	v_add_f64_e32 v[74:75], v[4:5], v[74:75]
	s_delay_alu instid0(VALU_DEP_2) | instskip(NEXT) | instid1(VALU_DEP_1)
	v_fmac_f64_e32 v[66:67], v[68:69], v[8:9]
	v_add_f64_e32 v[76:77], v[66:67], v[6:7]
	ds_load_b128 v[4:7], v82 offset:8608
	s_wait_dscnt 0x0
	v_mul_f64_e32 v[66:67], v[6:7], v[72:73]
	v_mul_f64_e32 v[68:69], v[4:5], v[72:73]
	s_delay_alu instid0(VALU_DEP_2) | instskip(NEXT) | instid1(VALU_DEP_2)
	v_fma_f64 v[66:67], v[4:5], v[70:71], -v[66:67]
	v_fmac_f64_e32 v[68:69], v[6:7], v[70:71]
	s_delay_alu instid0(VALU_DEP_2) | instskip(SKIP_1) | instid1(VALU_DEP_3)
	v_add_f64_e32 v[12:13], v[12:13], v[66:67]
	v_mul_f64_e32 v[66:67], v[6:7], v[10:11]
	v_add_f64_e32 v[14:15], v[68:69], v[14:15]
	s_delay_alu instid0(VALU_DEP_2) | instskip(SKIP_1) | instid1(VALU_DEP_1)
	v_fma_f64 v[66:67], v[4:5], v[8:9], -v[66:67]
	v_mul_f64_e32 v[4:5], v[4:5], v[10:11]
	v_fmac_f64_e32 v[4:5], v[6:7], v[8:9]
	s_delay_alu instid0(VALU_DEP_3) | instskip(NEXT) | instid1(VALU_DEP_2)
	v_add_f64_e32 v[8:9], v[16:17], v[66:67]
	v_add_f64_e32 v[10:11], v[4:5], v[18:19]
	ds_load_b128 v[4:7], v82 offset:432
	ds_load_b128 v[66:69], v83 offset:13824
	s_wait_dscnt 0x0
	v_mul_f64_e32 v[16:17], v[6:7], v[68:69]
	v_mul_f64_e32 v[18:19], v[4:5], v[68:69]
	s_delay_alu instid0(VALU_DEP_2) | instskip(NEXT) | instid1(VALU_DEP_2)
	v_fma_f64 v[16:17], v[4:5], v[66:67], -v[16:17]
	v_fmac_f64_e32 v[18:19], v[6:7], v[66:67]
	s_delay_alu instid0(VALU_DEP_2) | instskip(NEXT) | instid1(VALU_DEP_2)
	v_add_f64_e32 v[16:17], v[62:63], v[16:17]
	v_add_f64_e32 v[18:19], v[18:19], v[64:65]
	ds_load_b128 v[62:65], v83 offset:14080
	s_wait_dscnt 0x0
	v_mul_f64_e32 v[70:71], v[6:7], v[64:65]
	v_mul_f64_e32 v[72:73], v[4:5], v[64:65]
	s_delay_alu instid0(VALU_DEP_2) | instskip(NEXT) | instid1(VALU_DEP_2)
	v_fma_f64 v[70:71], v[4:5], v[62:63], -v[70:71]
	v_fmac_f64_e32 v[72:73], v[6:7], v[62:63]
	s_delay_alu instid0(VALU_DEP_2) | instskip(NEXT) | instid1(VALU_DEP_2)
	v_add_f64_e32 v[4:5], v[74:75], v[70:71]
	v_add_f64_e32 v[6:7], v[72:73], v[76:77]
	ds_load_b128 v[70:73], v82 offset:8624
	s_wait_dscnt 0x0
	v_mul_f64_e32 v[74:75], v[72:73], v[68:69]
	v_mul_f64_e32 v[68:69], v[70:71], v[68:69]
	s_delay_alu instid0(VALU_DEP_2) | instskip(NEXT) | instid1(VALU_DEP_2)
	v_fma_f64 v[74:75], v[70:71], v[66:67], -v[74:75]
	v_fmac_f64_e32 v[68:69], v[72:73], v[66:67]
	v_mul_f64_e32 v[66:67], v[72:73], v[64:65]
	v_mul_f64_e32 v[64:65], v[70:71], v[64:65]
	s_delay_alu instid0(VALU_DEP_4) | instskip(NEXT) | instid1(VALU_DEP_4)
	v_add_f64_e32 v[12:13], v[12:13], v[74:75]
	v_add_f64_e32 v[14:15], v[68:69], v[14:15]
	s_delay_alu instid0(VALU_DEP_4) | instskip(NEXT) | instid1(VALU_DEP_4)
	v_fma_f64 v[66:67], v[70:71], v[62:63], -v[66:67]
	v_fmac_f64_e32 v[64:65], v[72:73], v[62:63]
	s_delay_alu instid0(VALU_DEP_2)
	v_add_f64_e32 v[62:63], v[8:9], v[66:67]
	ds_load_b128 v[66:69], v82 offset:448
	ds_load_b128 v[70:73], v83 offset:14336
	v_add_f64_e32 v[64:65], v[64:65], v[10:11]
	s_wait_dscnt 0x0
	v_mul_f64_e32 v[8:9], v[68:69], v[72:73]
	v_mul_f64_e32 v[10:11], v[66:67], v[72:73]
	s_delay_alu instid0(VALU_DEP_2) | instskip(NEXT) | instid1(VALU_DEP_2)
	v_fma_f64 v[8:9], v[66:67], v[70:71], -v[8:9]
	v_fmac_f64_e32 v[10:11], v[68:69], v[70:71]
	s_delay_alu instid0(VALU_DEP_2) | instskip(NEXT) | instid1(VALU_DEP_2)
	v_add_f64_e32 v[8:9], v[16:17], v[8:9]
	v_add_f64_e32 v[10:11], v[10:11], v[18:19]
	ds_load_b128 v[16:19], v83 offset:14592
	s_wait_dscnt 0x0
	v_mul_f64_e32 v[74:75], v[68:69], v[18:19]
	s_delay_alu instid0(VALU_DEP_1) | instskip(SKIP_1) | instid1(VALU_DEP_2)
	v_fma_f64 v[74:75], v[66:67], v[16:17], -v[74:75]
	v_mul_f64_e32 v[66:67], v[66:67], v[18:19]
	v_add_f64_e32 v[4:5], v[4:5], v[74:75]
	s_delay_alu instid0(VALU_DEP_2) | instskip(NEXT) | instid1(VALU_DEP_1)
	v_fmac_f64_e32 v[66:67], v[68:69], v[16:17]
	v_add_f64_e32 v[6:7], v[66:67], v[6:7]
	ds_load_b128 v[66:69], v82 offset:8640
	s_wait_dscnt 0x0
	v_mul_f64_e32 v[74:75], v[68:69], v[72:73]
	v_mul_f64_e32 v[72:73], v[66:67], v[72:73]
	s_delay_alu instid0(VALU_DEP_2) | instskip(NEXT) | instid1(VALU_DEP_2)
	v_fma_f64 v[74:75], v[66:67], v[70:71], -v[74:75]
	v_fmac_f64_e32 v[72:73], v[68:69], v[70:71]
	v_mul_f64_e32 v[70:71], v[68:69], v[18:19]
	v_mul_f64_e32 v[18:19], v[66:67], v[18:19]
	s_delay_alu instid0(VALU_DEP_4) | instskip(NEXT) | instid1(VALU_DEP_4)
	v_add_f64_e32 v[12:13], v[12:13], v[74:75]
	v_add_f64_e32 v[14:15], v[72:73], v[14:15]
	s_delay_alu instid0(VALU_DEP_4) | instskip(NEXT) | instid1(VALU_DEP_4)
	v_fma_f64 v[70:71], v[66:67], v[16:17], -v[70:71]
	v_fmac_f64_e32 v[18:19], v[68:69], v[16:17]
	s_delay_alu instid0(VALU_DEP_2) | instskip(NEXT) | instid1(VALU_DEP_2)
	v_add_f64_e32 v[16:17], v[62:63], v[70:71]
	v_add_f64_e32 v[18:19], v[18:19], v[64:65]
	ds_load_b128 v[62:65], v82 offset:464
	ds_load_b128 v[66:69], v83 offset:14848
	s_wait_dscnt 0x0
	v_mul_f64_e32 v[70:71], v[64:65], v[68:69]
	v_mul_f64_e32 v[72:73], v[62:63], v[68:69]
	s_delay_alu instid0(VALU_DEP_2) | instskip(NEXT) | instid1(VALU_DEP_2)
	v_fma_f64 v[70:71], v[62:63], v[66:67], -v[70:71]
	v_fmac_f64_e32 v[72:73], v[64:65], v[66:67]
	s_delay_alu instid0(VALU_DEP_2) | instskip(NEXT) | instid1(VALU_DEP_2)
	v_add_f64_e32 v[8:9], v[8:9], v[70:71]
	v_add_f64_e32 v[10:11], v[72:73], v[10:11]
	ds_load_b128 v[70:73], v83 offset:15104
	s_wait_dscnt 0x0
	v_mul_f64_e32 v[74:75], v[64:65], v[72:73]
	s_delay_alu instid0(VALU_DEP_1) | instskip(SKIP_1) | instid1(VALU_DEP_2)
	v_fma_f64 v[74:75], v[62:63], v[70:71], -v[74:75]
	v_mul_f64_e32 v[62:63], v[62:63], v[72:73]
	v_add_f64_e32 v[4:5], v[4:5], v[74:75]
	s_delay_alu instid0(VALU_DEP_2) | instskip(NEXT) | instid1(VALU_DEP_1)
	v_fmac_f64_e32 v[62:63], v[64:65], v[70:71]
	v_add_f64_e32 v[6:7], v[62:63], v[6:7]
	ds_load_b128 v[62:65], v82 offset:8656
	s_wait_dscnt 0x0
	v_mul_f64_e32 v[74:75], v[64:65], v[68:69]
	v_mul_f64_e32 v[68:69], v[62:63], v[68:69]
	s_delay_alu instid0(VALU_DEP_2) | instskip(NEXT) | instid1(VALU_DEP_2)
	v_fma_f64 v[74:75], v[62:63], v[66:67], -v[74:75]
	v_fmac_f64_e32 v[68:69], v[64:65], v[66:67]
	v_mul_f64_e32 v[66:67], v[64:65], v[72:73]
	s_delay_alu instid0(VALU_DEP_3) | instskip(NEXT) | instid1(VALU_DEP_3)
	v_add_f64_e32 v[12:13], v[12:13], v[74:75]
	v_add_f64_e32 v[14:15], v[68:69], v[14:15]
	s_delay_alu instid0(VALU_DEP_3) | instskip(SKIP_1) | instid1(VALU_DEP_2)
	v_fma_f64 v[66:67], v[62:63], v[70:71], -v[66:67]
	v_mul_f64_e32 v[62:63], v[62:63], v[72:73]
	v_add_f64_e32 v[16:17], v[16:17], v[66:67]
	s_delay_alu instid0(VALU_DEP_2)
	v_fmac_f64_e32 v[62:63], v[64:65], v[70:71]
	ds_load_b128 v[66:69], v82 offset:480
	ds_load_b128 v[78:81], v83 offset:15360
	s_wait_dscnt 0x0
	v_mul_f64_e32 v[64:65], v[66:67], v[80:81]
	v_add_f64_e32 v[18:19], v[62:63], v[18:19]
	v_mul_f64_e32 v[62:63], v[68:69], v[80:81]
	s_delay_alu instid0(VALU_DEP_3) | instskip(NEXT) | instid1(VALU_DEP_2)
	v_fmac_f64_e32 v[64:65], v[68:69], v[78:79]
	v_fma_f64 v[62:63], v[66:67], v[78:79], -v[62:63]
	s_delay_alu instid0(VALU_DEP_2) | instskip(NEXT) | instid1(VALU_DEP_2)
	v_add_f64_e32 v[64:65], v[64:65], v[10:11]
	v_add_f64_e32 v[62:63], v[8:9], v[62:63]
	ds_load_b128 v[8:11], v83 offset:15616
	s_wait_dscnt 0x0
	v_mul_f64_e32 v[70:71], v[68:69], v[10:11]
	s_delay_alu instid0(VALU_DEP_1) | instskip(SKIP_1) | instid1(VALU_DEP_2)
	v_fma_f64 v[70:71], v[66:67], v[8:9], -v[70:71]
	v_mul_f64_e32 v[66:67], v[66:67], v[10:11]
	v_add_f64_e32 v[72:73], v[4:5], v[70:71]
	s_delay_alu instid0(VALU_DEP_2) | instskip(NEXT) | instid1(VALU_DEP_1)
	v_fmac_f64_e32 v[66:67], v[68:69], v[8:9]
	v_add_f64_e32 v[76:77], v[66:67], v[6:7]
	ds_load_b128 v[4:7], v82 offset:8672
	s_wait_dscnt 0x0
	v_mul_f64_e32 v[66:67], v[6:7], v[80:81]
	v_mul_f64_e32 v[68:69], v[4:5], v[80:81]
	s_delay_alu instid0(VALU_DEP_2) | instskip(NEXT) | instid1(VALU_DEP_2)
	v_fma_f64 v[66:67], v[4:5], v[78:79], -v[66:67]
	v_fmac_f64_e32 v[68:69], v[6:7], v[78:79]
	s_delay_alu instid0(VALU_DEP_2) | instskip(SKIP_1) | instid1(VALU_DEP_3)
	v_add_f64_e32 v[66:67], v[12:13], v[66:67]
	v_mul_f64_e32 v[12:13], v[6:7], v[10:11]
	v_add_f64_e32 v[68:69], v[68:69], v[14:15]
	s_delay_alu instid0(VALU_DEP_2) | instskip(SKIP_1) | instid1(VALU_DEP_2)
	v_fma_f64 v[12:13], v[4:5], v[8:9], -v[12:13]
	v_mul_f64_e32 v[4:5], v[4:5], v[10:11]
	v_add_f64_e32 v[70:71], v[16:17], v[12:13]
	s_delay_alu instid0(VALU_DEP_2)
	v_fmac_f64_e32 v[4:5], v[6:7], v[8:9]
	ds_load_b128 v[12:15], v82 offset:496
	ds_load_b128 v[8:11], v83 offset:15872
	s_wait_dscnt 0x0
	v_mul_f64_e32 v[6:7], v[12:13], v[10:11]
	v_add_f64_e32 v[74:75], v[4:5], v[18:19]
	v_mul_f64_e32 v[4:5], v[14:15], v[10:11]
	s_delay_alu instid0(VALU_DEP_3) | instskip(NEXT) | instid1(VALU_DEP_2)
	v_fmac_f64_e32 v[6:7], v[14:15], v[8:9]
	v_fma_f64 v[4:5], v[12:13], v[8:9], -v[4:5]
	s_delay_alu instid0(VALU_DEP_2) | instskip(NEXT) | instid1(VALU_DEP_2)
	v_add_f64_e32 v[64:65], v[6:7], v[64:65]
	v_add_f64_e32 v[62:63], v[62:63], v[4:5]
	ds_load_b128 v[4:7], v83 offset:16128
	s_wait_dscnt 0x0
	v_mul_f64_e32 v[16:17], v[14:15], v[6:7]
	s_delay_alu instid0(VALU_DEP_1) | instskip(SKIP_1) | instid1(VALU_DEP_2)
	v_fma_f64 v[16:17], v[12:13], v[4:5], -v[16:17]
	v_mul_f64_e32 v[12:13], v[12:13], v[6:7]
	v_add_f64_e32 v[18:19], v[72:73], v[16:17]
	s_delay_alu instid0(VALU_DEP_2) | instskip(NEXT) | instid1(VALU_DEP_1)
	v_fmac_f64_e32 v[12:13], v[14:15], v[4:5]
	v_add_f64_e32 v[16:17], v[12:13], v[76:77]
	ds_load_b128 v[12:15], v82 offset:8688
	s_wait_dscnt 0x0
	s_barrier_signal -1
	s_barrier_wait -1
	v_mul_f64_e32 v[72:73], v[14:15], v[10:11]
	v_mul_f64_e32 v[10:11], v[12:13], v[10:11]
	s_delay_alu instid0(VALU_DEP_2) | instskip(NEXT) | instid1(VALU_DEP_2)
	v_fma_f64 v[72:73], v[12:13], v[8:9], -v[72:73]
	v_fmac_f64_e32 v[10:11], v[14:15], v[8:9]
	v_mul_f64_e32 v[8:9], v[14:15], v[6:7]
	v_mul_f64_e32 v[6:7], v[12:13], v[6:7]
	s_delay_alu instid0(VALU_DEP_4) | instskip(NEXT) | instid1(VALU_DEP_4)
	v_add_f64_e32 v[66:67], v[66:67], v[72:73]
	v_add_f64_e32 v[68:69], v[10:11], v[68:69]
	s_delay_alu instid0(VALU_DEP_4) | instskip(NEXT) | instid1(VALU_DEP_4)
	v_fma_f64 v[8:9], v[12:13], v[4:5], -v[8:9]
	v_fmac_f64_e32 v[6:7], v[14:15], v[4:5]
	s_delay_alu instid0(VALU_DEP_2) | instskip(NEXT) | instid1(VALU_DEP_2)
	v_add_f64_e32 v[72:73], v[70:71], v[8:9]
	v_add_f64_e32 v[70:71], v[6:7], v[74:75]
	s_cbranch_scc1 .LBB129_58
.LBB129_10:                             ;   Parent Loop BB129_4 Depth=1
                                        ;     Parent Loop BB129_7 Depth=2
                                        ; =>    This Inner Loop Header: Depth=3
	v_add_nc_u64_e32 v[8:9], s[36:37], v[20:21]
	v_cmp_eq_u64_e64 s7, s[36:37], v[50:51]
	v_add_nc_u64_e32 v[6:7], v[58:59], v[52:53]
	s_delay_alu instid0(VALU_DEP_3) | instskip(SKIP_3) | instid1(SALU_CYCLE_1)
	v_cmp_gt_i64_e64 s5, v[8:9], v[44:45]
	v_cmp_le_i64_e64 s6, s[40:41], v[8:9]
	s_and_b32 s52, s46, s7
	s_or_b32 s7, vcc_lo, s5
	s_or_b32 s7, s7, s52
	s_delay_alu instid0(SALU_CYCLE_1) | instskip(NEXT) | instid1(SALU_CYCLE_1)
	s_nor_b32 s7, s6, s7
	s_and_saveexec_b32 s8, s7
	s_delay_alu instid0(SALU_CYCLE_1)
	s_xor_b32 s7, exec_lo, s8
	s_cbranch_execz .LBB129_12
; %bb.11:                               ;   in Loop: Header=BB129_10 Depth=3
	global_load_b128 v[10:13], v[6:7], off
	s_wait_loadcnt 0x0
	v_xor_b32_e32 v13, 0x80000000, v13
	ds_store_b128 v84, v[10:13]
.LBB129_12:                             ;   in Loop: Header=BB129_10 Depth=3
	s_wait_xcnt 0x0
	s_or_saveexec_b32 s7, s7
	s_xor_b32 s51, s52, -1
	s_xor_b32 exec_lo, exec_lo, s7
	s_cbranch_execz .LBB129_18
; %bb.13:                               ;   in Loop: Header=BB129_10 Depth=3
	s_and_saveexec_b32 s8, s51
	s_delay_alu instid0(SALU_CYCLE_1)
	s_xor_b32 s8, exec_lo, s8
; %bb.14:                               ;   in Loop: Header=BB129_10 Depth=3
	v_dual_mov_b32 v10, v2 :: v_dual_mov_b32 v11, v2
	v_dual_mov_b32 v12, v2 :: v_dual_mov_b32 v13, v2
	ds_store_b128 v84, v[10:13]
; %bb.15:                               ;   in Loop: Header=BB129_10 Depth=3
	s_and_not1_saveexec_b32 s8, s8
; %bb.16:                               ;   in Loop: Header=BB129_10 Depth=3
	v_dual_mov_b32 v4, v2 :: v_dual_mov_b32 v5, v2
	ds_store_b128 v84, v[2:5]
; %bb.17:                               ;   in Loop: Header=BB129_10 Depth=3
	s_or_b32 exec_lo, exec_lo, s8
.LBB129_18:                             ;   in Loop: Header=BB129_10 Depth=3
	s_delay_alu instid0(SALU_CYCLE_1) | instskip(SKIP_3) | instid1(VALU_DEP_3)
	s_or_b32 exec_lo, exec_lo, s7
	v_add_nc_u64_e32 v[4:5], 16, v[8:9]
	v_cmp_eq_u64_e64 s8, s[36:37], v[56:57]
	v_add_nc_u64_e32 v[10:11], v[48:49], v[52:53]
	v_cmp_gt_i64_e64 s9, v[4:5], v[44:45]
	v_cmp_le_i64_e64 s7, s[40:41], v[4:5]
	s_and_b32 s53, s46, s8
	s_or_b32 s8, vcc_lo, s9
	s_delay_alu instid0(SALU_CYCLE_1) | instskip(NEXT) | instid1(SALU_CYCLE_1)
	s_or_b32 s8, s8, s53
	s_nor_b32 s8, s7, s8
	s_delay_alu instid0(SALU_CYCLE_1) | instskip(NEXT) | instid1(SALU_CYCLE_1)
	s_and_saveexec_b32 s9, s8
	s_xor_b32 s8, exec_lo, s9
	s_cbranch_execz .LBB129_20
; %bb.19:                               ;   in Loop: Header=BB129_10 Depth=3
	global_load_b128 v[12:15], v[10:11], off
	s_wait_loadcnt 0x0
	v_xor_b32_e32 v15, 0x80000000, v15
	ds_store_b128 v84, v[12:15] offset:256
.LBB129_20:                             ;   in Loop: Header=BB129_10 Depth=3
	s_wait_xcnt 0x0
	s_and_not1_saveexec_b32 s8, s8
	s_cbranch_execz .LBB129_26
; %bb.21:                               ;   in Loop: Header=BB129_10 Depth=3
	s_xor_b32 s9, s53, -1
	s_delay_alu instid0(SALU_CYCLE_1) | instskip(NEXT) | instid1(SALU_CYCLE_1)
	s_and_saveexec_b32 s53, s9
	s_xor_b32 s9, exec_lo, s53
; %bb.22:                               ;   in Loop: Header=BB129_10 Depth=3
	v_dual_mov_b32 v12, v2 :: v_dual_mov_b32 v13, v2
	v_dual_mov_b32 v14, v2 :: v_dual_mov_b32 v15, v2
	ds_store_b128 v84, v[12:15] offset:256
; %bb.23:                               ;   in Loop: Header=BB129_10 Depth=3
	s_and_not1_saveexec_b32 s9, s9
; %bb.24:                               ;   in Loop: Header=BB129_10 Depth=3
	v_dual_mov_b32 v4, v2 :: v_dual_mov_b32 v5, v2
	ds_store_b128 v84, v[2:5] offset:256
; %bb.25:                               ;   in Loop: Header=BB129_10 Depth=3
	s_or_b32 exec_lo, exec_lo, s9
.LBB129_26:                             ;   in Loop: Header=BB129_10 Depth=3
	s_delay_alu instid0(SALU_CYCLE_1) | instskip(SKIP_4) | instid1(SALU_CYCLE_1)
	s_or_b32 exec_lo, exec_lo, s8
	v_cmp_eq_u64_e64 s8, s[36:37], v[54:55]
	v_cmp_gt_i64_e64 s9, v[8:9], v[46:47]
	s_and_b32 s8, s46, s8
	s_or_b32 s9, s4, s9
	s_or_b32 s9, s9, s8
	s_delay_alu instid0(SALU_CYCLE_1) | instskip(NEXT) | instid1(SALU_CYCLE_1)
	s_nor_b32 s6, s6, s9
	s_and_saveexec_b32 s9, s6
	s_delay_alu instid0(SALU_CYCLE_1)
	s_xor_b32 s6, exec_lo, s9
	s_cbranch_execz .LBB129_28
; %bb.27:                               ;   in Loop: Header=BB129_10 Depth=3
	global_load_b128 v[4:7], v[6:7], off offset:256
	s_wait_loadcnt 0x0
	s_wait_xcnt 0x0
	v_xor_b32_e32 v7, 0x80000000, v7
	ds_store_b128 v84, v[4:7] offset:8192
.LBB129_28:                             ;   in Loop: Header=BB129_10 Depth=3
	s_and_not1_saveexec_b32 s6, s6
	s_cbranch_execz .LBB129_34
; %bb.29:                               ;   in Loop: Header=BB129_10 Depth=3
	s_xor_b32 s8, s8, -1
	s_delay_alu instid0(SALU_CYCLE_1) | instskip(NEXT) | instid1(SALU_CYCLE_1)
	s_and_saveexec_b32 s9, s8
	s_xor_b32 s8, exec_lo, s9
; %bb.30:                               ;   in Loop: Header=BB129_10 Depth=3
	v_dual_mov_b32 v4, v2 :: v_dual_mov_b32 v5, v2
	v_dual_mov_b32 v6, v2 :: v_dual_mov_b32 v7, v2
	ds_store_b128 v84, v[4:7] offset:8192
; %bb.31:                               ;   in Loop: Header=BB129_10 Depth=3
	s_and_not1_saveexec_b32 s8, s8
; %bb.32:                               ;   in Loop: Header=BB129_10 Depth=3
	v_dual_mov_b32 v4, v2 :: v_dual_mov_b32 v5, v2
	ds_store_b128 v84, v[2:5] offset:8192
; %bb.33:                               ;   in Loop: Header=BB129_10 Depth=3
	s_or_b32 exec_lo, exec_lo, s8
.LBB129_34:                             ;   in Loop: Header=BB129_10 Depth=3
	s_delay_alu instid0(SALU_CYCLE_1) | instskip(SKIP_1) | instid1(SALU_CYCLE_1)
	s_or_b32 exec_lo, exec_lo, s6
	s_or_b32 s5, s4, s5
	s_or_b32 s5, s5, s52
	s_delay_alu instid0(SALU_CYCLE_1) | instskip(NEXT) | instid1(SALU_CYCLE_1)
	s_nor_b32 s5, s7, s5
	s_and_saveexec_b32 s6, s5
	s_delay_alu instid0(SALU_CYCLE_1)
	s_xor_b32 s5, exec_lo, s6
	s_cbranch_execz .LBB129_36
; %bb.35:                               ;   in Loop: Header=BB129_10 Depth=3
	global_load_b128 v[4:7], v[10:11], off offset:256
	s_wait_loadcnt 0x0
	v_xor_b32_e32 v7, 0x80000000, v7
	ds_store_b128 v84, v[4:7] offset:8448
.LBB129_36:                             ;   in Loop: Header=BB129_10 Depth=3
	s_wait_xcnt 0x0
	s_and_not1_saveexec_b32 s5, s5
	s_cbranch_execz .LBB129_42
; %bb.37:                               ;   in Loop: Header=BB129_10 Depth=3
	s_and_saveexec_b32 s6, s51
	s_delay_alu instid0(SALU_CYCLE_1)
	s_xor_b32 s6, exec_lo, s6
; %bb.38:                               ;   in Loop: Header=BB129_10 Depth=3
	v_dual_mov_b32 v4, v2 :: v_dual_mov_b32 v5, v2
	v_dual_mov_b32 v6, v2 :: v_dual_mov_b32 v7, v2
	ds_store_b128 v84, v[4:7] offset:8448
; %bb.39:                               ;   in Loop: Header=BB129_10 Depth=3
	s_and_not1_saveexec_b32 s6, s6
; %bb.40:                               ;   in Loop: Header=BB129_10 Depth=3
	v_dual_mov_b32 v4, v2 :: v_dual_mov_b32 v5, v2
	ds_store_b128 v84, v[2:5] offset:8448
; %bb.41:                               ;   in Loop: Header=BB129_10 Depth=3
	s_or_b32 exec_lo, exec_lo, s6
.LBB129_42:                             ;   in Loop: Header=BB129_10 Depth=3
	s_delay_alu instid0(SALU_CYCLE_1) | instskip(SKIP_2) | instid1(VALU_DEP_2)
	s_or_b32 exec_lo, exec_lo, s5
	v_add_nc_u64_e32 v[4:5], s[36:37], v[0:1]
	v_add_nc_u64_e32 v[6:7], v[60:61], v[30:31]
	v_cmp_le_i64_e64 s5, s[40:41], v[4:5]
	s_nor_b32 s6, s5, s0
	s_delay_alu instid0(SALU_CYCLE_1) | instskip(NEXT) | instid1(SALU_CYCLE_1)
	s_and_saveexec_b32 s7, s6
	s_xor_b32 s6, exec_lo, s7
	s_cbranch_execz .LBB129_44
; %bb.43:                               ;   in Loop: Header=BB129_10 Depth=3
	global_load_b128 v[8:11], v[6:7], off offset:-256
	s_wait_loadcnt 0x0
	ds_store_2addr_b64 v85, v[8:9], v[10:11] offset1:1
.LBB129_44:                             ;   in Loop: Header=BB129_10 Depth=3
	s_wait_xcnt 0x0
	s_and_not1_saveexec_b32 s6, s6
; %bb.45:                               ;   in Loop: Header=BB129_10 Depth=3
	v_dual_mov_b32 v8, v2 :: v_dual_mov_b32 v9, v2
	v_dual_mov_b32 v10, v2 :: v_dual_mov_b32 v11, v2
	ds_store_b128 v85, v[8:11]
; %bb.46:                               ;   in Loop: Header=BB129_10 Depth=3
	s_or_b32 exec_lo, exec_lo, s6
	s_nor_b32 s5, s5, s1
	s_delay_alu instid0(SALU_CYCLE_1) | instskip(NEXT) | instid1(SALU_CYCLE_1)
	s_and_saveexec_b32 s6, s5
	s_xor_b32 s5, exec_lo, s6
	s_cbranch_execz .LBB129_48
; %bb.47:                               ;   in Loop: Header=BB129_10 Depth=3
	global_load_b128 v[6:9], v[6:7], off
	v_add_nc_u32_e32 v10, 0x100, v85
	s_wait_loadcnt 0x0
	ds_store_2addr_b64 v10, v[6:7], v[8:9] offset1:1
.LBB129_48:                             ;   in Loop: Header=BB129_10 Depth=3
	s_wait_xcnt 0x0
	s_and_not1_saveexec_b32 s5, s5
; %bb.49:                               ;   in Loop: Header=BB129_10 Depth=3
	v_dual_mov_b32 v6, v2 :: v_dual_mov_b32 v7, v2
	v_dual_mov_b32 v8, v2 :: v_dual_mov_b32 v9, v2
	ds_store_b128 v85, v[6:9] offset:256
; %bb.50:                               ;   in Loop: Header=BB129_10 Depth=3
	s_or_b32 exec_lo, exec_lo, s5
	v_cmp_le_i64_e64 s5, s[12:13], v[4:5]
	v_add_nc_u64_e32 v[4:5], v[60:61], v[24:25]
	s_nor_b32 s6, s5, s0
	s_delay_alu instid0(SALU_CYCLE_1) | instskip(NEXT) | instid1(SALU_CYCLE_1)
	s_and_saveexec_b32 s7, s6
	s_xor_b32 s6, exec_lo, s7
	s_cbranch_execz .LBB129_52
; %bb.51:                               ;   in Loop: Header=BB129_10 Depth=3
	global_load_b128 v[6:9], v[4:5], off offset:-256
	v_add_nc_u32_e32 v10, 0x2000, v85
	s_wait_loadcnt 0x0
	ds_store_2addr_b64 v10, v[6:7], v[8:9] offset1:1
.LBB129_52:                             ;   in Loop: Header=BB129_10 Depth=3
	s_wait_xcnt 0x0
	s_and_not1_saveexec_b32 s6, s6
; %bb.53:                               ;   in Loop: Header=BB129_10 Depth=3
	v_dual_mov_b32 v6, v2 :: v_dual_mov_b32 v7, v2
	v_dual_mov_b32 v8, v2 :: v_dual_mov_b32 v9, v2
	ds_store_b128 v85, v[6:9] offset:8192
; %bb.54:                               ;   in Loop: Header=BB129_10 Depth=3
	s_or_b32 exec_lo, exec_lo, s6
	s_nor_b32 s5, s5, s1
	s_delay_alu instid0(SALU_CYCLE_1) | instskip(NEXT) | instid1(SALU_CYCLE_1)
	s_and_saveexec_b32 s6, s5
	s_xor_b32 s5, exec_lo, s6
	s_cbranch_execz .LBB129_56
; %bb.55:                               ;   in Loop: Header=BB129_10 Depth=3
	global_load_b128 v[4:7], v[4:5], off
	v_add_nc_u32_e32 v8, 0x2100, v85
	s_wait_loadcnt 0x0
	ds_store_2addr_b64 v8, v[4:5], v[6:7] offset1:1
.LBB129_56:                             ;   in Loop: Header=BB129_10 Depth=3
	s_wait_xcnt 0x0
	s_and_not1_saveexec_b32 s5, s5
	s_cbranch_execz .LBB129_9
; %bb.57:                               ;   in Loop: Header=BB129_10 Depth=3
	v_dual_mov_b32 v4, v2 :: v_dual_mov_b32 v5, v2
	v_dual_mov_b32 v6, v2 :: v_dual_mov_b32 v7, v2
	ds_store_b128 v85, v[4:7] offset:8448
	s_branch .LBB129_9
.LBB129_58:                             ;   in Loop: Header=BB129_7 Depth=2
	s_delay_alu instid0(VALU_DEP_1) | instskip(SKIP_2) | instid1(VALU_DEP_2)
	v_mul_u64_e32 v[4:5], s[24:25], v[44:45]
	v_cmp_gt_i32_e32 vcc_lo, s38, v44
	s_and_b32 s5, s2, vcc_lo
	v_lshl_add_u64 v[4:5], v[4:5], 4, s[18:19]
	s_and_saveexec_b32 s4, s5
	s_cbranch_execz .LBB129_60
; %bb.59:                               ;   in Loop: Header=BB129_7 Depth=2
	s_delay_alu instid0(VALU_DEP_1)
	v_lshl_add_u64 v[10:11], v[22:23], 4, v[4:5]
	v_mul_f64_e32 v[12:13], s[30:31], v[64:65]
	v_mul_f64_e32 v[14:15], s[28:29], v[64:65]
	global_load_b128 v[6:9], v[10:11], off
	v_fma_f64 v[12:13], s[28:29], v[62:63], -v[12:13]
	v_fmac_f64_e32 v[14:15], s[30:31], v[62:63]
	s_wait_loadcnt 0x0
	s_delay_alu instid0(VALU_DEP_2) | instskip(NEXT) | instid1(VALU_DEP_2)
	v_add_f64_e32 v[6:7], v[6:7], v[12:13]
	v_add_f64_e32 v[8:9], v[14:15], v[8:9]
	global_store_b128 v[10:11], v[6:9], off
.LBB129_60:                             ;   in Loop: Header=BB129_7 Depth=2
	s_wait_xcnt 0x0
	s_or_b32 exec_lo, exec_lo, s4
	s_and_b32 s5, s3, vcc_lo
	s_delay_alu instid0(SALU_CYCLE_1)
	s_and_saveexec_b32 s4, s5
	s_cbranch_execz .LBB129_62
; %bb.61:                               ;   in Loop: Header=BB129_7 Depth=2
	v_lshl_add_u64 v[8:9], v[28:29], 4, v[4:5]
	v_mul_f64_e32 v[10:11], s[30:31], v[16:17]
	v_mul_f64_e32 v[12:13], s[28:29], v[16:17]
	global_load_b128 v[4:7], v[8:9], off
	v_fma_f64 v[10:11], s[28:29], v[18:19], -v[10:11]
	v_fmac_f64_e32 v[12:13], s[30:31], v[18:19]
	s_wait_loadcnt 0x0
	s_delay_alu instid0(VALU_DEP_2) | instskip(NEXT) | instid1(VALU_DEP_2)
	v_add_f64_e32 v[4:5], v[4:5], v[10:11]
	v_add_f64_e32 v[6:7], v[12:13], v[6:7]
	global_store_b128 v[8:9], v[4:7], off
.LBB129_62:                             ;   in Loop: Header=BB129_7 Depth=2
	s_wait_xcnt 0x0
	s_or_b32 exec_lo, exec_lo, s4
	v_add_nc_u32_e32 v4, 16, v44
	s_delay_alu instid0(VALU_DEP_1) | instskip(SKIP_1) | instid1(VALU_DEP_2)
	v_ashrrev_i32_e32 v5, 31, v4
	v_cmp_gt_i32_e32 vcc_lo, s38, v4
	v_mul_u64_e32 v[6:7], s[24:25], v[4:5]
	s_and_b32 s5, s2, vcc_lo
	s_delay_alu instid0(VALU_DEP_1)
	v_lshl_add_u64 v[4:5], v[6:7], 4, s[18:19]
	s_and_saveexec_b32 s4, s5
	s_cbranch_execz .LBB129_64
; %bb.63:                               ;   in Loop: Header=BB129_7 Depth=2
	s_delay_alu instid0(VALU_DEP_1)
	v_lshl_add_u64 v[10:11], v[22:23], 4, v[4:5]
	v_mul_f64_e32 v[12:13], s[30:31], v[68:69]
	v_mul_f64_e32 v[14:15], s[28:29], v[68:69]
	global_load_b128 v[6:9], v[10:11], off
	v_fma_f64 v[12:13], s[28:29], v[66:67], -v[12:13]
	v_fmac_f64_e32 v[14:15], s[30:31], v[66:67]
	s_wait_loadcnt 0x0
	s_delay_alu instid0(VALU_DEP_2) | instskip(NEXT) | instid1(VALU_DEP_2)
	v_add_f64_e32 v[6:7], v[6:7], v[12:13]
	v_add_f64_e32 v[8:9], v[14:15], v[8:9]
	global_store_b128 v[10:11], v[6:9], off
.LBB129_64:                             ;   in Loop: Header=BB129_7 Depth=2
	s_wait_xcnt 0x0
	s_or_b32 exec_lo, exec_lo, s4
	s_and_b32 s5, s3, vcc_lo
	s_delay_alu instid0(SALU_CYCLE_1)
	s_and_saveexec_b32 s4, s5
	s_cbranch_execz .LBB129_6
; %bb.65:                               ;   in Loop: Header=BB129_7 Depth=2
	v_lshl_add_u64 v[8:9], v[28:29], 4, v[4:5]
	v_mul_f64_e32 v[10:11], s[30:31], v[70:71]
	v_mul_f64_e32 v[12:13], s[28:29], v[70:71]
	global_load_b128 v[4:7], v[8:9], off
	v_fma_f64 v[10:11], s[28:29], v[72:73], -v[10:11]
	v_fmac_f64_e32 v[12:13], s[30:31], v[72:73]
	s_wait_loadcnt 0x0
	s_delay_alu instid0(VALU_DEP_2) | instskip(NEXT) | instid1(VALU_DEP_2)
	v_add_f64_e32 v[4:5], v[4:5], v[10:11]
	v_add_f64_e32 v[6:7], v[12:13], v[6:7]
	global_store_b128 v[8:9], v[4:7], off
	s_branch .LBB129_6
.LBB129_66:
	s_sendmsg sendmsg(MSG_DEALLOC_VGPRS)
	s_endpgm
	.section	.rodata,"a",@progbits
	.p2align	6, 0x0
	.amdhsa_kernel _ZL30rocblas_trmm_outofplace_kernelI19rocblas_complex_numIdELi32ELi2ELb0ELb0ELb1ELb1ES1_KS1_S1_Ev17rocblas_diagonal_iiT6_lPT7_lllS6_lllPT8_llli
		.amdhsa_group_segment_fixed_size 32768
		.amdhsa_private_segment_fixed_size 0
		.amdhsa_kernarg_size 400
		.amdhsa_user_sgpr_count 2
		.amdhsa_user_sgpr_dispatch_ptr 0
		.amdhsa_user_sgpr_queue_ptr 0
		.amdhsa_user_sgpr_kernarg_segment_ptr 1
		.amdhsa_user_sgpr_dispatch_id 0
		.amdhsa_user_sgpr_kernarg_preload_length 0
		.amdhsa_user_sgpr_kernarg_preload_offset 0
		.amdhsa_user_sgpr_private_segment_size 0
		.amdhsa_wavefront_size32 1
		.amdhsa_uses_dynamic_stack 0
		.amdhsa_enable_private_segment 0
		.amdhsa_system_sgpr_workgroup_id_x 1
		.amdhsa_system_sgpr_workgroup_id_y 1
		.amdhsa_system_sgpr_workgroup_id_z 1
		.amdhsa_system_sgpr_workgroup_info 0
		.amdhsa_system_vgpr_workitem_id 1
		.amdhsa_next_free_vgpr 96
		.amdhsa_next_free_sgpr 54
		.amdhsa_named_barrier_count 0
		.amdhsa_reserve_vcc 1
		.amdhsa_float_round_mode_32 0
		.amdhsa_float_round_mode_16_64 0
		.amdhsa_float_denorm_mode_32 3
		.amdhsa_float_denorm_mode_16_64 3
		.amdhsa_fp16_overflow 0
		.amdhsa_memory_ordered 1
		.amdhsa_forward_progress 1
		.amdhsa_inst_pref_size 66
		.amdhsa_round_robin_scheduling 0
		.amdhsa_exception_fp_ieee_invalid_op 0
		.amdhsa_exception_fp_denorm_src 0
		.amdhsa_exception_fp_ieee_div_zero 0
		.amdhsa_exception_fp_ieee_overflow 0
		.amdhsa_exception_fp_ieee_underflow 0
		.amdhsa_exception_fp_ieee_inexact 0
		.amdhsa_exception_int_div_zero 0
	.end_amdhsa_kernel
	.section	.text._ZL30rocblas_trmm_outofplace_kernelI19rocblas_complex_numIdELi32ELi2ELb0ELb0ELb1ELb1ES1_KS1_S1_Ev17rocblas_diagonal_iiT6_lPT7_lllS6_lllPT8_llli,"axG",@progbits,_ZL30rocblas_trmm_outofplace_kernelI19rocblas_complex_numIdELi32ELi2ELb0ELb0ELb1ELb1ES1_KS1_S1_Ev17rocblas_diagonal_iiT6_lPT7_lllS6_lllPT8_llli,comdat
.Lfunc_end129:
	.size	_ZL30rocblas_trmm_outofplace_kernelI19rocblas_complex_numIdELi32ELi2ELb0ELb0ELb1ELb1ES1_KS1_S1_Ev17rocblas_diagonal_iiT6_lPT7_lllS6_lllPT8_llli, .Lfunc_end129-_ZL30rocblas_trmm_outofplace_kernelI19rocblas_complex_numIdELi32ELi2ELb0ELb0ELb1ELb1ES1_KS1_S1_Ev17rocblas_diagonal_iiT6_lPT7_lllS6_lllPT8_llli
                                        ; -- End function
	.set _ZL30rocblas_trmm_outofplace_kernelI19rocblas_complex_numIdELi32ELi2ELb0ELb0ELb1ELb1ES1_KS1_S1_Ev17rocblas_diagonal_iiT6_lPT7_lllS6_lllPT8_llli.num_vgpr, 96
	.set _ZL30rocblas_trmm_outofplace_kernelI19rocblas_complex_numIdELi32ELi2ELb0ELb0ELb1ELb1ES1_KS1_S1_Ev17rocblas_diagonal_iiT6_lPT7_lllS6_lllPT8_llli.num_agpr, 0
	.set _ZL30rocblas_trmm_outofplace_kernelI19rocblas_complex_numIdELi32ELi2ELb0ELb0ELb1ELb1ES1_KS1_S1_Ev17rocblas_diagonal_iiT6_lPT7_lllS6_lllPT8_llli.numbered_sgpr, 54
	.set _ZL30rocblas_trmm_outofplace_kernelI19rocblas_complex_numIdELi32ELi2ELb0ELb0ELb1ELb1ES1_KS1_S1_Ev17rocblas_diagonal_iiT6_lPT7_lllS6_lllPT8_llli.num_named_barrier, 0
	.set _ZL30rocblas_trmm_outofplace_kernelI19rocblas_complex_numIdELi32ELi2ELb0ELb0ELb1ELb1ES1_KS1_S1_Ev17rocblas_diagonal_iiT6_lPT7_lllS6_lllPT8_llli.private_seg_size, 0
	.set _ZL30rocblas_trmm_outofplace_kernelI19rocblas_complex_numIdELi32ELi2ELb0ELb0ELb1ELb1ES1_KS1_S1_Ev17rocblas_diagonal_iiT6_lPT7_lllS6_lllPT8_llli.uses_vcc, 1
	.set _ZL30rocblas_trmm_outofplace_kernelI19rocblas_complex_numIdELi32ELi2ELb0ELb0ELb1ELb1ES1_KS1_S1_Ev17rocblas_diagonal_iiT6_lPT7_lllS6_lllPT8_llli.uses_flat_scratch, 0
	.set _ZL30rocblas_trmm_outofplace_kernelI19rocblas_complex_numIdELi32ELi2ELb0ELb0ELb1ELb1ES1_KS1_S1_Ev17rocblas_diagonal_iiT6_lPT7_lllS6_lllPT8_llli.has_dyn_sized_stack, 0
	.set _ZL30rocblas_trmm_outofplace_kernelI19rocblas_complex_numIdELi32ELi2ELb0ELb0ELb1ELb1ES1_KS1_S1_Ev17rocblas_diagonal_iiT6_lPT7_lllS6_lllPT8_llli.has_recursion, 0
	.set _ZL30rocblas_trmm_outofplace_kernelI19rocblas_complex_numIdELi32ELi2ELb0ELb0ELb1ELb1ES1_KS1_S1_Ev17rocblas_diagonal_iiT6_lPT7_lllS6_lllPT8_llli.has_indirect_call, 0
	.section	.AMDGPU.csdata,"",@progbits
; Kernel info:
; codeLenInByte = 8388
; TotalNumSgprs: 56
; NumVgprs: 96
; ScratchSize: 0
; MemoryBound: 0
; FloatMode: 240
; IeeeMode: 1
; LDSByteSize: 32768 bytes/workgroup (compile time only)
; SGPRBlocks: 0
; VGPRBlocks: 5
; NumSGPRsForWavesPerEU: 56
; NumVGPRsForWavesPerEU: 96
; NamedBarCnt: 0
; Occupancy: 10
; WaveLimiterHint : 0
; COMPUTE_PGM_RSRC2:SCRATCH_EN: 0
; COMPUTE_PGM_RSRC2:USER_SGPR: 2
; COMPUTE_PGM_RSRC2:TRAP_HANDLER: 0
; COMPUTE_PGM_RSRC2:TGID_X_EN: 1
; COMPUTE_PGM_RSRC2:TGID_Y_EN: 1
; COMPUTE_PGM_RSRC2:TGID_Z_EN: 1
; COMPUTE_PGM_RSRC2:TIDIG_COMP_CNT: 1
	.section	.text._ZL30rocblas_trmm_outofplace_kernelI19rocblas_complex_numIdELi32ELi2ELb0ELb1ELb1ELb1EPKS1_S2_S1_Ev17rocblas_diagonal_iiT6_lPT7_lllS7_lllPT8_llli,"axG",@progbits,_ZL30rocblas_trmm_outofplace_kernelI19rocblas_complex_numIdELi32ELi2ELb0ELb1ELb1ELb1EPKS1_S2_S1_Ev17rocblas_diagonal_iiT6_lPT7_lllS7_lllPT8_llli,comdat
	.globl	_ZL30rocblas_trmm_outofplace_kernelI19rocblas_complex_numIdELi32ELi2ELb0ELb1ELb1ELb1EPKS1_S2_S1_Ev17rocblas_diagonal_iiT6_lPT7_lllS7_lllPT8_llli ; -- Begin function _ZL30rocblas_trmm_outofplace_kernelI19rocblas_complex_numIdELi32ELi2ELb0ELb1ELb1ELb1EPKS1_S2_S1_Ev17rocblas_diagonal_iiT6_lPT7_lllS7_lllPT8_llli
	.p2align	8
	.type	_ZL30rocblas_trmm_outofplace_kernelI19rocblas_complex_numIdELi32ELi2ELb0ELb1ELb1ELb1EPKS1_S2_S1_Ev17rocblas_diagonal_iiT6_lPT7_lllS7_lllPT8_llli,@function
_ZL30rocblas_trmm_outofplace_kernelI19rocblas_complex_numIdELi32ELi2ELb0ELb1ELb1ELb1EPKS1_S2_S1_Ev17rocblas_diagonal_iiT6_lPT7_lllS7_lllPT8_llli: ; @_ZL30rocblas_trmm_outofplace_kernelI19rocblas_complex_numIdELi32ELi2ELb0ELb1ELb1ELb1EPKS1_S2_S1_Ev17rocblas_diagonal_iiT6_lPT7_lllS7_lllPT8_llli
; %bb.0:
	s_load_b32 s11, s[0:1], 0x80
	s_bfe_u32 s2, ttmp6, 0x40014
	s_lshr_b32 s3, ttmp7, 16
	s_add_co_i32 s2, s2, 1
	s_bfe_u32 s5, ttmp6, 0x40008
	s_mul_i32 s4, s3, s2
	s_getreg_b32 s2, hwreg(HW_REG_IB_STS2, 6, 4)
	s_add_co_i32 s5, s5, s4
	s_cmp_eq_u32 s2, 0
	s_mov_b32 s35, 0
	s_cselect_b32 s34, s3, s5
	s_wait_kmcnt 0x0
	s_cmp_ge_u32 s34, s11
	s_cbranch_scc1 .LBB130_68
; %bb.1:
	s_clause 0x3
	s_load_b96 s[8:10], s[0:1], 0x0
	s_load_b512 s[12:27], s[0:1], 0x10
	s_load_b128 s[28:31], s[0:1], 0x70
	s_load_b256 s[36:43], s[0:1], 0x50
	s_bfe_u32 s4, ttmp6, 0x4000c
	s_bfe_u32 s6, ttmp6, 0x40010
	s_add_co_i32 s4, s4, 1
	s_and_b32 s3, ttmp6, 15
	s_and_b32 s5, ttmp7, 0xffff
	s_add_nc_u64 s[44:45], s[0:1], 0x88
	s_add_co_i32 s6, s6, 1
	s_wait_xcnt 0x0
	s_mul_i32 s0, ttmp9, s4
	s_bfe_u32 s7, ttmp6, 0x40004
	s_mul_i32 s1, s5, s6
	s_add_co_i32 s3, s3, s0
	s_add_co_i32 s7, s7, s1
	v_and_b32_e32 v2, 0x3ff, v0
	v_bfe_u32 v70, v0, 10, 10
	s_wait_kmcnt 0x0
	s_add_co_i32 s0, s10, -1
	s_delay_alu instid0(SALU_CYCLE_1) | instskip(NEXT) | instid1(SALU_CYCLE_1)
	s_ashr_i32 s1, s0, 31
	s_lshr_b32 s1, s1, 27
	s_delay_alu instid0(SALU_CYCLE_1)
	s_add_co_i32 s4, s0, s1
	s_lshl_b64 s[0:1], s[42:43], 4
	s_ashr_i32 s33, s4, 5
	s_cmp_eq_u32 s2, 0
	s_add_nc_u64 s[40:41], s[40:41], s[0:1]
	s_cselect_b32 s2, ttmp9, s3
	s_cselect_b32 s56, s5, s7
	v_lshl_add_u32 v20, s2, 5, v2
	v_lshlrev_b32_e32 v71, 9, v70
	s_cmp_le_i32 s56, s33
	s_mov_b32 s2, s9
	s_cselect_b32 s57, -1, 0
	v_dual_ashrrev_i32 v21, 31, v20 :: v_dual_lshlrev_b32 v0, 4, v2
	s_cmp_eq_u32 s8, 0x84
	s_mov_b32 s42, s10
	s_cselect_b32 s58, -1, 0
	s_ashr_i32 s3, s9, 31
	v_or_b32_e32 v73, 0x4000, v0
	s_lshl_b32 s6, s56, 5
	s_delay_alu instid0(SALU_CYCLE_1) | instskip(SKIP_1) | instid1(VALU_DEP_2)
	v_dual_add_nc_u32 v22, 16, v20 :: v_dual_add_nc_u32 v78, s6, v2
	s_lshl_b64 s[4:5], s[26:27], 4
	v_dual_add_nc_u32 v74, v73, v71 :: v_dual_add_nc_u32 v72, v71, v0
	s_delay_alu instid0(VALU_DEP_2) | instskip(SKIP_2) | instid1(VALU_DEP_3)
	v_ashrrev_i32_e32 v23, 31, v22
	v_sub_nc_u64_e32 v[0:1], s[2:3], v[20:21]
	s_add_nc_u64 s[4:5], s[24:25], s[4:5]
	v_add_nc_u32_e32 v75, 0x100, v74
	v_add_nc_u32_e32 v76, 0x2000, v74
	v_add_nc_u32_e32 v77, 0x2100, v74
	v_cmp_gt_i32_e64 s2, s9, v20
	v_cmp_gt_i32_e64 s3, s9, v22
	v_cmp_gt_i64_e64 s0, 1, v[0:1]
	v_cmp_gt_i64_e64 s1, 17, v[0:1]
	v_add_nc_u32_e32 v79, s6, v70
	v_lshl_add_u64 v[24:25], v[20:21], 4, s[4:5]
	v_dual_mov_b32 v0, 0 :: v_dual_mov_b32 v1, 0x3ff00000
	s_ashr_i32 s43, s10, 31
	s_lshl_b64 s[4:5], s[18:19], 4
	s_lshl_b64 s[46:47], s[20:21], 9
	;; [unrolled: 1-line block ×3, first 2 shown]
	s_add_nc_u64 s[50:51], s[42:43], -16
	s_lshl_b64 s[24:25], s[36:37], 4
	s_lshl_b64 s[26:27], s[38:39], 4
	s_add_nc_u64 s[16:17], s[16:17], s[4:5]
	s_lshl_b64 s[18:19], s[22:23], 4
	s_lshl_b64 s[22:23], s[20:21], 4
	s_branch .LBB130_4
.LBB130_2:                              ;   in Loop: Header=BB130_4 Depth=1
	s_add_co_i32 s34, s34, 0x10000
	s_delay_alu instid0(SALU_CYCLE_1)
	s_cmp_ge_u32 s34, s11
	s_cselect_b32 s4, -1, 0
.LBB130_3:                              ;   in Loop: Header=BB130_4 Depth=1
	s_delay_alu instid0(SALU_CYCLE_1)
	s_and_b32 vcc_lo, exec_lo, s4
	s_cbranch_vccnz .LBB130_68
.LBB130_4:                              ; =>This Loop Header: Depth=1
                                        ;     Child Loop BB130_8 Depth 2
                                        ;       Child Loop BB130_11 Depth 3
	s_mul_u64 s[4:5], s[14:15], s[34:35]
	s_delay_alu instid0(SALU_CYCLE_1) | instskip(NEXT) | instid1(SALU_CYCLE_1)
	s_lshl_b64 s[4:5], s[4:5], 4
	s_add_nc_u64 s[4:5], s[12:13], s[4:5]
	global_load_b128 v[4:7], v0, s[4:5]
	s_wait_loadcnt 0x0
	v_cmp_eq_f64_e32 vcc_lo, 0, v[4:5]
	s_wait_xcnt 0x0
	v_cmp_eq_f64_e64 s4, 0, v[6:7]
	s_and_b32 s4, vcc_lo, s4
	s_delay_alu instid0(SALU_CYCLE_1)
	s_and_b32 vcc_lo, exec_lo, s4
	s_mov_b32 s4, -1
	s_cbranch_vccnz .LBB130_3
; %bb.5:                                ;   in Loop: Header=BB130_4 Depth=1
	s_and_not1_b32 vcc_lo, exec_lo, s57
	s_cbranch_vccnz .LBB130_2
; %bb.6:                                ;   in Loop: Header=BB130_4 Depth=1
	s_load_b32 s59, s[44:45], 0x4
	v_mad_nc_u64_u32 v[26:27], s26, s34, v[24:25]
	s_mul_u64 s[6:7], s[30:31], s[34:35]
	v_dual_mov_b32 v28, v79 :: v_dual_mov_b32 v30, v78
	s_mul_u64 s[4:5], s[18:19], s[34:35]
	s_lshl_b64 s[6:7], s[6:7], 4
	s_add_nc_u64 s[38:39], s[16:17], s[4:5]
	s_add_nc_u64 s[52:53], s[40:41], s[6:7]
	s_mov_b32 s61, s56
	s_delay_alu instid0(VALU_DEP_2)
	v_mad_u32 v27, s27, s34, v27
	s_wait_kmcnt 0x0
	s_lshl_b32 s60, s59, 5
	s_branch .LBB130_8
.LBB130_7:                              ;   in Loop: Header=BB130_8 Depth=2
	s_wait_xcnt 0x0
	s_or_b32 exec_lo, exec_lo, s4
	v_dual_add_nc_u32 v30, s60, v30 :: v_dual_add_nc_u32 v28, s60, v28
	s_add_co_i32 s61, s59, s61
	s_delay_alu instid0(SALU_CYCLE_1)
	s_cmp_gt_i32 s61, s33
	s_cbranch_scc1 .LBB130_2
.LBB130_8:                              ;   Parent Loop BB130_4 Depth=1
                                        ; =>  This Loop Header: Depth=2
                                        ;       Child Loop BB130_11 Depth 3
	s_lshl_b32 s4, s61, 5
	s_delay_alu instid0(SALU_CYCLE_1) | instskip(SKIP_2) | instid1(SALU_CYCLE_1)
	v_dual_ashrrev_i32 v29, 31, v28 :: v_dual_add_nc_u32 v32, s4, v70
	v_ashrrev_i32_e32 v31, 31, v30
	s_sub_co_i32 s62, s10, s4
	s_cmp_lt_i32 s62, 1
	s_delay_alu instid0(VALU_DEP_2)
	v_ashrrev_i32_e32 v33, 31, v32
	s_cbranch_scc1 .LBB130_59
; %bb.9:                                ;   in Loop: Header=BB130_8 Depth=2
	v_lshlrev_b64_e32 v[34:35], 4, v[28:29]
	v_lshl_add_u64 v[8:9], v[30:31], 4, 0x100
	v_mad_nc_u64_u32 v[36:37], s24, v28, 0x100
	v_mad_nc_u64_u32 v[38:39], s22, v30, s[38:39]
	v_sub_nc_u64_e32 v[44:45], v[28:29], v[30:31]
	v_add_nc_u64_e32 v[46:47], 16, v[32:33]
	v_mad_nc_u64_u32 v[40:41], s20, v8, s[38:39]
	v_add_nc_u64_e32 v[2:3], 0x100, v[34:35]
	v_mov_b64_e32 v[62:63], 0
	v_mov_b64_e32 v[68:69], 0
	;; [unrolled: 1-line block ×3, first 2 shown]
	v_add_nc_u64_e32 v[48:49], 16, v[44:45]
	v_add_nc_u64_e32 v[50:51], -16, v[44:45]
	v_mad_u32 v10, s25, v28, v37
	v_mad_nc_u64_u32 v[42:43], s36, v2, 0x100
	v_mad_u32 v11, s23, v30, v39
	v_mov_b64_e32 v[66:67], 0
	v_mad_u32 v8, s21, v8, v41
	v_mov_b64_e32 v[56:57], 0
	v_mov_b64_e32 v[54:55], 0
	;; [unrolled: 1-line block ×5, first 2 shown]
	v_cmp_le_i32_e64 s4, s10, v32
	v_mad_u32 v37, s24, v29, v10
	v_mad_u32 v2, s37, v2, v43
	;; [unrolled: 1-line block ×3, first 2 shown]
	s_mov_b64 s[54:55], 0
	v_mad_u32 v41, s20, v9, v8
	v_cmp_le_i64_e32 vcc_lo, s[42:43], v[46:47]
	s_delay_alu instid0(VALU_DEP_4)
	v_mad_u32 v43, s36, v3, v2
	s_branch .LBB130_11
.LBB130_10:                             ;   in Loop: Header=BB130_11 Depth=3
	s_or_b32 exec_lo, exec_lo, s5
	s_wait_dscnt 0x0
	s_barrier_signal -1
	s_barrier_wait -1
	ds_load_b128 v[80:83], v71
	ds_load_b128 v[16:19], v71 offset:16
	ds_load_b128 v[12:15], v71 offset:32
	;; [unrolled: 1-line block ×3, first 2 shown]
	ds_load_b128 v[84:87], v73
	v_add_nc_u64_e32 v[52:53], s[48:49], v[52:53]
	v_add_nc_u64_e32 v[38:39], s[46:47], v[38:39]
	;; [unrolled: 1-line block ×3, first 2 shown]
	s_add_nc_u64 s[54:55], s[54:55], 32
	s_delay_alu instid0(SALU_CYCLE_1) | instskip(SKIP_3) | instid1(VALU_DEP_2)
	s_cmp_ge_i32 s54, s62
	s_wait_dscnt 0x0
	v_mul_f64_e32 v[2:3], v[82:83], v[86:87]
	v_mul_f64_e32 v[88:89], v[80:81], v[86:87]
	v_fma_f64 v[2:3], v[80:81], v[84:85], -v[2:3]
	s_delay_alu instid0(VALU_DEP_2) | instskip(NEXT) | instid1(VALU_DEP_2)
	v_fmac_f64_e32 v[88:89], v[82:83], v[84:85]
	v_add_f64_e32 v[90:91], v[58:59], v[2:3]
	s_delay_alu instid0(VALU_DEP_2) | instskip(SKIP_3) | instid1(VALU_DEP_1)
	v_add_f64_e32 v[88:89], v[88:89], v[60:61]
	ds_load_b128 v[58:61], v73 offset:256
	s_wait_dscnt 0x0
	v_mul_f64_e32 v[2:3], v[82:83], v[60:61]
	v_fma_f64 v[2:3], v[80:81], v[58:59], -v[2:3]
	v_mul_f64_e32 v[80:81], v[80:81], v[60:61]
	s_delay_alu instid0(VALU_DEP_2) | instskip(NEXT) | instid1(VALU_DEP_2)
	v_add_f64_e32 v[92:93], v[54:55], v[2:3]
	v_fmac_f64_e32 v[80:81], v[82:83], v[58:59]
	s_delay_alu instid0(VALU_DEP_1)
	v_add_f64_e32 v[94:95], v[80:81], v[56:57]
	ds_load_b128 v[80:83], v71 offset:8192
	s_wait_dscnt 0x0
	v_mul_f64_e32 v[2:3], v[82:83], v[86:87]
	v_mul_f64_e32 v[54:55], v[80:81], v[86:87]
	v_mul_f64_e32 v[56:57], v[82:83], v[60:61]
	v_mul_f64_e32 v[60:61], v[80:81], v[60:61]
	s_delay_alu instid0(VALU_DEP_4) | instskip(NEXT) | instid1(VALU_DEP_4)
	v_fma_f64 v[2:3], v[80:81], v[84:85], -v[2:3]
	v_fmac_f64_e32 v[54:55], v[82:83], v[84:85]
	s_delay_alu instid0(VALU_DEP_4) | instskip(NEXT) | instid1(VALU_DEP_4)
	v_fma_f64 v[56:57], v[80:81], v[58:59], -v[56:57]
	v_fmac_f64_e32 v[60:61], v[82:83], v[58:59]
	ds_load_b128 v[80:83], v73 offset:768
	s_wait_dscnt 0x0
	v_mul_f64_e32 v[84:85], v[16:17], v[82:83]
	v_add_f64_e32 v[2:3], v[66:67], v[2:3]
	v_add_f64_e32 v[54:55], v[54:55], v[64:65]
	ds_load_b128 v[64:67], v73 offset:512
	v_add_f64_e32 v[56:57], v[68:69], v[56:57]
	v_mul_f64_e32 v[68:69], v[18:19], v[82:83]
	v_add_f64_e32 v[58:59], v[60:61], v[62:63]
	s_wait_dscnt 0x0
	v_mul_f64_e32 v[62:63], v[16:17], v[66:67]
	v_mul_f64_e32 v[60:61], v[18:19], v[66:67]
	v_fmac_f64_e32 v[84:85], v[18:19], v[80:81]
	v_fma_f64 v[68:69], v[16:17], v[80:81], -v[68:69]
	s_delay_alu instid0(VALU_DEP_4) | instskip(NEXT) | instid1(VALU_DEP_4)
	v_fmac_f64_e32 v[62:63], v[18:19], v[64:65]
	v_fma_f64 v[60:61], v[16:17], v[64:65], -v[60:61]
	s_delay_alu instid0(VALU_DEP_4)
	v_add_f64_e32 v[18:19], v[84:85], v[94:95]
	ds_load_b128 v[84:87], v71 offset:8208
	v_add_f64_e32 v[16:17], v[92:93], v[68:69]
	s_wait_dscnt 0x0
	v_mul_f64_e32 v[68:69], v[86:87], v[66:67]
	v_mul_f64_e32 v[66:67], v[84:85], v[66:67]
	v_add_f64_e32 v[62:63], v[62:63], v[88:89]
	v_add_f64_e32 v[60:61], v[90:91], v[60:61]
	s_delay_alu instid0(VALU_DEP_4) | instskip(NEXT) | instid1(VALU_DEP_4)
	v_fma_f64 v[68:69], v[84:85], v[64:65], -v[68:69]
	v_fmac_f64_e32 v[66:67], v[86:87], v[64:65]
	s_delay_alu instid0(VALU_DEP_2) | instskip(NEXT) | instid1(VALU_DEP_2)
	v_add_f64_e32 v[2:3], v[2:3], v[68:69]
	v_add_f64_e32 v[64:65], v[66:67], v[54:55]
	v_mul_f64_e32 v[54:55], v[86:87], v[82:83]
	v_mul_f64_e32 v[66:67], v[84:85], v[82:83]
	s_delay_alu instid0(VALU_DEP_2) | instskip(NEXT) | instid1(VALU_DEP_2)
	v_fma_f64 v[54:55], v[84:85], v[80:81], -v[54:55]
	v_fmac_f64_e32 v[66:67], v[86:87], v[80:81]
	s_delay_alu instid0(VALU_DEP_2)
	v_add_f64_e32 v[68:69], v[56:57], v[54:55]
	ds_load_b128 v[54:57], v73 offset:1024
	v_add_f64_e32 v[66:67], v[66:67], v[58:59]
	s_wait_dscnt 0x0
	v_mul_f64_e32 v[58:59], v[14:15], v[56:57]
	v_mul_f64_e32 v[80:81], v[12:13], v[56:57]
	s_delay_alu instid0(VALU_DEP_2) | instskip(NEXT) | instid1(VALU_DEP_2)
	v_fma_f64 v[58:59], v[12:13], v[54:55], -v[58:59]
	v_fmac_f64_e32 v[80:81], v[14:15], v[54:55]
	s_delay_alu instid0(VALU_DEP_2) | instskip(SKIP_4) | instid1(VALU_DEP_1)
	v_add_f64_e32 v[82:83], v[60:61], v[58:59]
	ds_load_b128 v[58:61], v73 offset:1280
	v_add_f64_e32 v[80:81], v[80:81], v[62:63]
	s_wait_dscnt 0x0
	v_mul_f64_e32 v[62:63], v[14:15], v[60:61]
	v_fma_f64 v[62:63], v[12:13], v[58:59], -v[62:63]
	v_mul_f64_e32 v[12:13], v[12:13], v[60:61]
	s_delay_alu instid0(VALU_DEP_2) | instskip(NEXT) | instid1(VALU_DEP_2)
	v_add_f64_e32 v[84:85], v[16:17], v[62:63]
	v_fmac_f64_e32 v[12:13], v[14:15], v[58:59]
	s_delay_alu instid0(VALU_DEP_1) | instskip(SKIP_4) | instid1(VALU_DEP_2)
	v_add_f64_e32 v[86:87], v[12:13], v[18:19]
	ds_load_b128 v[12:15], v71 offset:8224
	s_wait_dscnt 0x0
	v_mul_f64_e32 v[16:17], v[14:15], v[56:57]
	v_mul_f64_e32 v[18:19], v[12:13], v[56:57]
	v_fma_f64 v[16:17], v[12:13], v[54:55], -v[16:17]
	s_delay_alu instid0(VALU_DEP_2) | instskip(NEXT) | instid1(VALU_DEP_2)
	v_fmac_f64_e32 v[18:19], v[14:15], v[54:55]
	v_add_f64_e32 v[62:63], v[2:3], v[16:17]
	v_mul_f64_e32 v[2:3], v[14:15], v[60:61]
	s_delay_alu instid0(VALU_DEP_3) | instskip(SKIP_3) | instid1(VALU_DEP_1)
	v_add_f64_e32 v[64:65], v[18:19], v[64:65]
	ds_load_b128 v[16:19], v73 offset:1536
	v_fma_f64 v[2:3], v[12:13], v[58:59], -v[2:3]
	v_mul_f64_e32 v[12:13], v[12:13], v[60:61]
	v_fmac_f64_e32 v[12:13], v[14:15], v[58:59]
	s_delay_alu instid0(VALU_DEP_3) | instskip(NEXT) | instid1(VALU_DEP_2)
	v_add_f64_e32 v[58:59], v[68:69], v[2:3]
	v_add_f64_e32 v[60:61], v[12:13], v[66:67]
	ds_load_b128 v[66:69], v71 offset:8240
	s_wait_dscnt 0x1
	v_mul_f64_e32 v[12:13], v[8:9], v[18:19]
	v_mul_f64_e32 v[2:3], v[10:11], v[18:19]
	s_delay_alu instid0(VALU_DEP_2) | instskip(NEXT) | instid1(VALU_DEP_2)
	v_fmac_f64_e32 v[12:13], v[10:11], v[16:17]
	v_fma_f64 v[2:3], v[8:9], v[16:17], -v[2:3]
	s_delay_alu instid0(VALU_DEP_2) | instskip(SKIP_4) | instid1(VALU_DEP_1)
	v_add_f64_e32 v[56:57], v[12:13], v[80:81]
	ds_load_b128 v[12:15], v73 offset:1792
	v_add_f64_e32 v[54:55], v[82:83], v[2:3]
	s_wait_dscnt 0x0
	v_mul_f64_e32 v[2:3], v[10:11], v[14:15]
	v_fma_f64 v[2:3], v[8:9], v[12:13], -v[2:3]
	v_mul_f64_e32 v[8:9], v[8:9], v[14:15]
	s_delay_alu instid0(VALU_DEP_2) | instskip(NEXT) | instid1(VALU_DEP_2)
	v_add_f64_e32 v[2:3], v[84:85], v[2:3]
	v_fmac_f64_e32 v[8:9], v[10:11], v[12:13]
	v_mul_f64_e32 v[10:11], v[68:69], v[18:19]
	v_mul_f64_e32 v[18:19], v[66:67], v[18:19]
	s_delay_alu instid0(VALU_DEP_3) | instskip(NEXT) | instid1(VALU_DEP_3)
	v_add_f64_e32 v[8:9], v[8:9], v[86:87]
	v_fma_f64 v[10:11], v[66:67], v[16:17], -v[10:11]
	s_delay_alu instid0(VALU_DEP_3) | instskip(NEXT) | instid1(VALU_DEP_2)
	v_fmac_f64_e32 v[18:19], v[68:69], v[16:17]
	v_add_f64_e32 v[62:63], v[62:63], v[10:11]
	v_mul_f64_e32 v[10:11], v[68:69], v[14:15]
	v_mul_f64_e32 v[14:15], v[66:67], v[14:15]
	s_delay_alu instid0(VALU_DEP_4) | instskip(NEXT) | instid1(VALU_DEP_3)
	v_add_f64_e32 v[18:19], v[18:19], v[64:65]
	v_fma_f64 v[10:11], v[66:67], v[12:13], -v[10:11]
	s_delay_alu instid0(VALU_DEP_3) | instskip(NEXT) | instid1(VALU_DEP_2)
	v_fmac_f64_e32 v[14:15], v[68:69], v[12:13]
	v_add_f64_e32 v[58:59], v[58:59], v[10:11]
	s_delay_alu instid0(VALU_DEP_2)
	v_add_f64_e32 v[60:61], v[14:15], v[60:61]
	ds_load_b128 v[10:13], v71 offset:64
	ds_load_b128 v[14:17], v73 offset:2048
	s_wait_dscnt 0x0
	v_mul_f64_e32 v[64:65], v[12:13], v[16:17]
	v_mul_f64_e32 v[66:67], v[10:11], v[16:17]
	s_delay_alu instid0(VALU_DEP_2) | instskip(NEXT) | instid1(VALU_DEP_2)
	v_fma_f64 v[64:65], v[10:11], v[14:15], -v[64:65]
	v_fmac_f64_e32 v[66:67], v[12:13], v[14:15]
	s_delay_alu instid0(VALU_DEP_2) | instskip(NEXT) | instid1(VALU_DEP_2)
	v_add_f64_e32 v[68:69], v[54:55], v[64:65]
	v_add_f64_e32 v[80:81], v[66:67], v[56:57]
	ds_load_b128 v[54:57], v73 offset:2304
	s_wait_dscnt 0x0
	v_mul_f64_e32 v[64:65], v[12:13], v[56:57]
	s_delay_alu instid0(VALU_DEP_1) | instskip(SKIP_1) | instid1(VALU_DEP_2)
	v_fma_f64 v[64:65], v[10:11], v[54:55], -v[64:65]
	v_mul_f64_e32 v[10:11], v[10:11], v[56:57]
	v_add_f64_e32 v[82:83], v[2:3], v[64:65]
	s_delay_alu instid0(VALU_DEP_2) | instskip(NEXT) | instid1(VALU_DEP_1)
	v_fmac_f64_e32 v[10:11], v[12:13], v[54:55]
	v_add_f64_e32 v[84:85], v[10:11], v[8:9]
	ds_load_b128 v[8:11], v71 offset:8256
	s_wait_dscnt 0x0
	v_mul_f64_e32 v[2:3], v[10:11], v[16:17]
	v_mul_f64_e32 v[12:13], v[8:9], v[16:17]
	s_delay_alu instid0(VALU_DEP_2) | instskip(NEXT) | instid1(VALU_DEP_2)
	v_fma_f64 v[2:3], v[8:9], v[14:15], -v[2:3]
	v_fmac_f64_e32 v[12:13], v[10:11], v[14:15]
	s_delay_alu instid0(VALU_DEP_2) | instskip(SKIP_1) | instid1(VALU_DEP_3)
	v_add_f64_e32 v[14:15], v[62:63], v[2:3]
	v_mul_f64_e32 v[2:3], v[10:11], v[56:57]
	v_add_f64_e32 v[16:17], v[12:13], v[18:19]
	s_delay_alu instid0(VALU_DEP_2) | instskip(SKIP_1) | instid1(VALU_DEP_2)
	v_fma_f64 v[2:3], v[8:9], v[54:55], -v[2:3]
	v_mul_f64_e32 v[8:9], v[8:9], v[56:57]
	v_add_f64_e32 v[2:3], v[58:59], v[2:3]
	s_delay_alu instid0(VALU_DEP_2) | instskip(NEXT) | instid1(VALU_DEP_1)
	v_fmac_f64_e32 v[8:9], v[10:11], v[54:55]
	v_add_f64_e32 v[12:13], v[8:9], v[60:61]
	ds_load_b128 v[60:63], v71 offset:80
	ds_load_b128 v[64:67], v73 offset:2560
	s_wait_dscnt 0x0
	v_mul_f64_e32 v[8:9], v[62:63], v[66:67]
	v_mul_f64_e32 v[10:11], v[60:61], v[66:67]
	s_delay_alu instid0(VALU_DEP_2) | instskip(NEXT) | instid1(VALU_DEP_2)
	v_fma_f64 v[8:9], v[60:61], v[64:65], -v[8:9]
	v_fmac_f64_e32 v[10:11], v[62:63], v[64:65]
	s_delay_alu instid0(VALU_DEP_2) | instskip(NEXT) | instid1(VALU_DEP_2)
	v_add_f64_e32 v[56:57], v[68:69], v[8:9]
	v_add_f64_e32 v[58:59], v[10:11], v[80:81]
	ds_load_b128 v[8:11], v73 offset:2816
	s_wait_dscnt 0x0
	v_mul_f64_e32 v[18:19], v[62:63], v[10:11]
	v_mul_f64_e32 v[54:55], v[60:61], v[10:11]
	s_delay_alu instid0(VALU_DEP_2) | instskip(NEXT) | instid1(VALU_DEP_2)
	v_fma_f64 v[18:19], v[60:61], v[8:9], -v[18:19]
	v_fmac_f64_e32 v[54:55], v[62:63], v[8:9]
	ds_load_b128 v[60:63], v71 offset:8272
	s_wait_dscnt 0x0
	v_mul_f64_e32 v[68:69], v[62:63], v[66:67]
	v_mul_f64_e32 v[66:67], v[60:61], v[66:67]
	v_add_f64_e32 v[18:19], v[82:83], v[18:19]
	v_add_f64_e32 v[54:55], v[54:55], v[84:85]
	s_delay_alu instid0(VALU_DEP_4) | instskip(NEXT) | instid1(VALU_DEP_4)
	v_fma_f64 v[68:69], v[60:61], v[64:65], -v[68:69]
	v_fmac_f64_e32 v[66:67], v[62:63], v[64:65]
	s_delay_alu instid0(VALU_DEP_2) | instskip(SKIP_2) | instid1(VALU_DEP_4)
	v_add_f64_e32 v[64:65], v[14:15], v[68:69]
	v_mul_f64_e32 v[14:15], v[62:63], v[10:11]
	v_mul_f64_e32 v[10:11], v[60:61], v[10:11]
	v_add_f64_e32 v[16:17], v[66:67], v[16:17]
	s_delay_alu instid0(VALU_DEP_3) | instskip(NEXT) | instid1(VALU_DEP_3)
	v_fma_f64 v[14:15], v[60:61], v[8:9], -v[14:15]
	v_fmac_f64_e32 v[10:11], v[62:63], v[8:9]
	s_delay_alu instid0(VALU_DEP_2) | instskip(NEXT) | instid1(VALU_DEP_2)
	v_add_f64_e32 v[2:3], v[2:3], v[14:15]
	v_add_f64_e32 v[60:61], v[10:11], v[12:13]
	ds_load_b128 v[8:11], v71 offset:96
	ds_load_b128 v[12:15], v73 offset:3072
	s_wait_dscnt 0x0
	v_mul_f64_e32 v[62:63], v[10:11], v[14:15]
	v_mul_f64_e32 v[66:67], v[8:9], v[14:15]
	s_delay_alu instid0(VALU_DEP_2) | instskip(NEXT) | instid1(VALU_DEP_2)
	v_fma_f64 v[62:63], v[8:9], v[12:13], -v[62:63]
	v_fmac_f64_e32 v[66:67], v[10:11], v[12:13]
	s_delay_alu instid0(VALU_DEP_2) | instskip(NEXT) | instid1(VALU_DEP_2)
	v_add_f64_e32 v[68:69], v[56:57], v[62:63]
	v_add_f64_e32 v[80:81], v[66:67], v[58:59]
	ds_load_b128 v[56:59], v73 offset:3328
	s_wait_dscnt 0x0
	v_mul_f64_e32 v[62:63], v[10:11], v[58:59]
	s_delay_alu instid0(VALU_DEP_1) | instskip(SKIP_1) | instid1(VALU_DEP_2)
	v_fma_f64 v[62:63], v[8:9], v[56:57], -v[62:63]
	v_mul_f64_e32 v[8:9], v[8:9], v[58:59]
	v_add_f64_e32 v[18:19], v[18:19], v[62:63]
	s_delay_alu instid0(VALU_DEP_2) | instskip(NEXT) | instid1(VALU_DEP_1)
	v_fmac_f64_e32 v[8:9], v[10:11], v[56:57]
	v_add_f64_e32 v[54:55], v[8:9], v[54:55]
	ds_load_b128 v[8:11], v71 offset:8288
	s_wait_dscnt 0x0
	v_mul_f64_e32 v[62:63], v[10:11], v[14:15]
	v_mul_f64_e32 v[66:67], v[8:9], v[14:15]
	s_delay_alu instid0(VALU_DEP_2) | instskip(NEXT) | instid1(VALU_DEP_2)
	v_fma_f64 v[62:63], v[8:9], v[12:13], -v[62:63]
	v_fmac_f64_e32 v[66:67], v[10:11], v[12:13]
	v_mul_f64_e32 v[12:13], v[10:11], v[58:59]
	s_delay_alu instid0(VALU_DEP_3) | instskip(NEXT) | instid1(VALU_DEP_3)
	v_add_f64_e32 v[14:15], v[64:65], v[62:63]
	v_add_f64_e32 v[16:17], v[66:67], v[16:17]
	s_delay_alu instid0(VALU_DEP_3) | instskip(SKIP_1) | instid1(VALU_DEP_2)
	v_fma_f64 v[12:13], v[8:9], v[56:57], -v[12:13]
	v_mul_f64_e32 v[8:9], v[8:9], v[58:59]
	v_add_f64_e32 v[2:3], v[2:3], v[12:13]
	s_delay_alu instid0(VALU_DEP_2) | instskip(NEXT) | instid1(VALU_DEP_1)
	v_fmac_f64_e32 v[8:9], v[10:11], v[56:57]
	v_add_f64_e32 v[12:13], v[8:9], v[60:61]
	ds_load_b128 v[60:63], v71 offset:112
	ds_load_b128 v[64:67], v73 offset:3584
	s_wait_dscnt 0x0
	v_mul_f64_e32 v[8:9], v[62:63], v[66:67]
	v_mul_f64_e32 v[10:11], v[60:61], v[66:67]
	s_delay_alu instid0(VALU_DEP_2) | instskip(NEXT) | instid1(VALU_DEP_2)
	v_fma_f64 v[8:9], v[60:61], v[64:65], -v[8:9]
	v_fmac_f64_e32 v[10:11], v[62:63], v[64:65]
	s_delay_alu instid0(VALU_DEP_2) | instskip(NEXT) | instid1(VALU_DEP_2)
	v_add_f64_e32 v[56:57], v[68:69], v[8:9]
	v_add_f64_e32 v[58:59], v[10:11], v[80:81]
	ds_load_b128 v[8:11], v73 offset:3840
	s_wait_dscnt 0x0
	v_mul_f64_e32 v[68:69], v[62:63], v[10:11]
	s_delay_alu instid0(VALU_DEP_1) | instskip(SKIP_1) | instid1(VALU_DEP_2)
	v_fma_f64 v[68:69], v[60:61], v[8:9], -v[68:69]
	v_mul_f64_e32 v[60:61], v[60:61], v[10:11]
	v_add_f64_e32 v[18:19], v[18:19], v[68:69]
	s_delay_alu instid0(VALU_DEP_2) | instskip(NEXT) | instid1(VALU_DEP_1)
	v_fmac_f64_e32 v[60:61], v[62:63], v[8:9]
	v_add_f64_e32 v[54:55], v[60:61], v[54:55]
	ds_load_b128 v[60:63], v71 offset:8304
	s_wait_dscnt 0x0
	v_mul_f64_e32 v[68:69], v[62:63], v[66:67]
	v_mul_f64_e32 v[66:67], v[60:61], v[66:67]
	s_delay_alu instid0(VALU_DEP_2) | instskip(NEXT) | instid1(VALU_DEP_2)
	v_fma_f64 v[68:69], v[60:61], v[64:65], -v[68:69]
	v_fmac_f64_e32 v[66:67], v[62:63], v[64:65]
	s_delay_alu instid0(VALU_DEP_2) | instskip(SKIP_2) | instid1(VALU_DEP_4)
	v_add_f64_e32 v[64:65], v[14:15], v[68:69]
	v_mul_f64_e32 v[14:15], v[62:63], v[10:11]
	v_mul_f64_e32 v[10:11], v[60:61], v[10:11]
	v_add_f64_e32 v[16:17], v[66:67], v[16:17]
	s_delay_alu instid0(VALU_DEP_3) | instskip(NEXT) | instid1(VALU_DEP_3)
	v_fma_f64 v[14:15], v[60:61], v[8:9], -v[14:15]
	v_fmac_f64_e32 v[10:11], v[62:63], v[8:9]
	s_delay_alu instid0(VALU_DEP_2) | instskip(NEXT) | instid1(VALU_DEP_2)
	v_add_f64_e32 v[2:3], v[2:3], v[14:15]
	v_add_f64_e32 v[60:61], v[10:11], v[12:13]
	ds_load_b128 v[8:11], v71 offset:128
	ds_load_b128 v[12:15], v73 offset:4096
	s_wait_dscnt 0x0
	v_mul_f64_e32 v[62:63], v[10:11], v[14:15]
	v_mul_f64_e32 v[66:67], v[8:9], v[14:15]
	s_delay_alu instid0(VALU_DEP_2) | instskip(NEXT) | instid1(VALU_DEP_2)
	v_fma_f64 v[62:63], v[8:9], v[12:13], -v[62:63]
	v_fmac_f64_e32 v[66:67], v[10:11], v[12:13]
	s_delay_alu instid0(VALU_DEP_2) | instskip(NEXT) | instid1(VALU_DEP_2)
	v_add_f64_e32 v[68:69], v[56:57], v[62:63]
	v_add_f64_e32 v[80:81], v[66:67], v[58:59]
	ds_load_b128 v[56:59], v73 offset:4352
	s_wait_dscnt 0x0
	v_mul_f64_e32 v[62:63], v[10:11], v[58:59]
	s_delay_alu instid0(VALU_DEP_1) | instskip(SKIP_1) | instid1(VALU_DEP_2)
	v_fma_f64 v[62:63], v[8:9], v[56:57], -v[62:63]
	v_mul_f64_e32 v[8:9], v[8:9], v[58:59]
	v_add_f64_e32 v[18:19], v[18:19], v[62:63]
	s_delay_alu instid0(VALU_DEP_2) | instskip(NEXT) | instid1(VALU_DEP_1)
	v_fmac_f64_e32 v[8:9], v[10:11], v[56:57]
	v_add_f64_e32 v[54:55], v[8:9], v[54:55]
	ds_load_b128 v[8:11], v71 offset:8320
	s_wait_dscnt 0x0
	v_mul_f64_e32 v[62:63], v[10:11], v[14:15]
	v_mul_f64_e32 v[66:67], v[8:9], v[14:15]
	s_delay_alu instid0(VALU_DEP_2) | instskip(NEXT) | instid1(VALU_DEP_2)
	v_fma_f64 v[62:63], v[8:9], v[12:13], -v[62:63]
	v_fmac_f64_e32 v[66:67], v[10:11], v[12:13]
	v_mul_f64_e32 v[12:13], v[10:11], v[58:59]
	s_delay_alu instid0(VALU_DEP_3) | instskip(NEXT) | instid1(VALU_DEP_3)
	v_add_f64_e32 v[14:15], v[64:65], v[62:63]
	v_add_f64_e32 v[16:17], v[66:67], v[16:17]
	s_delay_alu instid0(VALU_DEP_3) | instskip(SKIP_1) | instid1(VALU_DEP_2)
	v_fma_f64 v[12:13], v[8:9], v[56:57], -v[12:13]
	v_mul_f64_e32 v[8:9], v[8:9], v[58:59]
	v_add_f64_e32 v[2:3], v[2:3], v[12:13]
	s_delay_alu instid0(VALU_DEP_2) | instskip(NEXT) | instid1(VALU_DEP_1)
	v_fmac_f64_e32 v[8:9], v[10:11], v[56:57]
	v_add_f64_e32 v[12:13], v[8:9], v[60:61]
	ds_load_b128 v[60:63], v71 offset:144
	ds_load_b128 v[64:67], v73 offset:4608
	s_wait_dscnt 0x0
	v_mul_f64_e32 v[8:9], v[62:63], v[66:67]
	v_mul_f64_e32 v[10:11], v[60:61], v[66:67]
	s_delay_alu instid0(VALU_DEP_2) | instskip(NEXT) | instid1(VALU_DEP_2)
	v_fma_f64 v[8:9], v[60:61], v[64:65], -v[8:9]
	v_fmac_f64_e32 v[10:11], v[62:63], v[64:65]
	s_delay_alu instid0(VALU_DEP_2) | instskip(NEXT) | instid1(VALU_DEP_2)
	v_add_f64_e32 v[56:57], v[68:69], v[8:9]
	v_add_f64_e32 v[58:59], v[10:11], v[80:81]
	ds_load_b128 v[8:11], v73 offset:4864
	s_wait_dscnt 0x0
	v_mul_f64_e32 v[68:69], v[62:63], v[10:11]
	s_delay_alu instid0(VALU_DEP_1) | instskip(SKIP_1) | instid1(VALU_DEP_2)
	v_fma_f64 v[68:69], v[60:61], v[8:9], -v[68:69]
	v_mul_f64_e32 v[60:61], v[60:61], v[10:11]
	v_add_f64_e32 v[18:19], v[18:19], v[68:69]
	s_delay_alu instid0(VALU_DEP_2) | instskip(NEXT) | instid1(VALU_DEP_1)
	v_fmac_f64_e32 v[60:61], v[62:63], v[8:9]
	v_add_f64_e32 v[54:55], v[60:61], v[54:55]
	ds_load_b128 v[60:63], v71 offset:8336
	s_wait_dscnt 0x0
	v_mul_f64_e32 v[68:69], v[62:63], v[66:67]
	v_mul_f64_e32 v[66:67], v[60:61], v[66:67]
	s_delay_alu instid0(VALU_DEP_2) | instskip(NEXT) | instid1(VALU_DEP_2)
	v_fma_f64 v[68:69], v[60:61], v[64:65], -v[68:69]
	v_fmac_f64_e32 v[66:67], v[62:63], v[64:65]
	s_delay_alu instid0(VALU_DEP_2) | instskip(SKIP_2) | instid1(VALU_DEP_4)
	v_add_f64_e32 v[64:65], v[14:15], v[68:69]
	v_mul_f64_e32 v[14:15], v[62:63], v[10:11]
	v_mul_f64_e32 v[10:11], v[60:61], v[10:11]
	v_add_f64_e32 v[16:17], v[66:67], v[16:17]
	s_delay_alu instid0(VALU_DEP_3) | instskip(NEXT) | instid1(VALU_DEP_3)
	v_fma_f64 v[14:15], v[60:61], v[8:9], -v[14:15]
	v_fmac_f64_e32 v[10:11], v[62:63], v[8:9]
	s_delay_alu instid0(VALU_DEP_2) | instskip(NEXT) | instid1(VALU_DEP_2)
	v_add_f64_e32 v[2:3], v[2:3], v[14:15]
	v_add_f64_e32 v[60:61], v[10:11], v[12:13]
	ds_load_b128 v[8:11], v71 offset:160
	ds_load_b128 v[12:15], v73 offset:5120
	s_wait_dscnt 0x0
	v_mul_f64_e32 v[62:63], v[10:11], v[14:15]
	v_mul_f64_e32 v[66:67], v[8:9], v[14:15]
	s_delay_alu instid0(VALU_DEP_2) | instskip(NEXT) | instid1(VALU_DEP_2)
	v_fma_f64 v[62:63], v[8:9], v[12:13], -v[62:63]
	v_fmac_f64_e32 v[66:67], v[10:11], v[12:13]
	s_delay_alu instid0(VALU_DEP_2) | instskip(NEXT) | instid1(VALU_DEP_2)
	v_add_f64_e32 v[68:69], v[56:57], v[62:63]
	v_add_f64_e32 v[80:81], v[66:67], v[58:59]
	ds_load_b128 v[56:59], v73 offset:5376
	s_wait_dscnt 0x0
	v_mul_f64_e32 v[62:63], v[10:11], v[58:59]
	s_delay_alu instid0(VALU_DEP_1) | instskip(SKIP_1) | instid1(VALU_DEP_2)
	v_fma_f64 v[62:63], v[8:9], v[56:57], -v[62:63]
	v_mul_f64_e32 v[8:9], v[8:9], v[58:59]
	v_add_f64_e32 v[18:19], v[18:19], v[62:63]
	s_delay_alu instid0(VALU_DEP_2) | instskip(NEXT) | instid1(VALU_DEP_1)
	v_fmac_f64_e32 v[8:9], v[10:11], v[56:57]
	v_add_f64_e32 v[54:55], v[8:9], v[54:55]
	ds_load_b128 v[8:11], v71 offset:8352
	s_wait_dscnt 0x0
	v_mul_f64_e32 v[62:63], v[10:11], v[14:15]
	v_mul_f64_e32 v[66:67], v[8:9], v[14:15]
	s_delay_alu instid0(VALU_DEP_2) | instskip(NEXT) | instid1(VALU_DEP_2)
	v_fma_f64 v[62:63], v[8:9], v[12:13], -v[62:63]
	v_fmac_f64_e32 v[66:67], v[10:11], v[12:13]
	v_mul_f64_e32 v[12:13], v[10:11], v[58:59]
	s_delay_alu instid0(VALU_DEP_3) | instskip(NEXT) | instid1(VALU_DEP_3)
	v_add_f64_e32 v[14:15], v[64:65], v[62:63]
	v_add_f64_e32 v[16:17], v[66:67], v[16:17]
	s_delay_alu instid0(VALU_DEP_3) | instskip(SKIP_1) | instid1(VALU_DEP_2)
	v_fma_f64 v[12:13], v[8:9], v[56:57], -v[12:13]
	v_mul_f64_e32 v[8:9], v[8:9], v[58:59]
	v_add_f64_e32 v[2:3], v[2:3], v[12:13]
	s_delay_alu instid0(VALU_DEP_2) | instskip(NEXT) | instid1(VALU_DEP_1)
	v_fmac_f64_e32 v[8:9], v[10:11], v[56:57]
	v_add_f64_e32 v[12:13], v[8:9], v[60:61]
	ds_load_b128 v[60:63], v71 offset:176
	ds_load_b128 v[64:67], v73 offset:5632
	s_wait_dscnt 0x0
	v_mul_f64_e32 v[8:9], v[62:63], v[66:67]
	v_mul_f64_e32 v[10:11], v[60:61], v[66:67]
	s_delay_alu instid0(VALU_DEP_2) | instskip(NEXT) | instid1(VALU_DEP_2)
	v_fma_f64 v[8:9], v[60:61], v[64:65], -v[8:9]
	v_fmac_f64_e32 v[10:11], v[62:63], v[64:65]
	s_delay_alu instid0(VALU_DEP_2) | instskip(NEXT) | instid1(VALU_DEP_2)
	v_add_f64_e32 v[56:57], v[68:69], v[8:9]
	v_add_f64_e32 v[58:59], v[10:11], v[80:81]
	ds_load_b128 v[8:11], v73 offset:5888
	s_wait_dscnt 0x0
	v_mul_f64_e32 v[68:69], v[62:63], v[10:11]
	s_delay_alu instid0(VALU_DEP_1) | instskip(SKIP_1) | instid1(VALU_DEP_2)
	v_fma_f64 v[68:69], v[60:61], v[8:9], -v[68:69]
	v_mul_f64_e32 v[60:61], v[60:61], v[10:11]
	v_add_f64_e32 v[18:19], v[18:19], v[68:69]
	s_delay_alu instid0(VALU_DEP_2) | instskip(NEXT) | instid1(VALU_DEP_1)
	v_fmac_f64_e32 v[60:61], v[62:63], v[8:9]
	v_add_f64_e32 v[54:55], v[60:61], v[54:55]
	ds_load_b128 v[60:63], v71 offset:8368
	s_wait_dscnt 0x0
	v_mul_f64_e32 v[68:69], v[62:63], v[66:67]
	v_mul_f64_e32 v[66:67], v[60:61], v[66:67]
	s_delay_alu instid0(VALU_DEP_2) | instskip(NEXT) | instid1(VALU_DEP_2)
	v_fma_f64 v[68:69], v[60:61], v[64:65], -v[68:69]
	v_fmac_f64_e32 v[66:67], v[62:63], v[64:65]
	s_delay_alu instid0(VALU_DEP_2) | instskip(SKIP_2) | instid1(VALU_DEP_4)
	v_add_f64_e32 v[64:65], v[14:15], v[68:69]
	v_mul_f64_e32 v[14:15], v[62:63], v[10:11]
	v_mul_f64_e32 v[10:11], v[60:61], v[10:11]
	v_add_f64_e32 v[16:17], v[66:67], v[16:17]
	s_delay_alu instid0(VALU_DEP_3) | instskip(NEXT) | instid1(VALU_DEP_3)
	v_fma_f64 v[14:15], v[60:61], v[8:9], -v[14:15]
	v_fmac_f64_e32 v[10:11], v[62:63], v[8:9]
	s_delay_alu instid0(VALU_DEP_2) | instskip(NEXT) | instid1(VALU_DEP_2)
	v_add_f64_e32 v[2:3], v[2:3], v[14:15]
	v_add_f64_e32 v[60:61], v[10:11], v[12:13]
	ds_load_b128 v[8:11], v71 offset:192
	ds_load_b128 v[12:15], v73 offset:6144
	s_wait_dscnt 0x0
	v_mul_f64_e32 v[62:63], v[10:11], v[14:15]
	v_mul_f64_e32 v[66:67], v[8:9], v[14:15]
	s_delay_alu instid0(VALU_DEP_2) | instskip(NEXT) | instid1(VALU_DEP_2)
	v_fma_f64 v[62:63], v[8:9], v[12:13], -v[62:63]
	v_fmac_f64_e32 v[66:67], v[10:11], v[12:13]
	s_delay_alu instid0(VALU_DEP_2) | instskip(NEXT) | instid1(VALU_DEP_2)
	v_add_f64_e32 v[68:69], v[56:57], v[62:63]
	v_add_f64_e32 v[80:81], v[66:67], v[58:59]
	ds_load_b128 v[56:59], v73 offset:6400
	s_wait_dscnt 0x0
	v_mul_f64_e32 v[62:63], v[10:11], v[58:59]
	s_delay_alu instid0(VALU_DEP_1) | instskip(SKIP_1) | instid1(VALU_DEP_2)
	v_fma_f64 v[62:63], v[8:9], v[56:57], -v[62:63]
	v_mul_f64_e32 v[8:9], v[8:9], v[58:59]
	v_add_f64_e32 v[18:19], v[18:19], v[62:63]
	s_delay_alu instid0(VALU_DEP_2) | instskip(NEXT) | instid1(VALU_DEP_1)
	v_fmac_f64_e32 v[8:9], v[10:11], v[56:57]
	v_add_f64_e32 v[54:55], v[8:9], v[54:55]
	ds_load_b128 v[8:11], v71 offset:8384
	s_wait_dscnt 0x0
	v_mul_f64_e32 v[62:63], v[10:11], v[14:15]
	v_mul_f64_e32 v[66:67], v[8:9], v[14:15]
	s_delay_alu instid0(VALU_DEP_2) | instskip(NEXT) | instid1(VALU_DEP_2)
	v_fma_f64 v[62:63], v[8:9], v[12:13], -v[62:63]
	v_fmac_f64_e32 v[66:67], v[10:11], v[12:13]
	v_mul_f64_e32 v[12:13], v[10:11], v[58:59]
	s_delay_alu instid0(VALU_DEP_3) | instskip(NEXT) | instid1(VALU_DEP_3)
	v_add_f64_e32 v[14:15], v[64:65], v[62:63]
	v_add_f64_e32 v[16:17], v[66:67], v[16:17]
	s_delay_alu instid0(VALU_DEP_3) | instskip(SKIP_1) | instid1(VALU_DEP_2)
	v_fma_f64 v[12:13], v[8:9], v[56:57], -v[12:13]
	v_mul_f64_e32 v[8:9], v[8:9], v[58:59]
	v_add_f64_e32 v[2:3], v[2:3], v[12:13]
	s_delay_alu instid0(VALU_DEP_2) | instskip(NEXT) | instid1(VALU_DEP_1)
	v_fmac_f64_e32 v[8:9], v[10:11], v[56:57]
	v_add_f64_e32 v[12:13], v[8:9], v[60:61]
	ds_load_b128 v[60:63], v71 offset:208
	ds_load_b128 v[64:67], v73 offset:6656
	s_wait_dscnt 0x0
	v_mul_f64_e32 v[8:9], v[62:63], v[66:67]
	v_mul_f64_e32 v[10:11], v[60:61], v[66:67]
	s_delay_alu instid0(VALU_DEP_2) | instskip(NEXT) | instid1(VALU_DEP_2)
	v_fma_f64 v[8:9], v[60:61], v[64:65], -v[8:9]
	v_fmac_f64_e32 v[10:11], v[62:63], v[64:65]
	s_delay_alu instid0(VALU_DEP_2) | instskip(NEXT) | instid1(VALU_DEP_2)
	v_add_f64_e32 v[56:57], v[68:69], v[8:9]
	v_add_f64_e32 v[58:59], v[10:11], v[80:81]
	ds_load_b128 v[8:11], v73 offset:6912
	s_wait_dscnt 0x0
	v_mul_f64_e32 v[68:69], v[62:63], v[10:11]
	s_delay_alu instid0(VALU_DEP_1) | instskip(SKIP_1) | instid1(VALU_DEP_2)
	v_fma_f64 v[68:69], v[60:61], v[8:9], -v[68:69]
	v_mul_f64_e32 v[60:61], v[60:61], v[10:11]
	v_add_f64_e32 v[18:19], v[18:19], v[68:69]
	s_delay_alu instid0(VALU_DEP_2) | instskip(NEXT) | instid1(VALU_DEP_1)
	v_fmac_f64_e32 v[60:61], v[62:63], v[8:9]
	v_add_f64_e32 v[54:55], v[60:61], v[54:55]
	ds_load_b128 v[60:63], v71 offset:8400
	s_wait_dscnt 0x0
	v_mul_f64_e32 v[68:69], v[62:63], v[66:67]
	v_mul_f64_e32 v[66:67], v[60:61], v[66:67]
	s_delay_alu instid0(VALU_DEP_2) | instskip(NEXT) | instid1(VALU_DEP_2)
	v_fma_f64 v[68:69], v[60:61], v[64:65], -v[68:69]
	v_fmac_f64_e32 v[66:67], v[62:63], v[64:65]
	s_delay_alu instid0(VALU_DEP_2) | instskip(SKIP_2) | instid1(VALU_DEP_4)
	v_add_f64_e32 v[64:65], v[14:15], v[68:69]
	v_mul_f64_e32 v[14:15], v[62:63], v[10:11]
	v_mul_f64_e32 v[10:11], v[60:61], v[10:11]
	v_add_f64_e32 v[16:17], v[66:67], v[16:17]
	s_delay_alu instid0(VALU_DEP_3) | instskip(NEXT) | instid1(VALU_DEP_3)
	v_fma_f64 v[14:15], v[60:61], v[8:9], -v[14:15]
	v_fmac_f64_e32 v[10:11], v[62:63], v[8:9]
	s_delay_alu instid0(VALU_DEP_2) | instskip(NEXT) | instid1(VALU_DEP_2)
	v_add_f64_e32 v[2:3], v[2:3], v[14:15]
	v_add_f64_e32 v[60:61], v[10:11], v[12:13]
	ds_load_b128 v[8:11], v71 offset:224
	ds_load_b128 v[12:15], v73 offset:7168
	s_wait_dscnt 0x0
	v_mul_f64_e32 v[62:63], v[10:11], v[14:15]
	v_mul_f64_e32 v[66:67], v[8:9], v[14:15]
	s_delay_alu instid0(VALU_DEP_2) | instskip(NEXT) | instid1(VALU_DEP_2)
	v_fma_f64 v[62:63], v[8:9], v[12:13], -v[62:63]
	v_fmac_f64_e32 v[66:67], v[10:11], v[12:13]
	s_delay_alu instid0(VALU_DEP_2) | instskip(NEXT) | instid1(VALU_DEP_2)
	v_add_f64_e32 v[68:69], v[56:57], v[62:63]
	v_add_f64_e32 v[80:81], v[66:67], v[58:59]
	ds_load_b128 v[56:59], v73 offset:7424
	s_wait_dscnt 0x0
	v_mul_f64_e32 v[62:63], v[10:11], v[58:59]
	s_delay_alu instid0(VALU_DEP_1) | instskip(SKIP_1) | instid1(VALU_DEP_2)
	v_fma_f64 v[62:63], v[8:9], v[56:57], -v[62:63]
	v_mul_f64_e32 v[8:9], v[8:9], v[58:59]
	v_add_f64_e32 v[18:19], v[18:19], v[62:63]
	s_delay_alu instid0(VALU_DEP_2) | instskip(NEXT) | instid1(VALU_DEP_1)
	v_fmac_f64_e32 v[8:9], v[10:11], v[56:57]
	v_add_f64_e32 v[54:55], v[8:9], v[54:55]
	ds_load_b128 v[8:11], v71 offset:8416
	s_wait_dscnt 0x0
	v_mul_f64_e32 v[62:63], v[10:11], v[14:15]
	v_mul_f64_e32 v[66:67], v[8:9], v[14:15]
	s_delay_alu instid0(VALU_DEP_2) | instskip(NEXT) | instid1(VALU_DEP_2)
	v_fma_f64 v[62:63], v[8:9], v[12:13], -v[62:63]
	v_fmac_f64_e32 v[66:67], v[10:11], v[12:13]
	v_mul_f64_e32 v[12:13], v[10:11], v[58:59]
	s_delay_alu instid0(VALU_DEP_3) | instskip(NEXT) | instid1(VALU_DEP_3)
	v_add_f64_e32 v[14:15], v[64:65], v[62:63]
	v_add_f64_e32 v[16:17], v[66:67], v[16:17]
	s_delay_alu instid0(VALU_DEP_3) | instskip(SKIP_1) | instid1(VALU_DEP_2)
	v_fma_f64 v[12:13], v[8:9], v[56:57], -v[12:13]
	v_mul_f64_e32 v[8:9], v[8:9], v[58:59]
	v_add_f64_e32 v[2:3], v[2:3], v[12:13]
	s_delay_alu instid0(VALU_DEP_2) | instskip(NEXT) | instid1(VALU_DEP_1)
	v_fmac_f64_e32 v[8:9], v[10:11], v[56:57]
	v_add_f64_e32 v[12:13], v[8:9], v[60:61]
	ds_load_b128 v[60:63], v71 offset:240
	ds_load_b128 v[64:67], v73 offset:7680
	s_wait_dscnt 0x0
	v_mul_f64_e32 v[8:9], v[62:63], v[66:67]
	v_mul_f64_e32 v[10:11], v[60:61], v[66:67]
	s_delay_alu instid0(VALU_DEP_2) | instskip(NEXT) | instid1(VALU_DEP_2)
	v_fma_f64 v[8:9], v[60:61], v[64:65], -v[8:9]
	v_fmac_f64_e32 v[10:11], v[62:63], v[64:65]
	s_delay_alu instid0(VALU_DEP_2) | instskip(NEXT) | instid1(VALU_DEP_2)
	v_add_f64_e32 v[56:57], v[68:69], v[8:9]
	v_add_f64_e32 v[58:59], v[10:11], v[80:81]
	ds_load_b128 v[8:11], v73 offset:7936
	s_wait_dscnt 0x0
	v_mul_f64_e32 v[68:69], v[62:63], v[10:11]
	s_delay_alu instid0(VALU_DEP_1) | instskip(SKIP_1) | instid1(VALU_DEP_2)
	v_fma_f64 v[68:69], v[60:61], v[8:9], -v[68:69]
	v_mul_f64_e32 v[60:61], v[60:61], v[10:11]
	v_add_f64_e32 v[18:19], v[18:19], v[68:69]
	s_delay_alu instid0(VALU_DEP_2) | instskip(NEXT) | instid1(VALU_DEP_1)
	v_fmac_f64_e32 v[60:61], v[62:63], v[8:9]
	v_add_f64_e32 v[54:55], v[60:61], v[54:55]
	ds_load_b128 v[60:63], v71 offset:8432
	s_wait_dscnt 0x0
	v_mul_f64_e32 v[68:69], v[62:63], v[66:67]
	v_mul_f64_e32 v[66:67], v[60:61], v[66:67]
	s_delay_alu instid0(VALU_DEP_2) | instskip(NEXT) | instid1(VALU_DEP_2)
	v_fma_f64 v[68:69], v[60:61], v[64:65], -v[68:69]
	v_fmac_f64_e32 v[66:67], v[62:63], v[64:65]
	s_delay_alu instid0(VALU_DEP_2) | instskip(SKIP_2) | instid1(VALU_DEP_4)
	v_add_f64_e32 v[64:65], v[14:15], v[68:69]
	v_mul_f64_e32 v[14:15], v[62:63], v[10:11]
	v_mul_f64_e32 v[10:11], v[60:61], v[10:11]
	v_add_f64_e32 v[16:17], v[66:67], v[16:17]
	s_delay_alu instid0(VALU_DEP_3) | instskip(NEXT) | instid1(VALU_DEP_3)
	v_fma_f64 v[14:15], v[60:61], v[8:9], -v[14:15]
	v_fmac_f64_e32 v[10:11], v[62:63], v[8:9]
	s_delay_alu instid0(VALU_DEP_2) | instskip(NEXT) | instid1(VALU_DEP_2)
	v_add_f64_e32 v[2:3], v[2:3], v[14:15]
	v_add_f64_e32 v[60:61], v[10:11], v[12:13]
	ds_load_b128 v[8:11], v71 offset:256
	ds_load_b128 v[12:15], v73 offset:8192
	s_wait_dscnt 0x0
	v_mul_f64_e32 v[62:63], v[10:11], v[14:15]
	v_mul_f64_e32 v[66:67], v[8:9], v[14:15]
	s_delay_alu instid0(VALU_DEP_2) | instskip(NEXT) | instid1(VALU_DEP_2)
	v_fma_f64 v[62:63], v[8:9], v[12:13], -v[62:63]
	v_fmac_f64_e32 v[66:67], v[10:11], v[12:13]
	s_delay_alu instid0(VALU_DEP_2) | instskip(NEXT) | instid1(VALU_DEP_2)
	v_add_f64_e32 v[68:69], v[56:57], v[62:63]
	v_add_f64_e32 v[80:81], v[66:67], v[58:59]
	ds_load_b128 v[56:59], v73 offset:8448
	s_wait_dscnt 0x0
	v_mul_f64_e32 v[62:63], v[10:11], v[58:59]
	s_delay_alu instid0(VALU_DEP_1) | instskip(SKIP_1) | instid1(VALU_DEP_2)
	v_fma_f64 v[62:63], v[8:9], v[56:57], -v[62:63]
	v_mul_f64_e32 v[8:9], v[8:9], v[58:59]
	v_add_f64_e32 v[18:19], v[18:19], v[62:63]
	s_delay_alu instid0(VALU_DEP_2) | instskip(NEXT) | instid1(VALU_DEP_1)
	v_fmac_f64_e32 v[8:9], v[10:11], v[56:57]
	v_add_f64_e32 v[54:55], v[8:9], v[54:55]
	ds_load_b128 v[8:11], v71 offset:8448
	s_wait_dscnt 0x0
	v_mul_f64_e32 v[62:63], v[10:11], v[14:15]
	v_mul_f64_e32 v[66:67], v[8:9], v[14:15]
	s_delay_alu instid0(VALU_DEP_2) | instskip(NEXT) | instid1(VALU_DEP_2)
	v_fma_f64 v[62:63], v[8:9], v[12:13], -v[62:63]
	v_fmac_f64_e32 v[66:67], v[10:11], v[12:13]
	v_mul_f64_e32 v[12:13], v[10:11], v[58:59]
	s_delay_alu instid0(VALU_DEP_3) | instskip(NEXT) | instid1(VALU_DEP_3)
	v_add_f64_e32 v[14:15], v[64:65], v[62:63]
	v_add_f64_e32 v[16:17], v[66:67], v[16:17]
	s_delay_alu instid0(VALU_DEP_3) | instskip(SKIP_1) | instid1(VALU_DEP_2)
	v_fma_f64 v[12:13], v[8:9], v[56:57], -v[12:13]
	v_mul_f64_e32 v[8:9], v[8:9], v[58:59]
	v_add_f64_e32 v[2:3], v[2:3], v[12:13]
	s_delay_alu instid0(VALU_DEP_2) | instskip(NEXT) | instid1(VALU_DEP_1)
	v_fmac_f64_e32 v[8:9], v[10:11], v[56:57]
	v_add_f64_e32 v[12:13], v[8:9], v[60:61]
	ds_load_b128 v[60:63], v71 offset:272
	ds_load_b128 v[64:67], v73 offset:8704
	s_wait_dscnt 0x0
	v_mul_f64_e32 v[8:9], v[62:63], v[66:67]
	v_mul_f64_e32 v[10:11], v[60:61], v[66:67]
	s_delay_alu instid0(VALU_DEP_2) | instskip(NEXT) | instid1(VALU_DEP_2)
	v_fma_f64 v[8:9], v[60:61], v[64:65], -v[8:9]
	v_fmac_f64_e32 v[10:11], v[62:63], v[64:65]
	s_delay_alu instid0(VALU_DEP_2) | instskip(NEXT) | instid1(VALU_DEP_2)
	v_add_f64_e32 v[56:57], v[68:69], v[8:9]
	v_add_f64_e32 v[58:59], v[10:11], v[80:81]
	ds_load_b128 v[8:11], v73 offset:8960
	s_wait_dscnt 0x0
	v_mul_f64_e32 v[68:69], v[62:63], v[10:11]
	s_delay_alu instid0(VALU_DEP_1) | instskip(SKIP_1) | instid1(VALU_DEP_2)
	v_fma_f64 v[68:69], v[60:61], v[8:9], -v[68:69]
	v_mul_f64_e32 v[60:61], v[60:61], v[10:11]
	v_add_f64_e32 v[18:19], v[18:19], v[68:69]
	s_delay_alu instid0(VALU_DEP_2) | instskip(NEXT) | instid1(VALU_DEP_1)
	v_fmac_f64_e32 v[60:61], v[62:63], v[8:9]
	v_add_f64_e32 v[54:55], v[60:61], v[54:55]
	ds_load_b128 v[60:63], v71 offset:8464
	s_wait_dscnt 0x0
	v_mul_f64_e32 v[68:69], v[62:63], v[66:67]
	v_mul_f64_e32 v[66:67], v[60:61], v[66:67]
	s_delay_alu instid0(VALU_DEP_2) | instskip(NEXT) | instid1(VALU_DEP_2)
	v_fma_f64 v[68:69], v[60:61], v[64:65], -v[68:69]
	v_fmac_f64_e32 v[66:67], v[62:63], v[64:65]
	s_delay_alu instid0(VALU_DEP_2) | instskip(SKIP_2) | instid1(VALU_DEP_4)
	v_add_f64_e32 v[64:65], v[14:15], v[68:69]
	v_mul_f64_e32 v[14:15], v[62:63], v[10:11]
	v_mul_f64_e32 v[10:11], v[60:61], v[10:11]
	v_add_f64_e32 v[16:17], v[66:67], v[16:17]
	s_delay_alu instid0(VALU_DEP_3) | instskip(NEXT) | instid1(VALU_DEP_3)
	v_fma_f64 v[14:15], v[60:61], v[8:9], -v[14:15]
	v_fmac_f64_e32 v[10:11], v[62:63], v[8:9]
	s_delay_alu instid0(VALU_DEP_2) | instskip(NEXT) | instid1(VALU_DEP_2)
	v_add_f64_e32 v[2:3], v[2:3], v[14:15]
	v_add_f64_e32 v[60:61], v[10:11], v[12:13]
	ds_load_b128 v[8:11], v71 offset:288
	ds_load_b128 v[12:15], v73 offset:9216
	s_wait_dscnt 0x0
	v_mul_f64_e32 v[62:63], v[10:11], v[14:15]
	v_mul_f64_e32 v[66:67], v[8:9], v[14:15]
	s_delay_alu instid0(VALU_DEP_2) | instskip(NEXT) | instid1(VALU_DEP_2)
	v_fma_f64 v[62:63], v[8:9], v[12:13], -v[62:63]
	v_fmac_f64_e32 v[66:67], v[10:11], v[12:13]
	s_delay_alu instid0(VALU_DEP_2) | instskip(NEXT) | instid1(VALU_DEP_2)
	v_add_f64_e32 v[68:69], v[56:57], v[62:63]
	v_add_f64_e32 v[80:81], v[66:67], v[58:59]
	ds_load_b128 v[56:59], v73 offset:9472
	s_wait_dscnt 0x0
	v_mul_f64_e32 v[62:63], v[10:11], v[58:59]
	s_delay_alu instid0(VALU_DEP_1) | instskip(SKIP_1) | instid1(VALU_DEP_2)
	v_fma_f64 v[62:63], v[8:9], v[56:57], -v[62:63]
	v_mul_f64_e32 v[8:9], v[8:9], v[58:59]
	v_add_f64_e32 v[18:19], v[18:19], v[62:63]
	s_delay_alu instid0(VALU_DEP_2) | instskip(NEXT) | instid1(VALU_DEP_1)
	v_fmac_f64_e32 v[8:9], v[10:11], v[56:57]
	v_add_f64_e32 v[54:55], v[8:9], v[54:55]
	ds_load_b128 v[8:11], v71 offset:8480
	s_wait_dscnt 0x0
	v_mul_f64_e32 v[62:63], v[10:11], v[14:15]
	v_mul_f64_e32 v[66:67], v[8:9], v[14:15]
	s_delay_alu instid0(VALU_DEP_2) | instskip(NEXT) | instid1(VALU_DEP_2)
	v_fma_f64 v[62:63], v[8:9], v[12:13], -v[62:63]
	v_fmac_f64_e32 v[66:67], v[10:11], v[12:13]
	v_mul_f64_e32 v[12:13], v[10:11], v[58:59]
	s_delay_alu instid0(VALU_DEP_3) | instskip(NEXT) | instid1(VALU_DEP_3)
	v_add_f64_e32 v[14:15], v[64:65], v[62:63]
	v_add_f64_e32 v[16:17], v[66:67], v[16:17]
	s_delay_alu instid0(VALU_DEP_3) | instskip(SKIP_1) | instid1(VALU_DEP_2)
	v_fma_f64 v[12:13], v[8:9], v[56:57], -v[12:13]
	v_mul_f64_e32 v[8:9], v[8:9], v[58:59]
	v_add_f64_e32 v[2:3], v[2:3], v[12:13]
	s_delay_alu instid0(VALU_DEP_2) | instskip(NEXT) | instid1(VALU_DEP_1)
	v_fmac_f64_e32 v[8:9], v[10:11], v[56:57]
	v_add_f64_e32 v[12:13], v[8:9], v[60:61]
	ds_load_b128 v[60:63], v71 offset:304
	ds_load_b128 v[64:67], v73 offset:9728
	s_wait_dscnt 0x0
	v_mul_f64_e32 v[8:9], v[62:63], v[66:67]
	v_mul_f64_e32 v[10:11], v[60:61], v[66:67]
	s_delay_alu instid0(VALU_DEP_2) | instskip(NEXT) | instid1(VALU_DEP_2)
	v_fma_f64 v[8:9], v[60:61], v[64:65], -v[8:9]
	v_fmac_f64_e32 v[10:11], v[62:63], v[64:65]
	s_delay_alu instid0(VALU_DEP_2) | instskip(NEXT) | instid1(VALU_DEP_2)
	v_add_f64_e32 v[56:57], v[68:69], v[8:9]
	v_add_f64_e32 v[58:59], v[10:11], v[80:81]
	ds_load_b128 v[8:11], v73 offset:9984
	s_wait_dscnt 0x0
	v_mul_f64_e32 v[68:69], v[62:63], v[10:11]
	s_delay_alu instid0(VALU_DEP_1) | instskip(SKIP_1) | instid1(VALU_DEP_2)
	v_fma_f64 v[68:69], v[60:61], v[8:9], -v[68:69]
	v_mul_f64_e32 v[60:61], v[60:61], v[10:11]
	v_add_f64_e32 v[18:19], v[18:19], v[68:69]
	s_delay_alu instid0(VALU_DEP_2) | instskip(NEXT) | instid1(VALU_DEP_1)
	v_fmac_f64_e32 v[60:61], v[62:63], v[8:9]
	v_add_f64_e32 v[54:55], v[60:61], v[54:55]
	ds_load_b128 v[60:63], v71 offset:8496
	s_wait_dscnt 0x0
	v_mul_f64_e32 v[68:69], v[62:63], v[66:67]
	v_mul_f64_e32 v[66:67], v[60:61], v[66:67]
	s_delay_alu instid0(VALU_DEP_2) | instskip(NEXT) | instid1(VALU_DEP_2)
	v_fma_f64 v[68:69], v[60:61], v[64:65], -v[68:69]
	v_fmac_f64_e32 v[66:67], v[62:63], v[64:65]
	s_delay_alu instid0(VALU_DEP_2) | instskip(SKIP_2) | instid1(VALU_DEP_4)
	v_add_f64_e32 v[64:65], v[14:15], v[68:69]
	v_mul_f64_e32 v[14:15], v[62:63], v[10:11]
	v_mul_f64_e32 v[10:11], v[60:61], v[10:11]
	v_add_f64_e32 v[16:17], v[66:67], v[16:17]
	s_delay_alu instid0(VALU_DEP_3) | instskip(NEXT) | instid1(VALU_DEP_3)
	v_fma_f64 v[14:15], v[60:61], v[8:9], -v[14:15]
	v_fmac_f64_e32 v[10:11], v[62:63], v[8:9]
	s_delay_alu instid0(VALU_DEP_2) | instskip(NEXT) | instid1(VALU_DEP_2)
	v_add_f64_e32 v[2:3], v[2:3], v[14:15]
	v_add_f64_e32 v[60:61], v[10:11], v[12:13]
	ds_load_b128 v[8:11], v71 offset:320
	ds_load_b128 v[12:15], v73 offset:10240
	s_wait_dscnt 0x0
	v_mul_f64_e32 v[62:63], v[10:11], v[14:15]
	v_mul_f64_e32 v[66:67], v[8:9], v[14:15]
	s_delay_alu instid0(VALU_DEP_2) | instskip(NEXT) | instid1(VALU_DEP_2)
	v_fma_f64 v[62:63], v[8:9], v[12:13], -v[62:63]
	v_fmac_f64_e32 v[66:67], v[10:11], v[12:13]
	s_delay_alu instid0(VALU_DEP_2) | instskip(NEXT) | instid1(VALU_DEP_2)
	v_add_f64_e32 v[68:69], v[56:57], v[62:63]
	v_add_f64_e32 v[80:81], v[66:67], v[58:59]
	ds_load_b128 v[56:59], v73 offset:10496
	s_wait_dscnt 0x0
	v_mul_f64_e32 v[62:63], v[10:11], v[58:59]
	s_delay_alu instid0(VALU_DEP_1) | instskip(SKIP_1) | instid1(VALU_DEP_2)
	v_fma_f64 v[62:63], v[8:9], v[56:57], -v[62:63]
	v_mul_f64_e32 v[8:9], v[8:9], v[58:59]
	v_add_f64_e32 v[18:19], v[18:19], v[62:63]
	s_delay_alu instid0(VALU_DEP_2) | instskip(NEXT) | instid1(VALU_DEP_1)
	v_fmac_f64_e32 v[8:9], v[10:11], v[56:57]
	v_add_f64_e32 v[54:55], v[8:9], v[54:55]
	ds_load_b128 v[8:11], v71 offset:8512
	s_wait_dscnt 0x0
	v_mul_f64_e32 v[62:63], v[10:11], v[14:15]
	v_mul_f64_e32 v[66:67], v[8:9], v[14:15]
	s_delay_alu instid0(VALU_DEP_2) | instskip(NEXT) | instid1(VALU_DEP_2)
	v_fma_f64 v[62:63], v[8:9], v[12:13], -v[62:63]
	v_fmac_f64_e32 v[66:67], v[10:11], v[12:13]
	v_mul_f64_e32 v[12:13], v[10:11], v[58:59]
	s_delay_alu instid0(VALU_DEP_3) | instskip(NEXT) | instid1(VALU_DEP_3)
	v_add_f64_e32 v[14:15], v[64:65], v[62:63]
	v_add_f64_e32 v[16:17], v[66:67], v[16:17]
	s_delay_alu instid0(VALU_DEP_3) | instskip(SKIP_1) | instid1(VALU_DEP_2)
	v_fma_f64 v[12:13], v[8:9], v[56:57], -v[12:13]
	v_mul_f64_e32 v[8:9], v[8:9], v[58:59]
	v_add_f64_e32 v[2:3], v[2:3], v[12:13]
	s_delay_alu instid0(VALU_DEP_2) | instskip(NEXT) | instid1(VALU_DEP_1)
	v_fmac_f64_e32 v[8:9], v[10:11], v[56:57]
	v_add_f64_e32 v[12:13], v[8:9], v[60:61]
	ds_load_b128 v[60:63], v71 offset:336
	ds_load_b128 v[64:67], v73 offset:10752
	s_wait_dscnt 0x0
	v_mul_f64_e32 v[8:9], v[62:63], v[66:67]
	v_mul_f64_e32 v[10:11], v[60:61], v[66:67]
	s_delay_alu instid0(VALU_DEP_2) | instskip(NEXT) | instid1(VALU_DEP_2)
	v_fma_f64 v[8:9], v[60:61], v[64:65], -v[8:9]
	v_fmac_f64_e32 v[10:11], v[62:63], v[64:65]
	s_delay_alu instid0(VALU_DEP_2) | instskip(NEXT) | instid1(VALU_DEP_2)
	v_add_f64_e32 v[56:57], v[68:69], v[8:9]
	v_add_f64_e32 v[58:59], v[10:11], v[80:81]
	ds_load_b128 v[8:11], v73 offset:11008
	s_wait_dscnt 0x0
	v_mul_f64_e32 v[68:69], v[62:63], v[10:11]
	s_delay_alu instid0(VALU_DEP_1) | instskip(SKIP_1) | instid1(VALU_DEP_2)
	v_fma_f64 v[68:69], v[60:61], v[8:9], -v[68:69]
	v_mul_f64_e32 v[60:61], v[60:61], v[10:11]
	v_add_f64_e32 v[18:19], v[18:19], v[68:69]
	s_delay_alu instid0(VALU_DEP_2) | instskip(NEXT) | instid1(VALU_DEP_1)
	v_fmac_f64_e32 v[60:61], v[62:63], v[8:9]
	v_add_f64_e32 v[54:55], v[60:61], v[54:55]
	ds_load_b128 v[60:63], v71 offset:8528
	s_wait_dscnt 0x0
	v_mul_f64_e32 v[68:69], v[62:63], v[66:67]
	v_mul_f64_e32 v[66:67], v[60:61], v[66:67]
	s_delay_alu instid0(VALU_DEP_2) | instskip(NEXT) | instid1(VALU_DEP_2)
	v_fma_f64 v[68:69], v[60:61], v[64:65], -v[68:69]
	v_fmac_f64_e32 v[66:67], v[62:63], v[64:65]
	s_delay_alu instid0(VALU_DEP_2) | instskip(SKIP_2) | instid1(VALU_DEP_4)
	v_add_f64_e32 v[64:65], v[14:15], v[68:69]
	v_mul_f64_e32 v[14:15], v[62:63], v[10:11]
	v_mul_f64_e32 v[10:11], v[60:61], v[10:11]
	v_add_f64_e32 v[16:17], v[66:67], v[16:17]
	s_delay_alu instid0(VALU_DEP_3) | instskip(NEXT) | instid1(VALU_DEP_3)
	v_fma_f64 v[14:15], v[60:61], v[8:9], -v[14:15]
	v_fmac_f64_e32 v[10:11], v[62:63], v[8:9]
	s_delay_alu instid0(VALU_DEP_2) | instskip(NEXT) | instid1(VALU_DEP_2)
	v_add_f64_e32 v[2:3], v[2:3], v[14:15]
	v_add_f64_e32 v[60:61], v[10:11], v[12:13]
	ds_load_b128 v[8:11], v71 offset:352
	ds_load_b128 v[12:15], v73 offset:11264
	s_wait_dscnt 0x0
	v_mul_f64_e32 v[62:63], v[10:11], v[14:15]
	v_mul_f64_e32 v[66:67], v[8:9], v[14:15]
	s_delay_alu instid0(VALU_DEP_2) | instskip(NEXT) | instid1(VALU_DEP_2)
	v_fma_f64 v[62:63], v[8:9], v[12:13], -v[62:63]
	v_fmac_f64_e32 v[66:67], v[10:11], v[12:13]
	s_delay_alu instid0(VALU_DEP_2) | instskip(NEXT) | instid1(VALU_DEP_2)
	v_add_f64_e32 v[68:69], v[56:57], v[62:63]
	v_add_f64_e32 v[80:81], v[66:67], v[58:59]
	ds_load_b128 v[56:59], v73 offset:11520
	s_wait_dscnt 0x0
	v_mul_f64_e32 v[62:63], v[10:11], v[58:59]
	s_delay_alu instid0(VALU_DEP_1) | instskip(SKIP_1) | instid1(VALU_DEP_2)
	v_fma_f64 v[62:63], v[8:9], v[56:57], -v[62:63]
	v_mul_f64_e32 v[8:9], v[8:9], v[58:59]
	v_add_f64_e32 v[18:19], v[18:19], v[62:63]
	s_delay_alu instid0(VALU_DEP_2) | instskip(NEXT) | instid1(VALU_DEP_1)
	v_fmac_f64_e32 v[8:9], v[10:11], v[56:57]
	v_add_f64_e32 v[54:55], v[8:9], v[54:55]
	ds_load_b128 v[8:11], v71 offset:8544
	s_wait_dscnt 0x0
	v_mul_f64_e32 v[62:63], v[10:11], v[14:15]
	v_mul_f64_e32 v[66:67], v[8:9], v[14:15]
	s_delay_alu instid0(VALU_DEP_2) | instskip(NEXT) | instid1(VALU_DEP_2)
	v_fma_f64 v[62:63], v[8:9], v[12:13], -v[62:63]
	v_fmac_f64_e32 v[66:67], v[10:11], v[12:13]
	v_mul_f64_e32 v[12:13], v[10:11], v[58:59]
	s_delay_alu instid0(VALU_DEP_3) | instskip(NEXT) | instid1(VALU_DEP_3)
	v_add_f64_e32 v[14:15], v[64:65], v[62:63]
	v_add_f64_e32 v[16:17], v[66:67], v[16:17]
	s_delay_alu instid0(VALU_DEP_3) | instskip(SKIP_1) | instid1(VALU_DEP_2)
	v_fma_f64 v[12:13], v[8:9], v[56:57], -v[12:13]
	v_mul_f64_e32 v[8:9], v[8:9], v[58:59]
	v_add_f64_e32 v[2:3], v[2:3], v[12:13]
	s_delay_alu instid0(VALU_DEP_2) | instskip(NEXT) | instid1(VALU_DEP_1)
	v_fmac_f64_e32 v[8:9], v[10:11], v[56:57]
	v_add_f64_e32 v[12:13], v[8:9], v[60:61]
	ds_load_b128 v[60:63], v71 offset:368
	ds_load_b128 v[64:67], v73 offset:11776
	s_wait_dscnt 0x0
	v_mul_f64_e32 v[8:9], v[62:63], v[66:67]
	v_mul_f64_e32 v[10:11], v[60:61], v[66:67]
	s_delay_alu instid0(VALU_DEP_2) | instskip(NEXT) | instid1(VALU_DEP_2)
	v_fma_f64 v[8:9], v[60:61], v[64:65], -v[8:9]
	v_fmac_f64_e32 v[10:11], v[62:63], v[64:65]
	s_delay_alu instid0(VALU_DEP_2) | instskip(NEXT) | instid1(VALU_DEP_2)
	v_add_f64_e32 v[56:57], v[68:69], v[8:9]
	v_add_f64_e32 v[58:59], v[10:11], v[80:81]
	ds_load_b128 v[8:11], v73 offset:12032
	s_wait_dscnt 0x0
	v_mul_f64_e32 v[68:69], v[62:63], v[10:11]
	s_delay_alu instid0(VALU_DEP_1) | instskip(SKIP_1) | instid1(VALU_DEP_2)
	v_fma_f64 v[68:69], v[60:61], v[8:9], -v[68:69]
	v_mul_f64_e32 v[60:61], v[60:61], v[10:11]
	v_add_f64_e32 v[18:19], v[18:19], v[68:69]
	s_delay_alu instid0(VALU_DEP_2) | instskip(NEXT) | instid1(VALU_DEP_1)
	v_fmac_f64_e32 v[60:61], v[62:63], v[8:9]
	v_add_f64_e32 v[54:55], v[60:61], v[54:55]
	ds_load_b128 v[60:63], v71 offset:8560
	s_wait_dscnt 0x0
	v_mul_f64_e32 v[68:69], v[62:63], v[66:67]
	v_mul_f64_e32 v[66:67], v[60:61], v[66:67]
	s_delay_alu instid0(VALU_DEP_2) | instskip(NEXT) | instid1(VALU_DEP_2)
	v_fma_f64 v[68:69], v[60:61], v[64:65], -v[68:69]
	v_fmac_f64_e32 v[66:67], v[62:63], v[64:65]
	s_delay_alu instid0(VALU_DEP_2) | instskip(SKIP_2) | instid1(VALU_DEP_4)
	v_add_f64_e32 v[64:65], v[14:15], v[68:69]
	v_mul_f64_e32 v[14:15], v[62:63], v[10:11]
	v_mul_f64_e32 v[10:11], v[60:61], v[10:11]
	v_add_f64_e32 v[16:17], v[66:67], v[16:17]
	s_delay_alu instid0(VALU_DEP_3) | instskip(NEXT) | instid1(VALU_DEP_3)
	v_fma_f64 v[14:15], v[60:61], v[8:9], -v[14:15]
	v_fmac_f64_e32 v[10:11], v[62:63], v[8:9]
	s_delay_alu instid0(VALU_DEP_2) | instskip(NEXT) | instid1(VALU_DEP_2)
	v_add_f64_e32 v[60:61], v[2:3], v[14:15]
	v_add_f64_e32 v[62:63], v[10:11], v[12:13]
	ds_load_b128 v[8:11], v71 offset:384
	ds_load_b128 v[12:15], v73 offset:12288
	s_wait_dscnt 0x0
	v_mul_f64_e32 v[2:3], v[10:11], v[14:15]
	v_mul_f64_e32 v[66:67], v[8:9], v[14:15]
	s_delay_alu instid0(VALU_DEP_2) | instskip(NEXT) | instid1(VALU_DEP_2)
	v_fma_f64 v[2:3], v[8:9], v[12:13], -v[2:3]
	v_fmac_f64_e32 v[66:67], v[10:11], v[12:13]
	s_delay_alu instid0(VALU_DEP_2) | instskip(NEXT) | instid1(VALU_DEP_2)
	v_add_f64_e32 v[68:69], v[56:57], v[2:3]
	v_add_f64_e32 v[66:67], v[66:67], v[58:59]
	ds_load_b128 v[56:59], v73 offset:12544
	s_wait_dscnt 0x0
	v_mul_f64_e32 v[2:3], v[10:11], v[58:59]
	s_delay_alu instid0(VALU_DEP_1) | instskip(SKIP_1) | instid1(VALU_DEP_2)
	v_fma_f64 v[2:3], v[8:9], v[56:57], -v[2:3]
	v_mul_f64_e32 v[8:9], v[8:9], v[58:59]
	v_add_f64_e32 v[80:81], v[18:19], v[2:3]
	s_delay_alu instid0(VALU_DEP_2) | instskip(NEXT) | instid1(VALU_DEP_1)
	v_fmac_f64_e32 v[8:9], v[10:11], v[56:57]
	v_add_f64_e32 v[82:83], v[8:9], v[54:55]
	ds_load_b128 v[8:11], v71 offset:8576
	s_wait_dscnt 0x0
	v_mul_f64_e32 v[2:3], v[10:11], v[14:15]
	v_mul_f64_e32 v[14:15], v[8:9], v[14:15]
	s_delay_alu instid0(VALU_DEP_2) | instskip(NEXT) | instid1(VALU_DEP_2)
	v_fma_f64 v[2:3], v[8:9], v[12:13], -v[2:3]
	v_fmac_f64_e32 v[14:15], v[10:11], v[12:13]
	v_mul_f64_e32 v[12:13], v[10:11], v[58:59]
	s_delay_alu instid0(VALU_DEP_3) | instskip(NEXT) | instid1(VALU_DEP_3)
	v_add_f64_e32 v[2:3], v[64:65], v[2:3]
	v_add_f64_e32 v[54:55], v[14:15], v[16:17]
	s_delay_alu instid0(VALU_DEP_3) | instskip(SKIP_1) | instid1(VALU_DEP_1)
	v_fma_f64 v[12:13], v[8:9], v[56:57], -v[12:13]
	v_mul_f64_e32 v[8:9], v[8:9], v[58:59]
	v_fmac_f64_e32 v[8:9], v[10:11], v[56:57]
	s_delay_alu instid0(VALU_DEP_3) | instskip(NEXT) | instid1(VALU_DEP_2)
	v_add_f64_e32 v[56:57], v[60:61], v[12:13]
	v_add_f64_e32 v[58:59], v[8:9], v[62:63]
	ds_load_b128 v[16:19], v71 offset:400
	ds_load_b128 v[8:11], v73 offset:12800
	s_wait_dscnt 0x0
	v_mul_f64_e32 v[12:13], v[18:19], v[10:11]
	v_mul_f64_e32 v[14:15], v[16:17], v[10:11]
	s_delay_alu instid0(VALU_DEP_2) | instskip(NEXT) | instid1(VALU_DEP_2)
	v_fma_f64 v[12:13], v[16:17], v[8:9], -v[12:13]
	v_fmac_f64_e32 v[14:15], v[18:19], v[8:9]
	s_delay_alu instid0(VALU_DEP_2) | instskip(NEXT) | instid1(VALU_DEP_2)
	v_add_f64_e32 v[64:65], v[68:69], v[12:13]
	v_add_f64_e32 v[66:67], v[14:15], v[66:67]
	ds_load_b128 v[12:15], v73 offset:13056
	s_wait_dscnt 0x0
	v_mul_f64_e32 v[60:61], v[18:19], v[14:15]
	s_delay_alu instid0(VALU_DEP_1) | instskip(SKIP_1) | instid1(VALU_DEP_2)
	v_fma_f64 v[60:61], v[16:17], v[12:13], -v[60:61]
	v_mul_f64_e32 v[16:17], v[16:17], v[14:15]
	v_add_f64_e32 v[60:61], v[80:81], v[60:61]
	s_delay_alu instid0(VALU_DEP_2) | instskip(NEXT) | instid1(VALU_DEP_1)
	v_fmac_f64_e32 v[16:17], v[18:19], v[12:13]
	v_add_f64_e32 v[62:63], v[16:17], v[82:83]
	ds_load_b128 v[16:19], v71 offset:8592
	s_wait_dscnt 0x0
	v_mul_f64_e32 v[68:69], v[18:19], v[10:11]
	v_mul_f64_e32 v[10:11], v[16:17], v[10:11]
	s_delay_alu instid0(VALU_DEP_2) | instskip(NEXT) | instid1(VALU_DEP_2)
	v_fma_f64 v[68:69], v[16:17], v[8:9], -v[68:69]
	v_fmac_f64_e32 v[10:11], v[18:19], v[8:9]
	v_mul_f64_e32 v[8:9], v[18:19], v[14:15]
	s_delay_alu instid0(VALU_DEP_3) | instskip(NEXT) | instid1(VALU_DEP_3)
	v_add_f64_e32 v[2:3], v[2:3], v[68:69]
	v_add_f64_e32 v[68:69], v[10:11], v[54:55]
	v_mul_f64_e32 v[10:11], v[16:17], v[14:15]
	s_delay_alu instid0(VALU_DEP_4) | instskip(NEXT) | instid1(VALU_DEP_2)
	v_fma_f64 v[8:9], v[16:17], v[12:13], -v[8:9]
	v_fmac_f64_e32 v[10:11], v[18:19], v[12:13]
	s_delay_alu instid0(VALU_DEP_2) | instskip(NEXT) | instid1(VALU_DEP_2)
	v_add_f64_e32 v[80:81], v[56:57], v[8:9]
	v_add_f64_e32 v[58:59], v[10:11], v[58:59]
	ds_load_b128 v[8:11], v71 offset:416
	ds_load_b128 v[12:15], v73 offset:13312
	s_wait_dscnt 0x0
	v_mul_f64_e32 v[16:17], v[10:11], v[14:15]
	v_mul_f64_e32 v[18:19], v[8:9], v[14:15]
	s_delay_alu instid0(VALU_DEP_2) | instskip(NEXT) | instid1(VALU_DEP_2)
	v_fma_f64 v[16:17], v[8:9], v[12:13], -v[16:17]
	v_fmac_f64_e32 v[18:19], v[10:11], v[12:13]
	s_delay_alu instid0(VALU_DEP_2) | instskip(NEXT) | instid1(VALU_DEP_2)
	v_add_f64_e32 v[64:65], v[64:65], v[16:17]
	v_add_f64_e32 v[66:67], v[18:19], v[66:67]
	ds_load_b128 v[16:19], v73 offset:13568
	s_wait_dscnt 0x0
	v_mul_f64_e32 v[54:55], v[10:11], v[18:19]
	s_delay_alu instid0(VALU_DEP_1) | instskip(SKIP_1) | instid1(VALU_DEP_2)
	v_fma_f64 v[54:55], v[8:9], v[16:17], -v[54:55]
	v_mul_f64_e32 v[8:9], v[8:9], v[18:19]
	v_add_f64_e32 v[82:83], v[60:61], v[54:55]
	s_delay_alu instid0(VALU_DEP_2)
	v_fmac_f64_e32 v[8:9], v[10:11], v[16:17]
	ds_load_b128 v[54:57], v71 offset:8608
	v_add_f64_e32 v[84:85], v[8:9], v[62:63]
	s_wait_dscnt 0x0
	v_mul_f64_e32 v[8:9], v[56:57], v[14:15]
	v_mul_f64_e32 v[14:15], v[54:55], v[14:15]
	s_delay_alu instid0(VALU_DEP_2) | instskip(NEXT) | instid1(VALU_DEP_2)
	v_fma_f64 v[8:9], v[54:55], v[12:13], -v[8:9]
	v_fmac_f64_e32 v[14:15], v[56:57], v[12:13]
	s_delay_alu instid0(VALU_DEP_2) | instskip(SKIP_2) | instid1(VALU_DEP_4)
	v_add_f64_e32 v[10:11], v[2:3], v[8:9]
	v_mul_f64_e32 v[8:9], v[54:55], v[18:19]
	v_mul_f64_e32 v[2:3], v[56:57], v[18:19]
	v_add_f64_e32 v[12:13], v[14:15], v[68:69]
	s_delay_alu instid0(VALU_DEP_3) | instskip(NEXT) | instid1(VALU_DEP_3)
	v_fmac_f64_e32 v[8:9], v[56:57], v[16:17]
	v_fma_f64 v[2:3], v[54:55], v[16:17], -v[2:3]
	s_delay_alu instid0(VALU_DEP_2)
	v_add_f64_e32 v[8:9], v[8:9], v[58:59]
	ds_load_b128 v[14:17], v71 offset:432
	ds_load_b128 v[56:59], v73 offset:13824
	;; [unrolled: 1-line block ×3, first 2 shown]
	v_add_f64_e32 v[2:3], v[80:81], v[2:3]
	s_wait_dscnt 0x1
	v_mul_f64_e32 v[18:19], v[16:17], v[58:59]
	v_mul_f64_e32 v[54:55], v[14:15], v[58:59]
	s_delay_alu instid0(VALU_DEP_2) | instskip(NEXT) | instid1(VALU_DEP_2)
	v_fma_f64 v[18:19], v[14:15], v[56:57], -v[18:19]
	v_fmac_f64_e32 v[54:55], v[16:17], v[56:57]
	s_delay_alu instid0(VALU_DEP_2) | instskip(NEXT) | instid1(VALU_DEP_2)
	v_add_f64_e32 v[18:19], v[64:65], v[18:19]
	v_add_f64_e32 v[54:55], v[54:55], v[66:67]
	s_wait_dscnt 0x0
	v_mul_f64_e32 v[64:65], v[16:17], v[62:63]
	v_mul_f64_e32 v[66:67], v[14:15], v[62:63]
	s_delay_alu instid0(VALU_DEP_2) | instskip(NEXT) | instid1(VALU_DEP_2)
	v_fma_f64 v[64:65], v[14:15], v[60:61], -v[64:65]
	v_fmac_f64_e32 v[66:67], v[16:17], v[60:61]
	s_delay_alu instid0(VALU_DEP_2) | instskip(NEXT) | instid1(VALU_DEP_2)
	v_add_f64_e32 v[14:15], v[82:83], v[64:65]
	v_add_f64_e32 v[16:17], v[66:67], v[84:85]
	ds_load_b128 v[64:67], v71 offset:8624
	s_wait_dscnt 0x0
	v_mul_f64_e32 v[68:69], v[66:67], v[58:59]
	v_mul_f64_e32 v[58:59], v[64:65], v[58:59]
	s_delay_alu instid0(VALU_DEP_2) | instskip(NEXT) | instid1(VALU_DEP_2)
	v_fma_f64 v[68:69], v[64:65], v[56:57], -v[68:69]
	v_fmac_f64_e32 v[58:59], v[66:67], v[56:57]
	v_mul_f64_e32 v[56:57], v[64:65], v[62:63]
	s_delay_alu instid0(VALU_DEP_3) | instskip(SKIP_1) | instid1(VALU_DEP_3)
	v_add_f64_e32 v[68:69], v[10:11], v[68:69]
	v_mul_f64_e32 v[10:11], v[66:67], v[62:63]
	v_fmac_f64_e32 v[56:57], v[66:67], v[60:61]
	v_add_f64_e32 v[12:13], v[58:59], v[12:13]
	s_delay_alu instid0(VALU_DEP_3) | instskip(NEXT) | instid1(VALU_DEP_3)
	v_fma_f64 v[10:11], v[64:65], v[60:61], -v[10:11]
	v_add_f64_e32 v[64:65], v[56:57], v[8:9]
	s_delay_alu instid0(VALU_DEP_2)
	v_add_f64_e32 v[2:3], v[2:3], v[10:11]
	ds_load_b128 v[8:11], v71 offset:448
	ds_load_b128 v[56:59], v73 offset:14336
	s_wait_dscnt 0x0
	v_mul_f64_e32 v[60:61], v[10:11], v[58:59]
	v_mul_f64_e32 v[62:63], v[8:9], v[58:59]
	s_delay_alu instid0(VALU_DEP_2) | instskip(NEXT) | instid1(VALU_DEP_2)
	v_fma_f64 v[60:61], v[8:9], v[56:57], -v[60:61]
	v_fmac_f64_e32 v[62:63], v[10:11], v[56:57]
	s_delay_alu instid0(VALU_DEP_2) | instskip(NEXT) | instid1(VALU_DEP_2)
	v_add_f64_e32 v[66:67], v[18:19], v[60:61]
	v_add_f64_e32 v[80:81], v[62:63], v[54:55]
	ds_load_b128 v[60:63], v73 offset:14592
	s_wait_dscnt 0x0
	v_mul_f64_e32 v[18:19], v[10:11], v[62:63]
	s_delay_alu instid0(VALU_DEP_1) | instskip(SKIP_1) | instid1(VALU_DEP_2)
	v_fma_f64 v[18:19], v[8:9], v[60:61], -v[18:19]
	v_mul_f64_e32 v[8:9], v[8:9], v[62:63]
	v_add_f64_e32 v[82:83], v[14:15], v[18:19]
	s_delay_alu instid0(VALU_DEP_2) | instskip(NEXT) | instid1(VALU_DEP_1)
	v_fmac_f64_e32 v[8:9], v[10:11], v[60:61]
	v_add_f64_e32 v[84:85], v[8:9], v[16:17]
	ds_load_b128 v[8:11], v71 offset:8640
	s_wait_dscnt 0x0
	v_mul_f64_e32 v[16:17], v[8:9], v[58:59]
	v_mul_f64_e32 v[14:15], v[10:11], v[58:59]
	s_delay_alu instid0(VALU_DEP_2) | instskip(NEXT) | instid1(VALU_DEP_2)
	v_fmac_f64_e32 v[16:17], v[10:11], v[56:57]
	v_fma_f64 v[14:15], v[8:9], v[56:57], -v[14:15]
	s_delay_alu instid0(VALU_DEP_2) | instskip(SKIP_1) | instid1(VALU_DEP_3)
	v_add_f64_e32 v[54:55], v[16:17], v[12:13]
	v_mul_f64_e32 v[12:13], v[10:11], v[62:63]
	v_add_f64_e32 v[18:19], v[68:69], v[14:15]
	s_delay_alu instid0(VALU_DEP_2) | instskip(SKIP_1) | instid1(VALU_DEP_2)
	v_fma_f64 v[12:13], v[8:9], v[60:61], -v[12:13]
	v_mul_f64_e32 v[8:9], v[8:9], v[62:63]
	v_add_f64_e32 v[2:3], v[2:3], v[12:13]
	s_delay_alu instid0(VALU_DEP_2)
	v_fmac_f64_e32 v[8:9], v[10:11], v[60:61]
	ds_load_b128 v[56:59], v71 offset:464
	ds_load_b128 v[12:15], v73 offset:14848
	s_wait_dscnt 0x0
	v_mul_f64_e32 v[10:11], v[56:57], v[14:15]
	v_add_f64_e32 v[16:17], v[8:9], v[64:65]
	v_mul_f64_e32 v[8:9], v[58:59], v[14:15]
	s_delay_alu instid0(VALU_DEP_3) | instskip(NEXT) | instid1(VALU_DEP_2)
	v_fmac_f64_e32 v[10:11], v[58:59], v[12:13]
	v_fma_f64 v[8:9], v[56:57], v[12:13], -v[8:9]
	s_delay_alu instid0(VALU_DEP_2) | instskip(NEXT) | instid1(VALU_DEP_2)
	v_add_f64_e32 v[62:63], v[10:11], v[80:81]
	v_add_f64_e32 v[60:61], v[66:67], v[8:9]
	ds_load_b128 v[8:11], v73 offset:15104
	s_wait_dscnt 0x0
	v_mul_f64_e32 v[64:65], v[58:59], v[10:11]
	v_mul_f64_e32 v[66:67], v[56:57], v[10:11]
	s_delay_alu instid0(VALU_DEP_2) | instskip(NEXT) | instid1(VALU_DEP_2)
	v_fma_f64 v[64:65], v[56:57], v[8:9], -v[64:65]
	v_fmac_f64_e32 v[66:67], v[58:59], v[8:9]
	s_delay_alu instid0(VALU_DEP_2) | instskip(NEXT) | instid1(VALU_DEP_2)
	v_add_f64_e32 v[56:57], v[82:83], v[64:65]
	v_add_f64_e32 v[58:59], v[66:67], v[84:85]
	ds_load_b128 v[64:67], v71 offset:8656
	s_wait_dscnt 0x0
	v_mul_f64_e32 v[68:69], v[66:67], v[14:15]
	v_mul_f64_e32 v[14:15], v[64:65], v[14:15]
	s_delay_alu instid0(VALU_DEP_2) | instskip(NEXT) | instid1(VALU_DEP_2)
	v_fma_f64 v[68:69], v[64:65], v[12:13], -v[68:69]
	v_fmac_f64_e32 v[14:15], v[66:67], v[12:13]
	v_mul_f64_e32 v[12:13], v[66:67], v[10:11]
	v_mul_f64_e32 v[10:11], v[64:65], v[10:11]
	s_delay_alu instid0(VALU_DEP_4) | instskip(NEXT) | instid1(VALU_DEP_4)
	v_add_f64_e32 v[68:69], v[18:19], v[68:69]
	v_add_f64_e32 v[54:55], v[14:15], v[54:55]
	s_delay_alu instid0(VALU_DEP_4) | instskip(NEXT) | instid1(VALU_DEP_4)
	v_fma_f64 v[12:13], v[64:65], v[8:9], -v[12:13]
	v_fmac_f64_e32 v[10:11], v[66:67], v[8:9]
	s_delay_alu instid0(VALU_DEP_2) | instskip(NEXT) | instid1(VALU_DEP_2)
	v_add_f64_e32 v[2:3], v[2:3], v[12:13]
	v_add_f64_e32 v[66:67], v[10:11], v[16:17]
	ds_load_b128 v[8:11], v71 offset:480
	ds_load_b128 v[12:15], v73 offset:15360
	s_wait_dscnt 0x0
	v_mul_f64_e32 v[16:17], v[10:11], v[14:15]
	v_mul_f64_e32 v[18:19], v[8:9], v[14:15]
	s_delay_alu instid0(VALU_DEP_2) | instskip(NEXT) | instid1(VALU_DEP_2)
	v_fma_f64 v[16:17], v[8:9], v[12:13], -v[16:17]
	v_fmac_f64_e32 v[18:19], v[10:11], v[12:13]
	s_delay_alu instid0(VALU_DEP_2) | instskip(NEXT) | instid1(VALU_DEP_2)
	v_add_f64_e32 v[60:61], v[60:61], v[16:17]
	v_add_f64_e32 v[80:81], v[18:19], v[62:63]
	ds_load_b128 v[16:19], v73 offset:15616
	s_wait_dscnt 0x0
	v_mul_f64_e32 v[62:63], v[10:11], v[18:19]
	s_delay_alu instid0(VALU_DEP_1) | instskip(SKIP_1) | instid1(VALU_DEP_2)
	v_fma_f64 v[62:63], v[8:9], v[16:17], -v[62:63]
	v_mul_f64_e32 v[8:9], v[8:9], v[18:19]
	v_add_f64_e32 v[56:57], v[56:57], v[62:63]
	s_delay_alu instid0(VALU_DEP_2) | instskip(NEXT) | instid1(VALU_DEP_1)
	v_fmac_f64_e32 v[8:9], v[10:11], v[16:17]
	v_add_f64_e32 v[82:83], v[8:9], v[58:59]
	ds_load_b128 v[8:11], v71 offset:8672
	s_wait_dscnt 0x0
	v_mul_f64_e32 v[58:59], v[10:11], v[14:15]
	v_mul_f64_e32 v[14:15], v[8:9], v[14:15]
	s_delay_alu instid0(VALU_DEP_2) | instskip(NEXT) | instid1(VALU_DEP_2)
	v_fma_f64 v[58:59], v[8:9], v[12:13], -v[58:59]
	v_fmac_f64_e32 v[14:15], v[10:11], v[12:13]
	v_mul_f64_e32 v[12:13], v[10:11], v[18:19]
	s_delay_alu instid0(VALU_DEP_3) | instskip(NEXT) | instid1(VALU_DEP_3)
	v_add_f64_e32 v[64:65], v[68:69], v[58:59]
	v_add_f64_e32 v[68:69], v[14:15], v[54:55]
	s_delay_alu instid0(VALU_DEP_3) | instskip(SKIP_1) | instid1(VALU_DEP_2)
	v_fma_f64 v[12:13], v[8:9], v[16:17], -v[12:13]
	v_mul_f64_e32 v[8:9], v[8:9], v[18:19]
	v_add_f64_e32 v[2:3], v[2:3], v[12:13]
	s_delay_alu instid0(VALU_DEP_2)
	v_fmac_f64_e32 v[8:9], v[10:11], v[16:17]
	ds_load_b128 v[16:19], v71 offset:496
	ds_load_b128 v[12:15], v73 offset:15872
	s_wait_dscnt 0x0
	v_mul_f64_e32 v[10:11], v[16:17], v[14:15]
	v_add_f64_e32 v[62:63], v[8:9], v[66:67]
	v_mul_f64_e32 v[8:9], v[18:19], v[14:15]
	s_delay_alu instid0(VALU_DEP_3) | instskip(NEXT) | instid1(VALU_DEP_2)
	v_fmac_f64_e32 v[10:11], v[18:19], v[12:13]
	v_fma_f64 v[8:9], v[16:17], v[12:13], -v[8:9]
	s_delay_alu instid0(VALU_DEP_1) | instskip(NEXT) | instid1(VALU_DEP_3)
	v_add_f64_e32 v[58:59], v[60:61], v[8:9]
	v_add_f64_e32 v[60:61], v[10:11], v[80:81]
	ds_load_b128 v[8:11], v73 offset:16128
	s_wait_dscnt 0x0
	v_mul_f64_e32 v[54:55], v[18:19], v[10:11]
	s_delay_alu instid0(VALU_DEP_1) | instskip(SKIP_1) | instid1(VALU_DEP_2)
	v_fma_f64 v[54:55], v[16:17], v[8:9], -v[54:55]
	v_mul_f64_e32 v[16:17], v[16:17], v[10:11]
	v_add_f64_e32 v[54:55], v[56:57], v[54:55]
	s_delay_alu instid0(VALU_DEP_2) | instskip(NEXT) | instid1(VALU_DEP_1)
	v_fmac_f64_e32 v[16:17], v[18:19], v[8:9]
	v_add_f64_e32 v[56:57], v[16:17], v[82:83]
	ds_load_b128 v[16:19], v71 offset:8688
	s_wait_dscnt 0x0
	s_barrier_signal -1
	s_barrier_wait -1
	v_mul_f64_e32 v[66:67], v[18:19], v[14:15]
	v_mul_f64_e32 v[14:15], v[16:17], v[14:15]
	s_delay_alu instid0(VALU_DEP_2) | instskip(NEXT) | instid1(VALU_DEP_2)
	v_fma_f64 v[66:67], v[16:17], v[12:13], -v[66:67]
	v_fmac_f64_e32 v[14:15], v[18:19], v[12:13]
	v_mul_f64_e32 v[12:13], v[18:19], v[10:11]
	v_mul_f64_e32 v[10:11], v[16:17], v[10:11]
	s_delay_alu instid0(VALU_DEP_4) | instskip(NEXT) | instid1(VALU_DEP_4)
	v_add_f64_e32 v[66:67], v[64:65], v[66:67]
	v_add_f64_e32 v[64:65], v[14:15], v[68:69]
	s_delay_alu instid0(VALU_DEP_4) | instskip(NEXT) | instid1(VALU_DEP_4)
	v_fma_f64 v[12:13], v[16:17], v[8:9], -v[12:13]
	v_fmac_f64_e32 v[10:11], v[18:19], v[8:9]
	s_delay_alu instid0(VALU_DEP_2) | instskip(NEXT) | instid1(VALU_DEP_2)
	v_add_f64_e32 v[68:69], v[2:3], v[12:13]
	v_add_f64_e32 v[62:63], v[10:11], v[62:63]
	s_cbranch_scc1 .LBB130_60
.LBB130_11:                             ;   Parent Loop BB130_4 Depth=1
                                        ;     Parent Loop BB130_8 Depth=2
                                        ; =>    This Inner Loop Header: Depth=3
	v_add_nc_u64_e32 v[10:11], s[54:55], v[30:31]
	v_cmp_eq_u64_e64 s7, s[54:55], v[44:45]
	v_add_nc_u64_e32 v[8:9], v[38:39], v[34:35]
	s_delay_alu instid0(VALU_DEP_3) | instskip(SKIP_3) | instid1(SALU_CYCLE_1)
	v_cmp_lt_i64_e64 s5, v[10:11], v[32:33]
	v_cmp_le_i64_e64 s6, s[42:43], v[10:11]
	s_and_b32 s64, s58, s7
	s_or_b32 s8, s4, s5
	s_or_b32 s7, s6, s8
	s_delay_alu instid0(SALU_CYCLE_1) | instskip(NEXT) | instid1(SALU_CYCLE_1)
	s_nor_b32 s7, s7, s64
	s_and_saveexec_b32 s8, s7
	s_delay_alu instid0(SALU_CYCLE_1)
	s_xor_b32 s7, exec_lo, s8
	s_cbranch_execz .LBB130_13
; %bb.12:                               ;   in Loop: Header=BB130_11 Depth=3
	global_load_b128 v[12:15], v[8:9], off
	s_wait_loadcnt 0x0
	v_xor_b32_e32 v15, 0x80000000, v15
	ds_store_b128 v72, v[12:15]
.LBB130_13:                             ;   in Loop: Header=BB130_11 Depth=3
	s_wait_xcnt 0x0
	s_or_saveexec_b32 s7, s7
	s_xor_b32 s63, s64, -1
	s_xor_b32 exec_lo, exec_lo, s7
	s_cbranch_execz .LBB130_19
; %bb.14:                               ;   in Loop: Header=BB130_11 Depth=3
	s_and_saveexec_b32 s8, s63
	s_delay_alu instid0(SALU_CYCLE_1)
	s_xor_b32 s8, exec_lo, s8
; %bb.15:                               ;   in Loop: Header=BB130_11 Depth=3
	v_dual_mov_b32 v12, v0 :: v_dual_mov_b32 v13, v0
	v_dual_mov_b32 v14, v0 :: v_dual_mov_b32 v15, v0
	ds_store_b128 v72, v[12:15]
; %bb.16:                               ;   in Loop: Header=BB130_11 Depth=3
	s_and_not1_saveexec_b32 s8, s8
; %bb.17:                               ;   in Loop: Header=BB130_11 Depth=3
	v_dual_mov_b32 v2, v0 :: v_dual_mov_b32 v3, v0
	ds_store_b128 v72, v[0:3]
; %bb.18:                               ;   in Loop: Header=BB130_11 Depth=3
	s_or_b32 exec_lo, exec_lo, s8
.LBB130_19:                             ;   in Loop: Header=BB130_11 Depth=3
	s_delay_alu instid0(SALU_CYCLE_1) | instskip(SKIP_3) | instid1(VALU_DEP_3)
	s_or_b32 exec_lo, exec_lo, s7
	v_add_nc_u64_e32 v[2:3], 16, v[10:11]
	v_cmp_eq_u64_e64 s9, s[54:55], v[50:51]
	v_add_nc_u64_e32 v[12:13], v[40:41], v[34:35]
	v_cmp_lt_i64_e64 s8, v[2:3], v[32:33]
	v_cmp_le_i64_e64 s7, s[42:43], v[2:3]
	s_and_b32 s9, s58, s9
	s_or_b32 s8, s4, s8
	s_delay_alu instid0(SALU_CYCLE_1) | instskip(NEXT) | instid1(SALU_CYCLE_1)
	s_or_b32 s8, s7, s8
	s_nor_b32 s8, s8, s9
	s_delay_alu instid0(SALU_CYCLE_1) | instskip(NEXT) | instid1(SALU_CYCLE_1)
	s_and_saveexec_b32 s65, s8
	s_xor_b32 s8, exec_lo, s65
	s_cbranch_execz .LBB130_21
; %bb.20:                               ;   in Loop: Header=BB130_11 Depth=3
	global_load_b128 v[14:17], v[12:13], off
	s_wait_loadcnt 0x0
	v_xor_b32_e32 v17, 0x80000000, v17
	ds_store_b128 v72, v[14:17] offset:256
.LBB130_21:                             ;   in Loop: Header=BB130_11 Depth=3
	s_wait_xcnt 0x0
	s_and_not1_saveexec_b32 s8, s8
	s_cbranch_execz .LBB130_27
; %bb.22:                               ;   in Loop: Header=BB130_11 Depth=3
	s_xor_b32 s9, s9, -1
	s_delay_alu instid0(SALU_CYCLE_1) | instskip(NEXT) | instid1(SALU_CYCLE_1)
	s_and_saveexec_b32 s65, s9
	s_xor_b32 s9, exec_lo, s65
; %bb.23:                               ;   in Loop: Header=BB130_11 Depth=3
	v_dual_mov_b32 v14, v0 :: v_dual_mov_b32 v15, v0
	v_dual_mov_b32 v16, v0 :: v_dual_mov_b32 v17, v0
	ds_store_b128 v72, v[14:17] offset:256
; %bb.24:                               ;   in Loop: Header=BB130_11 Depth=3
	s_and_not1_saveexec_b32 s9, s9
; %bb.25:                               ;   in Loop: Header=BB130_11 Depth=3
	v_dual_mov_b32 v2, v0 :: v_dual_mov_b32 v3, v0
	ds_store_b128 v72, v[0:3] offset:256
; %bb.26:                               ;   in Loop: Header=BB130_11 Depth=3
	s_or_b32 exec_lo, exec_lo, s9
.LBB130_27:                             ;   in Loop: Header=BB130_11 Depth=3
	s_delay_alu instid0(SALU_CYCLE_1) | instskip(SKIP_4) | instid1(SALU_CYCLE_1)
	s_or_b32 exec_lo, exec_lo, s8
	v_cmp_eq_u64_e64 s8, s[54:55], v[48:49]
	v_cmp_lt_i64_e64 s9, v[10:11], v[46:47]
	s_and_b32 s8, s58, s8
	s_or_b32 s9, vcc_lo, s9
	s_or_b32 s9, s9, s8
	s_delay_alu instid0(SALU_CYCLE_1) | instskip(NEXT) | instid1(SALU_CYCLE_1)
	s_nor_b32 s6, s6, s9
	s_and_saveexec_b32 s9, s6
	s_delay_alu instid0(SALU_CYCLE_1)
	s_xor_b32 s6, exec_lo, s9
	s_cbranch_execz .LBB130_29
; %bb.28:                               ;   in Loop: Header=BB130_11 Depth=3
	global_load_b128 v[8:11], v[8:9], off offset:256
	s_wait_loadcnt 0x0
	v_xor_b32_e32 v11, 0x80000000, v11
	ds_store_b128 v72, v[8:11] offset:8192
.LBB130_29:                             ;   in Loop: Header=BB130_11 Depth=3
	s_wait_xcnt 0x0
	s_and_not1_saveexec_b32 s6, s6
	s_cbranch_execz .LBB130_35
; %bb.30:                               ;   in Loop: Header=BB130_11 Depth=3
	s_xor_b32 s8, s8, -1
	s_delay_alu instid0(SALU_CYCLE_1) | instskip(NEXT) | instid1(SALU_CYCLE_1)
	s_and_saveexec_b32 s9, s8
	s_xor_b32 s8, exec_lo, s9
; %bb.31:                               ;   in Loop: Header=BB130_11 Depth=3
	v_dual_mov_b32 v8, v0 :: v_dual_mov_b32 v9, v0
	v_dual_mov_b32 v10, v0 :: v_dual_mov_b32 v11, v0
	ds_store_b128 v72, v[8:11] offset:8192
; %bb.32:                               ;   in Loop: Header=BB130_11 Depth=3
	s_and_not1_saveexec_b32 s8, s8
; %bb.33:                               ;   in Loop: Header=BB130_11 Depth=3
	v_dual_mov_b32 v2, v0 :: v_dual_mov_b32 v3, v0
	ds_store_b128 v72, v[0:3] offset:8192
; %bb.34:                               ;   in Loop: Header=BB130_11 Depth=3
	s_or_b32 exec_lo, exec_lo, s8
.LBB130_35:                             ;   in Loop: Header=BB130_11 Depth=3
	s_delay_alu instid0(SALU_CYCLE_1) | instskip(SKIP_1) | instid1(SALU_CYCLE_1)
	s_or_b32 exec_lo, exec_lo, s6
	s_or_b32 s5, vcc_lo, s5
	s_or_b32 s5, s7, s5
	s_delay_alu instid0(SALU_CYCLE_1) | instskip(NEXT) | instid1(SALU_CYCLE_1)
	s_nor_b32 s5, s5, s64
	s_and_saveexec_b32 s6, s5
	s_delay_alu instid0(SALU_CYCLE_1)
	s_xor_b32 s5, exec_lo, s6
	s_cbranch_execz .LBB130_37
; %bb.36:                               ;   in Loop: Header=BB130_11 Depth=3
	global_load_b128 v[8:11], v[12:13], off offset:256
	s_wait_loadcnt 0x0
	v_xor_b32_e32 v11, 0x80000000, v11
	ds_store_b128 v72, v[8:11] offset:8448
.LBB130_37:                             ;   in Loop: Header=BB130_11 Depth=3
	s_wait_xcnt 0x0
	s_and_not1_saveexec_b32 s5, s5
	s_cbranch_execz .LBB130_43
; %bb.38:                               ;   in Loop: Header=BB130_11 Depth=3
	s_and_saveexec_b32 s6, s63
	s_delay_alu instid0(SALU_CYCLE_1)
	s_xor_b32 s6, exec_lo, s6
; %bb.39:                               ;   in Loop: Header=BB130_11 Depth=3
	v_dual_mov_b32 v8, v0 :: v_dual_mov_b32 v9, v0
	v_dual_mov_b32 v10, v0 :: v_dual_mov_b32 v11, v0
	ds_store_b128 v72, v[8:11] offset:8448
; %bb.40:                               ;   in Loop: Header=BB130_11 Depth=3
	s_and_not1_saveexec_b32 s6, s6
; %bb.41:                               ;   in Loop: Header=BB130_11 Depth=3
	v_dual_mov_b32 v2, v0 :: v_dual_mov_b32 v3, v0
	ds_store_b128 v72, v[0:3] offset:8448
; %bb.42:                               ;   in Loop: Header=BB130_11 Depth=3
	s_or_b32 exec_lo, exec_lo, s6
.LBB130_43:                             ;   in Loop: Header=BB130_11 Depth=3
	s_delay_alu instid0(SALU_CYCLE_1) | instskip(SKIP_2) | instid1(VALU_DEP_2)
	s_or_b32 exec_lo, exec_lo, s5
	v_add_nc_u64_e32 v[2:3], s[54:55], v[28:29]
	v_add_nc_u64_e32 v[8:9], v[52:53], v[36:37]
	v_cmp_le_i64_e64 s5, s[42:43], v[2:3]
	s_nor_b32 s6, s5, s0
	s_delay_alu instid0(SALU_CYCLE_1) | instskip(NEXT) | instid1(SALU_CYCLE_1)
	s_and_saveexec_b32 s7, s6
	s_xor_b32 s6, exec_lo, s7
	s_cbranch_execz .LBB130_45
; %bb.44:                               ;   in Loop: Header=BB130_11 Depth=3
	global_load_b128 v[10:13], v[8:9], off offset:-256
	s_wait_loadcnt 0x0
	ds_store_2addr_b64 v74, v[10:11], v[12:13] offset1:1
.LBB130_45:                             ;   in Loop: Header=BB130_11 Depth=3
	s_wait_xcnt 0x0
	s_and_not1_saveexec_b32 s6, s6
; %bb.46:                               ;   in Loop: Header=BB130_11 Depth=3
	v_dual_mov_b32 v10, v0 :: v_dual_mov_b32 v11, v0
	v_dual_mov_b32 v12, v0 :: v_dual_mov_b32 v13, v0
	ds_store_b128 v74, v[10:13]
; %bb.47:                               ;   in Loop: Header=BB130_11 Depth=3
	s_or_b32 exec_lo, exec_lo, s6
	s_nor_b32 s5, s5, s1
	s_delay_alu instid0(SALU_CYCLE_1) | instskip(NEXT) | instid1(SALU_CYCLE_1)
	s_and_saveexec_b32 s6, s5
	s_xor_b32 s5, exec_lo, s6
	s_cbranch_execz .LBB130_49
; %bb.48:                               ;   in Loop: Header=BB130_11 Depth=3
	global_load_b128 v[8:11], v[8:9], off
	s_wait_loadcnt 0x0
	ds_store_2addr_b64 v75, v[8:9], v[10:11] offset1:1
.LBB130_49:                             ;   in Loop: Header=BB130_11 Depth=3
	s_wait_xcnt 0x0
	s_and_not1_saveexec_b32 s5, s5
; %bb.50:                               ;   in Loop: Header=BB130_11 Depth=3
	v_dual_mov_b32 v8, v0 :: v_dual_mov_b32 v9, v0
	v_dual_mov_b32 v10, v0 :: v_dual_mov_b32 v11, v0
	ds_store_b128 v74, v[8:11] offset:256
; %bb.51:                               ;   in Loop: Header=BB130_11 Depth=3
	s_or_b32 exec_lo, exec_lo, s5
	v_cmp_le_i64_e64 s5, s[50:51], v[2:3]
	v_add_nc_u64_e32 v[2:3], v[52:53], v[42:43]
	s_nor_b32 s6, s5, s0
	s_delay_alu instid0(SALU_CYCLE_1) | instskip(NEXT) | instid1(SALU_CYCLE_1)
	s_and_saveexec_b32 s7, s6
	s_xor_b32 s6, exec_lo, s7
	s_cbranch_execz .LBB130_53
; %bb.52:                               ;   in Loop: Header=BB130_11 Depth=3
	global_load_b128 v[8:11], v[2:3], off offset:-256
	s_wait_loadcnt 0x0
	ds_store_2addr_b64 v76, v[8:9], v[10:11] offset1:1
.LBB130_53:                             ;   in Loop: Header=BB130_11 Depth=3
	s_wait_xcnt 0x0
	s_and_not1_saveexec_b32 s6, s6
; %bb.54:                               ;   in Loop: Header=BB130_11 Depth=3
	v_dual_mov_b32 v8, v0 :: v_dual_mov_b32 v9, v0
	v_dual_mov_b32 v10, v0 :: v_dual_mov_b32 v11, v0
	ds_store_b128 v74, v[8:11] offset:8192
; %bb.55:                               ;   in Loop: Header=BB130_11 Depth=3
	s_or_b32 exec_lo, exec_lo, s6
	s_nor_b32 s5, s5, s1
	s_delay_alu instid0(SALU_CYCLE_1) | instskip(NEXT) | instid1(SALU_CYCLE_1)
	s_and_saveexec_b32 s6, s5
	s_xor_b32 s5, exec_lo, s6
	s_cbranch_execz .LBB130_57
; %bb.56:                               ;   in Loop: Header=BB130_11 Depth=3
	global_load_b128 v[8:11], v[2:3], off
	s_wait_loadcnt 0x0
	ds_store_2addr_b64 v77, v[8:9], v[10:11] offset1:1
.LBB130_57:                             ;   in Loop: Header=BB130_11 Depth=3
	s_wait_xcnt 0x0
	s_and_not1_saveexec_b32 s5, s5
	s_cbranch_execz .LBB130_10
; %bb.58:                               ;   in Loop: Header=BB130_11 Depth=3
	v_dual_mov_b32 v8, v0 :: v_dual_mov_b32 v9, v0
	v_dual_mov_b32 v10, v0 :: v_dual_mov_b32 v11, v0
	ds_store_b128 v74, v[8:11] offset:8448
	s_branch .LBB130_10
.LBB130_59:                             ;   in Loop: Header=BB130_8 Depth=2
	v_mov_b64_e32 v[58:59], 0
	v_mov_b64_e32 v[60:61], 0
	;; [unrolled: 1-line block ×8, first 2 shown]
.LBB130_60:                             ;   in Loop: Header=BB130_8 Depth=2
	v_mul_u64_e32 v[2:3], s[28:29], v[32:33]
	v_cmp_gt_i32_e32 vcc_lo, s10, v32
	s_and_b32 s5, s2, vcc_lo
	s_delay_alu instid0(VALU_DEP_2)
	v_lshl_add_u64 v[2:3], v[2:3], 4, s[52:53]
	s_and_saveexec_b32 s4, s5
	s_cbranch_execz .LBB130_62
; %bb.61:                               ;   in Loop: Header=BB130_8 Depth=2
	s_delay_alu instid0(VALU_DEP_1)
	v_lshl_add_u64 v[12:13], v[20:21], 4, v[2:3]
	v_mul_f64_e32 v[14:15], v[6:7], v[60:61]
	v_mul_f64_e32 v[16:17], v[4:5], v[60:61]
	global_load_b128 v[8:11], v[12:13], off
	v_fma_f64 v[14:15], v[4:5], v[58:59], -v[14:15]
	v_fmac_f64_e32 v[16:17], v[6:7], v[58:59]
	s_wait_loadcnt 0x0
	s_delay_alu instid0(VALU_DEP_2) | instskip(NEXT) | instid1(VALU_DEP_2)
	v_add_f64_e32 v[8:9], v[8:9], v[14:15]
	v_add_f64_e32 v[10:11], v[16:17], v[10:11]
	global_store_b128 v[12:13], v[8:11], off
.LBB130_62:                             ;   in Loop: Header=BB130_8 Depth=2
	s_wait_xcnt 0x0
	s_or_b32 exec_lo, exec_lo, s4
	s_and_b32 s5, s3, vcc_lo
	s_delay_alu instid0(SALU_CYCLE_1)
	s_and_saveexec_b32 s4, s5
	s_cbranch_execz .LBB130_64
; %bb.63:                               ;   in Loop: Header=BB130_8 Depth=2
	v_lshl_add_u64 v[2:3], v[22:23], 4, v[2:3]
	v_mul_f64_e32 v[12:13], v[6:7], v[56:57]
	v_mul_f64_e32 v[14:15], v[4:5], v[56:57]
	global_load_b128 v[8:11], v[2:3], off
	v_fma_f64 v[12:13], v[4:5], v[54:55], -v[12:13]
	v_fmac_f64_e32 v[14:15], v[6:7], v[54:55]
	s_wait_loadcnt 0x0
	s_delay_alu instid0(VALU_DEP_2) | instskip(NEXT) | instid1(VALU_DEP_2)
	v_add_f64_e32 v[8:9], v[8:9], v[12:13]
	v_add_f64_e32 v[10:11], v[14:15], v[10:11]
	global_store_b128 v[2:3], v[8:11], off
.LBB130_64:                             ;   in Loop: Header=BB130_8 Depth=2
	s_wait_xcnt 0x0
	s_or_b32 exec_lo, exec_lo, s4
	v_add_nc_u32_e32 v2, 16, v32
	s_delay_alu instid0(VALU_DEP_1) | instskip(SKIP_1) | instid1(VALU_DEP_2)
	v_ashrrev_i32_e32 v3, 31, v2
	v_cmp_gt_i32_e32 vcc_lo, s10, v2
	v_mul_u64_e32 v[8:9], s[28:29], v[2:3]
	s_and_b32 s5, s2, vcc_lo
	s_delay_alu instid0(VALU_DEP_1)
	v_lshl_add_u64 v[2:3], v[8:9], 4, s[52:53]
	s_and_saveexec_b32 s4, s5
	s_cbranch_execz .LBB130_66
; %bb.65:                               ;   in Loop: Header=BB130_8 Depth=2
	s_delay_alu instid0(VALU_DEP_1)
	v_lshl_add_u64 v[12:13], v[20:21], 4, v[2:3]
	v_mul_f64_e32 v[14:15], v[6:7], v[64:65]
	v_mul_f64_e32 v[16:17], v[4:5], v[64:65]
	global_load_b128 v[8:11], v[12:13], off
	v_fma_f64 v[14:15], v[4:5], v[66:67], -v[14:15]
	v_fmac_f64_e32 v[16:17], v[6:7], v[66:67]
	s_wait_loadcnt 0x0
	s_delay_alu instid0(VALU_DEP_2) | instskip(NEXT) | instid1(VALU_DEP_2)
	v_add_f64_e32 v[8:9], v[8:9], v[14:15]
	v_add_f64_e32 v[10:11], v[16:17], v[10:11]
	global_store_b128 v[12:13], v[8:11], off
.LBB130_66:                             ;   in Loop: Header=BB130_8 Depth=2
	s_wait_xcnt 0x0
	s_or_b32 exec_lo, exec_lo, s4
	s_and_b32 s5, s3, vcc_lo
	s_delay_alu instid0(SALU_CYCLE_1)
	s_and_saveexec_b32 s4, s5
	s_cbranch_execz .LBB130_7
; %bb.67:                               ;   in Loop: Header=BB130_8 Depth=2
	v_lshl_add_u64 v[2:3], v[22:23], 4, v[2:3]
	v_mul_f64_e32 v[12:13], v[6:7], v[62:63]
	v_mul_f64_e32 v[14:15], v[4:5], v[62:63]
	global_load_b128 v[8:11], v[2:3], off
	v_fma_f64 v[12:13], v[4:5], v[68:69], -v[12:13]
	v_fmac_f64_e32 v[14:15], v[6:7], v[68:69]
	s_wait_loadcnt 0x0
	s_delay_alu instid0(VALU_DEP_2) | instskip(NEXT) | instid1(VALU_DEP_2)
	v_add_f64_e32 v[8:9], v[8:9], v[12:13]
	v_add_f64_e32 v[10:11], v[14:15], v[10:11]
	global_store_b128 v[2:3], v[8:11], off
	s_branch .LBB130_7
.LBB130_68:
	s_sendmsg sendmsg(MSG_DEALLOC_VGPRS)
	s_endpgm
	.section	.rodata,"a",@progbits
	.p2align	6, 0x0
	.amdhsa_kernel _ZL30rocblas_trmm_outofplace_kernelI19rocblas_complex_numIdELi32ELi2ELb0ELb1ELb1ELb1EPKS1_S2_S1_Ev17rocblas_diagonal_iiT6_lPT7_lllS7_lllPT8_llli
		.amdhsa_group_segment_fixed_size 32768
		.amdhsa_private_segment_fixed_size 0
		.amdhsa_kernarg_size 392
		.amdhsa_user_sgpr_count 2
		.amdhsa_user_sgpr_dispatch_ptr 0
		.amdhsa_user_sgpr_queue_ptr 0
		.amdhsa_user_sgpr_kernarg_segment_ptr 1
		.amdhsa_user_sgpr_dispatch_id 0
		.amdhsa_user_sgpr_kernarg_preload_length 0
		.amdhsa_user_sgpr_kernarg_preload_offset 0
		.amdhsa_user_sgpr_private_segment_size 0
		.amdhsa_wavefront_size32 1
		.amdhsa_uses_dynamic_stack 0
		.amdhsa_enable_private_segment 0
		.amdhsa_system_sgpr_workgroup_id_x 1
		.amdhsa_system_sgpr_workgroup_id_y 1
		.amdhsa_system_sgpr_workgroup_id_z 1
		.amdhsa_system_sgpr_workgroup_info 0
		.amdhsa_system_vgpr_workitem_id 1
		.amdhsa_next_free_vgpr 96
		.amdhsa_next_free_sgpr 66
		.amdhsa_named_barrier_count 0
		.amdhsa_reserve_vcc 1
		.amdhsa_float_round_mode_32 0
		.amdhsa_float_round_mode_16_64 0
		.amdhsa_float_denorm_mode_32 3
		.amdhsa_float_denorm_mode_16_64 3
		.amdhsa_fp16_overflow 0
		.amdhsa_memory_ordered 1
		.amdhsa_forward_progress 1
		.amdhsa_inst_pref_size 67
		.amdhsa_round_robin_scheduling 0
		.amdhsa_exception_fp_ieee_invalid_op 0
		.amdhsa_exception_fp_denorm_src 0
		.amdhsa_exception_fp_ieee_div_zero 0
		.amdhsa_exception_fp_ieee_overflow 0
		.amdhsa_exception_fp_ieee_underflow 0
		.amdhsa_exception_fp_ieee_inexact 0
		.amdhsa_exception_int_div_zero 0
	.end_amdhsa_kernel
	.section	.text._ZL30rocblas_trmm_outofplace_kernelI19rocblas_complex_numIdELi32ELi2ELb0ELb1ELb1ELb1EPKS1_S2_S1_Ev17rocblas_diagonal_iiT6_lPT7_lllS7_lllPT8_llli,"axG",@progbits,_ZL30rocblas_trmm_outofplace_kernelI19rocblas_complex_numIdELi32ELi2ELb0ELb1ELb1ELb1EPKS1_S2_S1_Ev17rocblas_diagonal_iiT6_lPT7_lllS7_lllPT8_llli,comdat
.Lfunc_end130:
	.size	_ZL30rocblas_trmm_outofplace_kernelI19rocblas_complex_numIdELi32ELi2ELb0ELb1ELb1ELb1EPKS1_S2_S1_Ev17rocblas_diagonal_iiT6_lPT7_lllS7_lllPT8_llli, .Lfunc_end130-_ZL30rocblas_trmm_outofplace_kernelI19rocblas_complex_numIdELi32ELi2ELb0ELb1ELb1ELb1EPKS1_S2_S1_Ev17rocblas_diagonal_iiT6_lPT7_lllS7_lllPT8_llli
                                        ; -- End function
	.set _ZL30rocblas_trmm_outofplace_kernelI19rocblas_complex_numIdELi32ELi2ELb0ELb1ELb1ELb1EPKS1_S2_S1_Ev17rocblas_diagonal_iiT6_lPT7_lllS7_lllPT8_llli.num_vgpr, 96
	.set _ZL30rocblas_trmm_outofplace_kernelI19rocblas_complex_numIdELi32ELi2ELb0ELb1ELb1ELb1EPKS1_S2_S1_Ev17rocblas_diagonal_iiT6_lPT7_lllS7_lllPT8_llli.num_agpr, 0
	.set _ZL30rocblas_trmm_outofplace_kernelI19rocblas_complex_numIdELi32ELi2ELb0ELb1ELb1ELb1EPKS1_S2_S1_Ev17rocblas_diagonal_iiT6_lPT7_lllS7_lllPT8_llli.numbered_sgpr, 66
	.set _ZL30rocblas_trmm_outofplace_kernelI19rocblas_complex_numIdELi32ELi2ELb0ELb1ELb1ELb1EPKS1_S2_S1_Ev17rocblas_diagonal_iiT6_lPT7_lllS7_lllPT8_llli.num_named_barrier, 0
	.set _ZL30rocblas_trmm_outofplace_kernelI19rocblas_complex_numIdELi32ELi2ELb0ELb1ELb1ELb1EPKS1_S2_S1_Ev17rocblas_diagonal_iiT6_lPT7_lllS7_lllPT8_llli.private_seg_size, 0
	.set _ZL30rocblas_trmm_outofplace_kernelI19rocblas_complex_numIdELi32ELi2ELb0ELb1ELb1ELb1EPKS1_S2_S1_Ev17rocblas_diagonal_iiT6_lPT7_lllS7_lllPT8_llli.uses_vcc, 1
	.set _ZL30rocblas_trmm_outofplace_kernelI19rocblas_complex_numIdELi32ELi2ELb0ELb1ELb1ELb1EPKS1_S2_S1_Ev17rocblas_diagonal_iiT6_lPT7_lllS7_lllPT8_llli.uses_flat_scratch, 0
	.set _ZL30rocblas_trmm_outofplace_kernelI19rocblas_complex_numIdELi32ELi2ELb0ELb1ELb1ELb1EPKS1_S2_S1_Ev17rocblas_diagonal_iiT6_lPT7_lllS7_lllPT8_llli.has_dyn_sized_stack, 0
	.set _ZL30rocblas_trmm_outofplace_kernelI19rocblas_complex_numIdELi32ELi2ELb0ELb1ELb1ELb1EPKS1_S2_S1_Ev17rocblas_diagonal_iiT6_lPT7_lllS7_lllPT8_llli.has_recursion, 0
	.set _ZL30rocblas_trmm_outofplace_kernelI19rocblas_complex_numIdELi32ELi2ELb0ELb1ELb1ELb1EPKS1_S2_S1_Ev17rocblas_diagonal_iiT6_lPT7_lllS7_lllPT8_llli.has_indirect_call, 0
	.section	.AMDGPU.csdata,"",@progbits
; Kernel info:
; codeLenInByte = 8488
; TotalNumSgprs: 68
; NumVgprs: 96
; ScratchSize: 0
; MemoryBound: 0
; FloatMode: 240
; IeeeMode: 1
; LDSByteSize: 32768 bytes/workgroup (compile time only)
; SGPRBlocks: 0
; VGPRBlocks: 5
; NumSGPRsForWavesPerEU: 68
; NumVGPRsForWavesPerEU: 96
; NamedBarCnt: 0
; Occupancy: 10
; WaveLimiterHint : 0
; COMPUTE_PGM_RSRC2:SCRATCH_EN: 0
; COMPUTE_PGM_RSRC2:USER_SGPR: 2
; COMPUTE_PGM_RSRC2:TRAP_HANDLER: 0
; COMPUTE_PGM_RSRC2:TGID_X_EN: 1
; COMPUTE_PGM_RSRC2:TGID_Y_EN: 1
; COMPUTE_PGM_RSRC2:TGID_Z_EN: 1
; COMPUTE_PGM_RSRC2:TIDIG_COMP_CNT: 1
	.section	.text._ZL30rocblas_trmm_outofplace_kernelI19rocblas_complex_numIdELi32ELi2ELb0ELb1ELb1ELb1ES1_KS1_S1_Ev17rocblas_diagonal_iiT6_lPT7_lllS6_lllPT8_llli,"axG",@progbits,_ZL30rocblas_trmm_outofplace_kernelI19rocblas_complex_numIdELi32ELi2ELb0ELb1ELb1ELb1ES1_KS1_S1_Ev17rocblas_diagonal_iiT6_lPT7_lllS6_lllPT8_llli,comdat
	.globl	_ZL30rocblas_trmm_outofplace_kernelI19rocblas_complex_numIdELi32ELi2ELb0ELb1ELb1ELb1ES1_KS1_S1_Ev17rocblas_diagonal_iiT6_lPT7_lllS6_lllPT8_llli ; -- Begin function _ZL30rocblas_trmm_outofplace_kernelI19rocblas_complex_numIdELi32ELi2ELb0ELb1ELb1ELb1ES1_KS1_S1_Ev17rocblas_diagonal_iiT6_lPT7_lllS6_lllPT8_llli
	.p2align	8
	.type	_ZL30rocblas_trmm_outofplace_kernelI19rocblas_complex_numIdELi32ELi2ELb0ELb1ELb1ELb1ES1_KS1_S1_Ev17rocblas_diagonal_iiT6_lPT7_lllS6_lllPT8_llli,@function
_ZL30rocblas_trmm_outofplace_kernelI19rocblas_complex_numIdELi32ELi2ELb0ELb1ELb1ELb1ES1_KS1_S1_Ev17rocblas_diagonal_iiT6_lPT7_lllS6_lllPT8_llli: ; @_ZL30rocblas_trmm_outofplace_kernelI19rocblas_complex_numIdELi32ELi2ELb0ELb1ELb1ELb1ES1_KS1_S1_Ev17rocblas_diagonal_iiT6_lPT7_lllS6_lllPT8_llli
; %bb.0:
	s_load_b32 s33, s[0:1], 0x88
	s_bfe_u32 s2, ttmp6, 0x40014
	s_lshr_b32 s3, ttmp7, 16
	s_add_co_i32 s2, s2, 1
	s_bfe_u32 s5, ttmp6, 0x40008
	s_mul_i32 s4, s3, s2
	s_getreg_b32 s2, hwreg(HW_REG_IB_STS2, 6, 4)
	s_add_co_i32 s5, s5, s4
	s_cmp_eq_u32 s2, 0
	s_cselect_b32 s34, s3, s5
	s_wait_kmcnt 0x0
	s_cmp_ge_u32 s34, s33
	s_cbranch_scc1 .LBB131_67
; %bb.1:
	s_load_b128 s[36:39], s[0:1], 0x10
	s_wait_kmcnt 0x0
	v_cmp_eq_f64_e64 s3, s[36:37], 0
	v_cmp_eq_f64_e64 s4, s[38:39], 0
	s_and_b32 s3, s3, s4
	s_delay_alu instid0(SALU_CYCLE_1)
	s_and_b32 vcc_lo, exec_lo, s3
	s_cbranch_vccnz .LBB131_67
; %bb.2:
	s_clause 0x1
	s_load_b96 s[40:42], s[0:1], 0x0
	s_load_b512 s[8:23], s[0:1], 0x28
	s_bfe_u32 s4, ttmp6, 0x4000c
	s_and_b32 s3, ttmp6, 15
	s_add_co_i32 s4, s4, 1
	s_bfe_u32 s6, ttmp6, 0x40010
	s_add_nc_u64 s[44:45], s[0:1], 0x90
	s_load_b256 s[24:31], s[0:1], 0x68
	s_wait_xcnt 0x0
	s_mul_i32 s0, ttmp9, s4
	s_and_b32 s5, ttmp7, 0xffff
	s_add_co_i32 s6, s6, 1
	s_add_co_i32 s3, s3, s0
	s_bfe_u32 s7, ttmp6, 0x40004
	s_mul_i32 s1, s5, s6
	v_and_b32_e32 v2, 0x3ff, v0
	s_add_co_i32 s7, s7, s1
	v_bfe_u32 v66, v0, 10, 10
	s_mov_b32 s35, 0
	s_wait_kmcnt 0x0
	s_add_co_i32 s0, s42, -1
	s_mov_b32 s46, s42
	s_ashr_i32 s4, s0, 31
	s_delay_alu instid0(SALU_CYCLE_1) | instskip(NEXT) | instid1(SALU_CYCLE_1)
	s_lshr_b32 s1, s4, 27
	s_add_co_i32 s0, s0, s1
	s_delay_alu instid0(SALU_CYCLE_1)
	s_ashr_i32 s43, s0, 5
	s_cmp_eq_u32 s2, 0
	s_cselect_b32 s0, ttmp9, s3
	s_cselect_b32 s56, s5, s7
	v_lshl_add_u32 v14, s0, 5, v2
	s_cmp_le_i32 s56, s43
	s_mov_b32 s0, s41
	s_cselect_b32 s57, -1, 0
	s_cmp_eq_u32 s40, 0x84
	v_add_nc_u32_e32 v16, 16, v14
	v_lshlrev_b32_e32 v67, 9, v66
	s_cselect_b32 s58, -1, 0
	s_ashr_i32 s1, s41, 31
	s_lshl_b64 s[4:5], s[18:19], 4
	v_dual_ashrrev_i32 v17, 31, v16 :: v_dual_lshlrev_b32 v0, 4, v2
	s_lshl_b32 s6, s56, 5
	s_add_nc_u64 s[4:5], s[16:17], s[4:5]
	v_cmp_gt_i32_e64 s2, s41, v14
	v_add_nc_u32_e32 v74, s6, v2
	v_or_b32_e32 v68, 0x4000, v0
	v_add_nc_u32_e32 v75, s6, v66
	s_ashr_i32 s47, s42, 31
	s_lshl_b64 s[48:49], s[12:13], 9
	s_delay_alu instid0(VALU_DEP_2) | instskip(SKIP_3) | instid1(VALU_DEP_2)
	v_dual_ashrrev_i32 v15, 31, v14 :: v_dual_add_nc_u32 v70, v68, v67
	v_add_nc_u32_e32 v69, v67, v0
	s_lshl_b64 s[50:51], s[20:21], 9
	s_lshl_b64 s[16:17], s[20:21], 4
	v_sub_nc_u64_e32 v[0:1], s[0:1], v[14:15]
	s_lshl_b64 s[0:1], s[26:27], 4
	v_add_nc_u32_e32 v71, 0x100, v70
	s_add_nc_u64 s[24:25], s[24:25], s[0:1]
	v_add_nc_u32_e32 v72, 0x2000, v70
	v_add_nc_u32_e32 v73, 0x2100, v70
	v_lshl_add_u64 v[18:19], v[14:15], 4, s[4:5]
	v_cmp_gt_i64_e64 s0, 1, v[0:1]
	v_cmp_gt_i64_e64 s1, 17, v[0:1]
	v_dual_mov_b32 v0, 0 :: v_dual_mov_b32 v1, 0x3ff00000
	v_cmp_gt_i32_e64 s3, s41, v16
	s_lshl_b64 s[4:5], s[10:11], 4
	s_add_nc_u64 s[26:27], s[46:47], -16
	s_lshl_b64 s[18:19], s[22:23], 4
	s_add_nc_u64 s[10:11], s[8:9], s[4:5]
	s_lshl_b64 s[14:15], s[14:15], 4
	s_lshl_b64 s[22:23], s[12:13], 4
	s_branch .LBB131_4
.LBB131_3:                              ;   in Loop: Header=BB131_4 Depth=1
	s_add_co_i32 s34, s34, 0x10000
	s_delay_alu instid0(SALU_CYCLE_1)
	s_cmp_ge_u32 s34, s33
	s_cbranch_scc1 .LBB131_67
.LBB131_4:                              ; =>This Loop Header: Depth=1
                                        ;     Child Loop BB131_7 Depth 2
                                        ;       Child Loop BB131_10 Depth 3
	s_and_not1_b32 vcc_lo, exec_lo, s57
	s_cbranch_vccnz .LBB131_3
; %bb.5:                                ;   in Loop: Header=BB131_4 Depth=1
	s_load_b32 s59, s[44:45], 0x4
	v_mad_nc_u64_u32 v[20:21], s18, s34, v[18:19]
	s_mul_u64 s[6:7], s[30:31], s[34:35]
	v_dual_mov_b32 v22, v75 :: v_dual_mov_b32 v24, v74
	s_mul_u64 s[4:5], s[14:15], s[34:35]
	s_lshl_b64 s[6:7], s[6:7], 4
	s_add_nc_u64 s[40:41], s[10:11], s[4:5]
	s_add_nc_u64 s[52:53], s[24:25], s[6:7]
	s_mov_b32 s61, s56
	s_delay_alu instid0(VALU_DEP_2)
	v_mad_u32 v21, s19, s34, v21
	s_wait_kmcnt 0x0
	s_lshl_b32 s60, s59, 5
	s_branch .LBB131_7
.LBB131_6:                              ;   in Loop: Header=BB131_7 Depth=2
	s_wait_xcnt 0x0
	s_or_b32 exec_lo, exec_lo, s4
	v_dual_add_nc_u32 v24, s60, v24 :: v_dual_add_nc_u32 v22, s60, v22
	s_add_co_i32 s61, s59, s61
	s_delay_alu instid0(SALU_CYCLE_1)
	s_cmp_gt_i32 s61, s43
	s_cbranch_scc1 .LBB131_3
.LBB131_7:                              ;   Parent Loop BB131_4 Depth=1
                                        ; =>  This Loop Header: Depth=2
                                        ;       Child Loop BB131_10 Depth 3
	s_lshl_b32 s4, s61, 5
	v_ashrrev_i32_e32 v23, 31, v22
	v_dual_add_nc_u32 v26, s4, v66 :: v_dual_ashrrev_i32 v25, 31, v24
	s_sub_co_i32 s62, s42, s4
	s_delay_alu instid0(SALU_CYCLE_1) | instskip(NEXT) | instid1(VALU_DEP_1)
	s_cmp_lt_i32 s62, 1
	v_ashrrev_i32_e32 v27, 31, v26
	s_cbranch_scc1 .LBB131_58
; %bb.8:                                ;   in Loop: Header=BB131_7 Depth=2
	v_lshlrev_b64_e32 v[28:29], 4, v[22:23]
	v_lshl_add_u64 v[4:5], v[24:25], 4, 0x100
	v_mad_nc_u64_u32 v[30:31], s16, v22, 0x100
	v_mad_nc_u64_u32 v[32:33], s22, v24, s[40:41]
	v_sub_nc_u64_e32 v[38:39], v[22:23], v[24:25]
	v_add_nc_u64_e32 v[40:41], 16, v[26:27]
	v_mad_nc_u64_u32 v[34:35], s12, v4, s[40:41]
	v_add_nc_u64_e32 v[2:3], 0x100, v[28:29]
	v_mov_b64_e32 v[56:57], 0
	v_mov_b64_e32 v[64:65], 0
	;; [unrolled: 1-line block ×3, first 2 shown]
	v_add_nc_u64_e32 v[42:43], 16, v[38:39]
	v_add_nc_u64_e32 v[44:45], -16, v[38:39]
	v_mad_u32 v6, s17, v22, v31
	v_mad_nc_u64_u32 v[36:37], s20, v2, 0x100
	v_mad_u32 v7, s23, v24, v33
	v_mov_b64_e32 v[62:63], 0
	v_mad_u32 v4, s13, v4, v35
	v_mov_b64_e32 v[50:51], 0
	v_mov_b64_e32 v[48:49], 0
	;; [unrolled: 1-line block ×5, first 2 shown]
	v_cmp_le_i32_e64 s4, s42, v26
	v_mad_u32 v31, s16, v23, v6
	v_mad_u32 v2, s21, v2, v37
	;; [unrolled: 1-line block ×3, first 2 shown]
	s_mov_b64 s[54:55], 0
	v_mad_u32 v35, s12, v5, v4
	v_cmp_le_i64_e32 vcc_lo, s[46:47], v[40:41]
	s_delay_alu instid0(VALU_DEP_4)
	v_mad_u32 v37, s20, v3, v2
	s_branch .LBB131_10
.LBB131_9:                              ;   in Loop: Header=BB131_10 Depth=3
	s_or_b32 exec_lo, exec_lo, s5
	s_wait_dscnt 0x0
	s_barrier_signal -1
	s_barrier_wait -1
	ds_load_b128 v[76:79], v67
	ds_load_b128 v[10:13], v67 offset:16
	ds_load_b128 v[6:9], v67 offset:32
	;; [unrolled: 1-line block ×3, first 2 shown]
	ds_load_b128 v[80:83], v68
	v_add_nc_u64_e32 v[46:47], s[50:51], v[46:47]
	v_add_nc_u64_e32 v[32:33], s[48:49], v[32:33]
	;; [unrolled: 1-line block ×3, first 2 shown]
	s_add_nc_u64 s[54:55], s[54:55], 32
	s_delay_alu instid0(SALU_CYCLE_1) | instskip(SKIP_3) | instid1(VALU_DEP_2)
	s_cmp_ge_i32 s54, s62
	s_wait_dscnt 0x0
	v_mul_f64_e32 v[58:59], v[78:79], v[82:83]
	v_mul_f64_e32 v[84:85], v[76:77], v[82:83]
	v_fma_f64 v[58:59], v[76:77], v[80:81], -v[58:59]
	s_delay_alu instid0(VALU_DEP_2) | instskip(NEXT) | instid1(VALU_DEP_2)
	v_fmac_f64_e32 v[84:85], v[78:79], v[80:81]
	v_add_f64_e32 v[58:59], v[52:53], v[58:59]
	s_delay_alu instid0(VALU_DEP_2) | instskip(SKIP_3) | instid1(VALU_DEP_1)
	v_add_f64_e32 v[84:85], v[84:85], v[54:55]
	ds_load_b128 v[52:55], v68 offset:256
	s_wait_dscnt 0x0
	v_mul_f64_e32 v[86:87], v[78:79], v[54:55]
	v_fma_f64 v[86:87], v[76:77], v[52:53], -v[86:87]
	v_mul_f64_e32 v[76:77], v[76:77], v[54:55]
	s_delay_alu instid0(VALU_DEP_2) | instskip(NEXT) | instid1(VALU_DEP_2)
	v_add_f64_e32 v[86:87], v[48:49], v[86:87]
	v_fmac_f64_e32 v[76:77], v[78:79], v[52:53]
	s_delay_alu instid0(VALU_DEP_1) | instskip(SKIP_4) | instid1(VALU_DEP_2)
	v_add_f64_e32 v[88:89], v[76:77], v[50:51]
	ds_load_b128 v[76:79], v67 offset:8192
	s_wait_dscnt 0x0
	v_mul_f64_e32 v[50:51], v[76:77], v[82:83]
	v_mul_f64_e32 v[48:49], v[78:79], v[82:83]
	v_fmac_f64_e32 v[50:51], v[78:79], v[80:81]
	s_delay_alu instid0(VALU_DEP_2) | instskip(NEXT) | instid1(VALU_DEP_2)
	v_fma_f64 v[48:49], v[76:77], v[80:81], -v[48:49]
	v_add_f64_e32 v[50:51], v[50:51], v[60:61]
	v_mul_f64_e32 v[60:61], v[78:79], v[54:55]
	v_mul_f64_e32 v[54:55], v[76:77], v[54:55]
	s_delay_alu instid0(VALU_DEP_4) | instskip(NEXT) | instid1(VALU_DEP_3)
	v_add_f64_e32 v[48:49], v[62:63], v[48:49]
	v_fma_f64 v[60:61], v[76:77], v[52:53], -v[60:61]
	s_delay_alu instid0(VALU_DEP_3)
	v_fmac_f64_e32 v[54:55], v[78:79], v[52:53]
	ds_load_b128 v[76:79], v68 offset:768
	s_wait_dscnt 0x0
	v_mul_f64_e32 v[80:81], v[10:11], v[78:79]
	v_add_f64_e32 v[52:53], v[64:65], v[60:61]
	ds_load_b128 v[60:63], v68 offset:512
	v_add_f64_e32 v[54:55], v[54:55], v[56:57]
	s_wait_dscnt 0x0
	v_mul_f64_e32 v[56:57], v[12:13], v[62:63]
	v_mul_f64_e32 v[64:65], v[10:11], v[62:63]
	v_fmac_f64_e32 v[80:81], v[12:13], v[76:77]
	s_delay_alu instid0(VALU_DEP_3) | instskip(NEXT) | instid1(VALU_DEP_3)
	v_fma_f64 v[56:57], v[10:11], v[60:61], -v[56:57]
	v_fmac_f64_e32 v[64:65], v[12:13], v[60:61]
	s_delay_alu instid0(VALU_DEP_2) | instskip(NEXT) | instid1(VALU_DEP_2)
	v_add_f64_e32 v[56:57], v[58:59], v[56:57]
	v_add_f64_e32 v[58:59], v[64:65], v[84:85]
	v_mul_f64_e32 v[64:65], v[12:13], v[78:79]
	v_add_f64_e32 v[12:13], v[80:81], v[88:89]
	ds_load_b128 v[80:83], v67 offset:8208
	v_fma_f64 v[64:65], v[10:11], v[76:77], -v[64:65]
	s_delay_alu instid0(VALU_DEP_1) | instskip(SKIP_3) | instid1(VALU_DEP_2)
	v_add_f64_e32 v[10:11], v[86:87], v[64:65]
	s_wait_dscnt 0x0
	v_mul_f64_e32 v[64:65], v[82:83], v[62:63]
	v_mul_f64_e32 v[62:63], v[80:81], v[62:63]
	v_fma_f64 v[64:65], v[80:81], v[60:61], -v[64:65]
	s_delay_alu instid0(VALU_DEP_2) | instskip(NEXT) | instid1(VALU_DEP_2)
	v_fmac_f64_e32 v[62:63], v[82:83], v[60:61]
	v_add_f64_e32 v[60:61], v[48:49], v[64:65]
	s_delay_alu instid0(VALU_DEP_2) | instskip(SKIP_2) | instid1(VALU_DEP_2)
	v_add_f64_e32 v[62:63], v[62:63], v[50:51]
	v_mul_f64_e32 v[48:49], v[82:83], v[78:79]
	v_mul_f64_e32 v[50:51], v[80:81], v[78:79]
	v_fma_f64 v[48:49], v[80:81], v[76:77], -v[48:49]
	s_delay_alu instid0(VALU_DEP_2) | instskip(NEXT) | instid1(VALU_DEP_2)
	v_fmac_f64_e32 v[50:51], v[82:83], v[76:77]
	v_add_f64_e32 v[64:65], v[52:53], v[48:49]
	s_delay_alu instid0(VALU_DEP_2) | instskip(SKIP_4) | instid1(VALU_DEP_2)
	v_add_f64_e32 v[76:77], v[50:51], v[54:55]
	ds_load_b128 v[48:51], v68 offset:1024
	s_wait_dscnt 0x0
	v_mul_f64_e32 v[52:53], v[8:9], v[50:51]
	v_mul_f64_e32 v[54:55], v[6:7], v[50:51]
	v_fma_f64 v[52:53], v[6:7], v[48:49], -v[52:53]
	s_delay_alu instid0(VALU_DEP_2) | instskip(NEXT) | instid1(VALU_DEP_2)
	v_fmac_f64_e32 v[54:55], v[8:9], v[48:49]
	v_add_f64_e32 v[78:79], v[56:57], v[52:53]
	s_delay_alu instid0(VALU_DEP_2) | instskip(SKIP_3) | instid1(VALU_DEP_1)
	v_add_f64_e32 v[80:81], v[54:55], v[58:59]
	ds_load_b128 v[52:55], v68 offset:1280
	s_wait_dscnt 0x0
	v_mul_f64_e32 v[56:57], v[8:9], v[54:55]
	v_fma_f64 v[56:57], v[6:7], v[52:53], -v[56:57]
	v_mul_f64_e32 v[6:7], v[6:7], v[54:55]
	s_delay_alu instid0(VALU_DEP_2) | instskip(NEXT) | instid1(VALU_DEP_2)
	v_add_f64_e32 v[82:83], v[10:11], v[56:57]
	v_fmac_f64_e32 v[6:7], v[8:9], v[52:53]
	s_delay_alu instid0(VALU_DEP_1) | instskip(SKIP_4) | instid1(VALU_DEP_2)
	v_add_f64_e32 v[84:85], v[6:7], v[12:13]
	ds_load_b128 v[6:9], v67 offset:8224
	s_wait_dscnt 0x0
	v_mul_f64_e32 v[10:11], v[8:9], v[50:51]
	v_mul_f64_e32 v[12:13], v[6:7], v[50:51]
	v_fma_f64 v[10:11], v[6:7], v[48:49], -v[10:11]
	s_delay_alu instid0(VALU_DEP_2) | instskip(NEXT) | instid1(VALU_DEP_2)
	v_fmac_f64_e32 v[12:13], v[8:9], v[48:49]
	v_add_f64_e32 v[56:57], v[60:61], v[10:11]
	v_mul_f64_e32 v[10:11], v[8:9], v[54:55]
	s_delay_alu instid0(VALU_DEP_3) | instskip(NEXT) | instid1(VALU_DEP_2)
	v_add_f64_e32 v[58:59], v[12:13], v[62:63]
	v_fma_f64 v[10:11], v[6:7], v[52:53], -v[10:11]
	v_mul_f64_e32 v[6:7], v[6:7], v[54:55]
	s_delay_alu instid0(VALU_DEP_1) | instskip(NEXT) | instid1(VALU_DEP_3)
	v_fmac_f64_e32 v[6:7], v[8:9], v[52:53]
	v_add_f64_e32 v[52:53], v[64:65], v[10:11]
	ds_load_b128 v[10:13], v68 offset:1536
	s_wait_dscnt 0x0
	v_mul_f64_e32 v[8:9], v[2:3], v[12:13]
	v_add_f64_e32 v[54:55], v[6:7], v[76:77]
	v_mul_f64_e32 v[6:7], v[4:5], v[12:13]
	s_delay_alu instid0(VALU_DEP_3) | instskip(NEXT) | instid1(VALU_DEP_2)
	v_fmac_f64_e32 v[8:9], v[4:5], v[10:11]
	v_fma_f64 v[6:7], v[2:3], v[10:11], -v[6:7]
	s_delay_alu instid0(VALU_DEP_2) | instskip(NEXT) | instid1(VALU_DEP_2)
	v_add_f64_e32 v[50:51], v[8:9], v[80:81]
	v_add_f64_e32 v[48:49], v[78:79], v[6:7]
	ds_load_b128 v[6:9], v68 offset:1792
	s_wait_dscnt 0x0
	v_mul_f64_e32 v[60:61], v[4:5], v[8:9]
	v_mul_f64_e32 v[62:63], v[2:3], v[8:9]
	s_delay_alu instid0(VALU_DEP_2) | instskip(NEXT) | instid1(VALU_DEP_2)
	v_fma_f64 v[60:61], v[2:3], v[6:7], -v[60:61]
	v_fmac_f64_e32 v[62:63], v[4:5], v[6:7]
	s_delay_alu instid0(VALU_DEP_2) | instskip(NEXT) | instid1(VALU_DEP_2)
	v_add_f64_e32 v[2:3], v[82:83], v[60:61]
	v_add_f64_e32 v[4:5], v[62:63], v[84:85]
	ds_load_b128 v[60:63], v67 offset:8240
	s_wait_dscnt 0x0
	v_mul_f64_e32 v[64:65], v[62:63], v[12:13]
	v_mul_f64_e32 v[12:13], v[60:61], v[12:13]
	s_delay_alu instid0(VALU_DEP_2) | instskip(NEXT) | instid1(VALU_DEP_2)
	v_fma_f64 v[64:65], v[60:61], v[10:11], -v[64:65]
	v_fmac_f64_e32 v[12:13], v[62:63], v[10:11]
	v_mul_f64_e32 v[10:11], v[62:63], v[8:9]
	v_mul_f64_e32 v[8:9], v[60:61], v[8:9]
	s_delay_alu instid0(VALU_DEP_4) | instskip(NEXT) | instid1(VALU_DEP_4)
	v_add_f64_e32 v[56:57], v[56:57], v[64:65]
	v_add_f64_e32 v[58:59], v[12:13], v[58:59]
	s_delay_alu instid0(VALU_DEP_4) | instskip(NEXT) | instid1(VALU_DEP_4)
	v_fma_f64 v[10:11], v[60:61], v[6:7], -v[10:11]
	v_fmac_f64_e32 v[8:9], v[62:63], v[6:7]
	s_delay_alu instid0(VALU_DEP_2) | instskip(NEXT) | instid1(VALU_DEP_2)
	v_add_f64_e32 v[52:53], v[52:53], v[10:11]
	v_add_f64_e32 v[54:55], v[8:9], v[54:55]
	ds_load_b128 v[6:9], v67 offset:64
	ds_load_b128 v[10:13], v68 offset:2048
	s_wait_dscnt 0x0
	v_mul_f64_e32 v[60:61], v[8:9], v[12:13]
	v_mul_f64_e32 v[62:63], v[6:7], v[12:13]
	s_delay_alu instid0(VALU_DEP_2) | instskip(NEXT) | instid1(VALU_DEP_2)
	v_fma_f64 v[60:61], v[6:7], v[10:11], -v[60:61]
	v_fmac_f64_e32 v[62:63], v[8:9], v[10:11]
	s_delay_alu instid0(VALU_DEP_2) | instskip(NEXT) | instid1(VALU_DEP_2)
	v_add_f64_e32 v[60:61], v[48:49], v[60:61]
	v_add_f64_e32 v[62:63], v[62:63], v[50:51]
	ds_load_b128 v[48:51], v68 offset:2304
	s_wait_dscnt 0x0
	v_mul_f64_e32 v[64:65], v[8:9], v[50:51]
	s_delay_alu instid0(VALU_DEP_1) | instskip(SKIP_1) | instid1(VALU_DEP_2)
	v_fma_f64 v[64:65], v[6:7], v[48:49], -v[64:65]
	v_mul_f64_e32 v[6:7], v[6:7], v[50:51]
	v_add_f64_e32 v[64:65], v[2:3], v[64:65]
	s_delay_alu instid0(VALU_DEP_2) | instskip(NEXT) | instid1(VALU_DEP_1)
	v_fmac_f64_e32 v[6:7], v[8:9], v[48:49]
	v_add_f64_e32 v[76:77], v[6:7], v[4:5]
	ds_load_b128 v[2:5], v67 offset:8256
	s_wait_dscnt 0x0
	v_mul_f64_e32 v[6:7], v[4:5], v[12:13]
	v_mul_f64_e32 v[8:9], v[2:3], v[12:13]
	s_delay_alu instid0(VALU_DEP_2) | instskip(NEXT) | instid1(VALU_DEP_2)
	v_fma_f64 v[6:7], v[2:3], v[10:11], -v[6:7]
	v_fmac_f64_e32 v[8:9], v[4:5], v[10:11]
	s_delay_alu instid0(VALU_DEP_2) | instskip(SKIP_1) | instid1(VALU_DEP_3)
	v_add_f64_e32 v[10:11], v[56:57], v[6:7]
	v_mul_f64_e32 v[6:7], v[4:5], v[50:51]
	v_add_f64_e32 v[12:13], v[8:9], v[58:59]
	s_delay_alu instid0(VALU_DEP_2) | instskip(SKIP_1) | instid1(VALU_DEP_2)
	v_fma_f64 v[6:7], v[2:3], v[48:49], -v[6:7]
	v_mul_f64_e32 v[2:3], v[2:3], v[50:51]
	v_add_f64_e32 v[6:7], v[52:53], v[6:7]
	s_delay_alu instid0(VALU_DEP_2)
	v_fmac_f64_e32 v[2:3], v[4:5], v[48:49]
	ds_load_b128 v[48:51], v67 offset:80
	ds_load_b128 v[56:59], v68 offset:2560
	s_wait_dscnt 0x0
	v_mul_f64_e32 v[4:5], v[48:49], v[58:59]
	v_add_f64_e32 v[8:9], v[2:3], v[54:55]
	v_mul_f64_e32 v[2:3], v[50:51], v[58:59]
	s_delay_alu instid0(VALU_DEP_3) | instskip(NEXT) | instid1(VALU_DEP_2)
	v_fmac_f64_e32 v[4:5], v[50:51], v[56:57]
	v_fma_f64 v[2:3], v[48:49], v[56:57], -v[2:3]
	s_delay_alu instid0(VALU_DEP_2) | instskip(NEXT) | instid1(VALU_DEP_2)
	v_add_f64_e32 v[54:55], v[4:5], v[62:63]
	v_add_f64_e32 v[52:53], v[60:61], v[2:3]
	ds_load_b128 v[2:5], v68 offset:2816
	s_wait_dscnt 0x0
	v_mul_f64_e32 v[60:61], v[50:51], v[4:5]
	v_mul_f64_e32 v[62:63], v[48:49], v[4:5]
	s_delay_alu instid0(VALU_DEP_2) | instskip(NEXT) | instid1(VALU_DEP_2)
	v_fma_f64 v[60:61], v[48:49], v[2:3], -v[60:61]
	v_fmac_f64_e32 v[62:63], v[50:51], v[2:3]
	s_delay_alu instid0(VALU_DEP_2) | instskip(NEXT) | instid1(VALU_DEP_2)
	v_add_f64_e32 v[48:49], v[64:65], v[60:61]
	v_add_f64_e32 v[50:51], v[62:63], v[76:77]
	ds_load_b128 v[60:63], v67 offset:8272
	s_wait_dscnt 0x0
	v_mul_f64_e32 v[64:65], v[62:63], v[58:59]
	v_mul_f64_e32 v[58:59], v[60:61], v[58:59]
	s_delay_alu instid0(VALU_DEP_2) | instskip(NEXT) | instid1(VALU_DEP_2)
	v_fma_f64 v[64:65], v[60:61], v[56:57], -v[64:65]
	v_fmac_f64_e32 v[58:59], v[62:63], v[56:57]
	v_mul_f64_e32 v[56:57], v[62:63], v[4:5]
	v_mul_f64_e32 v[4:5], v[60:61], v[4:5]
	s_delay_alu instid0(VALU_DEP_4) | instskip(NEXT) | instid1(VALU_DEP_4)
	v_add_f64_e32 v[10:11], v[10:11], v[64:65]
	v_add_f64_e32 v[12:13], v[58:59], v[12:13]
	s_delay_alu instid0(VALU_DEP_4) | instskip(NEXT) | instid1(VALU_DEP_4)
	v_fma_f64 v[56:57], v[60:61], v[2:3], -v[56:57]
	v_fmac_f64_e32 v[4:5], v[62:63], v[2:3]
	s_delay_alu instid0(VALU_DEP_2) | instskip(NEXT) | instid1(VALU_DEP_2)
	v_add_f64_e32 v[56:57], v[6:7], v[56:57]
	v_add_f64_e32 v[58:59], v[4:5], v[8:9]
	ds_load_b128 v[2:5], v67 offset:96
	ds_load_b128 v[6:9], v68 offset:3072
	s_wait_dscnt 0x0
	v_mul_f64_e32 v[60:61], v[4:5], v[8:9]
	v_mul_f64_e32 v[62:63], v[2:3], v[8:9]
	s_delay_alu instid0(VALU_DEP_2) | instskip(NEXT) | instid1(VALU_DEP_2)
	v_fma_f64 v[60:61], v[2:3], v[6:7], -v[60:61]
	v_fmac_f64_e32 v[62:63], v[4:5], v[6:7]
	s_delay_alu instid0(VALU_DEP_2) | instskip(NEXT) | instid1(VALU_DEP_2)
	v_add_f64_e32 v[60:61], v[52:53], v[60:61]
	v_add_f64_e32 v[62:63], v[62:63], v[54:55]
	ds_load_b128 v[52:55], v68 offset:3328
	s_wait_dscnt 0x0
	v_mul_f64_e32 v[64:65], v[4:5], v[54:55]
	s_delay_alu instid0(VALU_DEP_1) | instskip(SKIP_1) | instid1(VALU_DEP_2)
	v_fma_f64 v[64:65], v[2:3], v[52:53], -v[64:65]
	v_mul_f64_e32 v[2:3], v[2:3], v[54:55]
	v_add_f64_e32 v[64:65], v[48:49], v[64:65]
	s_delay_alu instid0(VALU_DEP_2) | instskip(NEXT) | instid1(VALU_DEP_1)
	v_fmac_f64_e32 v[2:3], v[4:5], v[52:53]
	v_add_f64_e32 v[76:77], v[2:3], v[50:51]
	ds_load_b128 v[2:5], v67 offset:8288
	s_wait_dscnt 0x0
	v_mul_f64_e32 v[48:49], v[4:5], v[8:9]
	v_mul_f64_e32 v[8:9], v[2:3], v[8:9]
	s_delay_alu instid0(VALU_DEP_2) | instskip(NEXT) | instid1(VALU_DEP_2)
	v_fma_f64 v[48:49], v[2:3], v[6:7], -v[48:49]
	v_fmac_f64_e32 v[8:9], v[4:5], v[6:7]
	v_mul_f64_e32 v[6:7], v[4:5], v[54:55]
	s_delay_alu instid0(VALU_DEP_3) | instskip(NEXT) | instid1(VALU_DEP_3)
	v_add_f64_e32 v[10:11], v[10:11], v[48:49]
	v_add_f64_e32 v[12:13], v[8:9], v[12:13]
	s_delay_alu instid0(VALU_DEP_3) | instskip(SKIP_1) | instid1(VALU_DEP_2)
	v_fma_f64 v[6:7], v[2:3], v[52:53], -v[6:7]
	v_mul_f64_e32 v[2:3], v[2:3], v[54:55]
	v_add_f64_e32 v[6:7], v[56:57], v[6:7]
	s_delay_alu instid0(VALU_DEP_2) | instskip(NEXT) | instid1(VALU_DEP_1)
	v_fmac_f64_e32 v[2:3], v[4:5], v[52:53]
	v_add_f64_e32 v[8:9], v[2:3], v[58:59]
	ds_load_b128 v[48:51], v67 offset:112
	ds_load_b128 v[56:59], v68 offset:3584
	s_wait_dscnt 0x0
	v_mul_f64_e32 v[2:3], v[50:51], v[58:59]
	v_mul_f64_e32 v[4:5], v[48:49], v[58:59]
	s_delay_alu instid0(VALU_DEP_2) | instskip(NEXT) | instid1(VALU_DEP_2)
	v_fma_f64 v[2:3], v[48:49], v[56:57], -v[2:3]
	v_fmac_f64_e32 v[4:5], v[50:51], v[56:57]
	s_delay_alu instid0(VALU_DEP_2) | instskip(NEXT) | instid1(VALU_DEP_2)
	v_add_f64_e32 v[52:53], v[60:61], v[2:3]
	v_add_f64_e32 v[54:55], v[4:5], v[62:63]
	ds_load_b128 v[2:5], v68 offset:3840
	s_wait_dscnt 0x0
	v_mul_f64_e32 v[60:61], v[50:51], v[4:5]
	v_mul_f64_e32 v[62:63], v[48:49], v[4:5]
	s_delay_alu instid0(VALU_DEP_2) | instskip(NEXT) | instid1(VALU_DEP_2)
	v_fma_f64 v[60:61], v[48:49], v[2:3], -v[60:61]
	v_fmac_f64_e32 v[62:63], v[50:51], v[2:3]
	s_delay_alu instid0(VALU_DEP_2) | instskip(NEXT) | instid1(VALU_DEP_2)
	v_add_f64_e32 v[48:49], v[64:65], v[60:61]
	v_add_f64_e32 v[50:51], v[62:63], v[76:77]
	ds_load_b128 v[60:63], v67 offset:8304
	s_wait_dscnt 0x0
	v_mul_f64_e32 v[64:65], v[62:63], v[58:59]
	v_mul_f64_e32 v[58:59], v[60:61], v[58:59]
	s_delay_alu instid0(VALU_DEP_2) | instskip(NEXT) | instid1(VALU_DEP_2)
	v_fma_f64 v[64:65], v[60:61], v[56:57], -v[64:65]
	v_fmac_f64_e32 v[58:59], v[62:63], v[56:57]
	v_mul_f64_e32 v[56:57], v[62:63], v[4:5]
	v_mul_f64_e32 v[4:5], v[60:61], v[4:5]
	s_delay_alu instid0(VALU_DEP_4) | instskip(NEXT) | instid1(VALU_DEP_4)
	v_add_f64_e32 v[10:11], v[10:11], v[64:65]
	v_add_f64_e32 v[12:13], v[58:59], v[12:13]
	s_delay_alu instid0(VALU_DEP_4) | instskip(NEXT) | instid1(VALU_DEP_4)
	v_fma_f64 v[56:57], v[60:61], v[2:3], -v[56:57]
	v_fmac_f64_e32 v[4:5], v[62:63], v[2:3]
	s_delay_alu instid0(VALU_DEP_2) | instskip(NEXT) | instid1(VALU_DEP_2)
	v_add_f64_e32 v[56:57], v[6:7], v[56:57]
	v_add_f64_e32 v[58:59], v[4:5], v[8:9]
	ds_load_b128 v[2:5], v67 offset:128
	ds_load_b128 v[6:9], v68 offset:4096
	s_wait_dscnt 0x0
	v_mul_f64_e32 v[60:61], v[4:5], v[8:9]
	v_mul_f64_e32 v[62:63], v[2:3], v[8:9]
	s_delay_alu instid0(VALU_DEP_2) | instskip(NEXT) | instid1(VALU_DEP_2)
	v_fma_f64 v[60:61], v[2:3], v[6:7], -v[60:61]
	v_fmac_f64_e32 v[62:63], v[4:5], v[6:7]
	s_delay_alu instid0(VALU_DEP_2) | instskip(NEXT) | instid1(VALU_DEP_2)
	v_add_f64_e32 v[60:61], v[52:53], v[60:61]
	v_add_f64_e32 v[62:63], v[62:63], v[54:55]
	ds_load_b128 v[52:55], v68 offset:4352
	s_wait_dscnt 0x0
	v_mul_f64_e32 v[64:65], v[4:5], v[54:55]
	s_delay_alu instid0(VALU_DEP_1) | instskip(SKIP_1) | instid1(VALU_DEP_2)
	v_fma_f64 v[64:65], v[2:3], v[52:53], -v[64:65]
	v_mul_f64_e32 v[2:3], v[2:3], v[54:55]
	v_add_f64_e32 v[64:65], v[48:49], v[64:65]
	s_delay_alu instid0(VALU_DEP_2) | instskip(NEXT) | instid1(VALU_DEP_1)
	v_fmac_f64_e32 v[2:3], v[4:5], v[52:53]
	v_add_f64_e32 v[76:77], v[2:3], v[50:51]
	ds_load_b128 v[2:5], v67 offset:8320
	s_wait_dscnt 0x0
	v_mul_f64_e32 v[48:49], v[4:5], v[8:9]
	v_mul_f64_e32 v[8:9], v[2:3], v[8:9]
	s_delay_alu instid0(VALU_DEP_2) | instskip(NEXT) | instid1(VALU_DEP_2)
	v_fma_f64 v[48:49], v[2:3], v[6:7], -v[48:49]
	v_fmac_f64_e32 v[8:9], v[4:5], v[6:7]
	v_mul_f64_e32 v[6:7], v[4:5], v[54:55]
	s_delay_alu instid0(VALU_DEP_3) | instskip(NEXT) | instid1(VALU_DEP_3)
	v_add_f64_e32 v[10:11], v[10:11], v[48:49]
	v_add_f64_e32 v[12:13], v[8:9], v[12:13]
	s_delay_alu instid0(VALU_DEP_3) | instskip(SKIP_1) | instid1(VALU_DEP_2)
	v_fma_f64 v[6:7], v[2:3], v[52:53], -v[6:7]
	v_mul_f64_e32 v[2:3], v[2:3], v[54:55]
	v_add_f64_e32 v[6:7], v[56:57], v[6:7]
	s_delay_alu instid0(VALU_DEP_2) | instskip(NEXT) | instid1(VALU_DEP_1)
	v_fmac_f64_e32 v[2:3], v[4:5], v[52:53]
	v_add_f64_e32 v[8:9], v[2:3], v[58:59]
	ds_load_b128 v[48:51], v67 offset:144
	ds_load_b128 v[56:59], v68 offset:4608
	s_wait_dscnt 0x0
	v_mul_f64_e32 v[2:3], v[50:51], v[58:59]
	v_mul_f64_e32 v[4:5], v[48:49], v[58:59]
	s_delay_alu instid0(VALU_DEP_2) | instskip(NEXT) | instid1(VALU_DEP_2)
	v_fma_f64 v[2:3], v[48:49], v[56:57], -v[2:3]
	v_fmac_f64_e32 v[4:5], v[50:51], v[56:57]
	s_delay_alu instid0(VALU_DEP_2) | instskip(NEXT) | instid1(VALU_DEP_2)
	v_add_f64_e32 v[52:53], v[60:61], v[2:3]
	v_add_f64_e32 v[54:55], v[4:5], v[62:63]
	ds_load_b128 v[2:5], v68 offset:4864
	s_wait_dscnt 0x0
	v_mul_f64_e32 v[60:61], v[50:51], v[4:5]
	v_mul_f64_e32 v[62:63], v[48:49], v[4:5]
	s_delay_alu instid0(VALU_DEP_2) | instskip(NEXT) | instid1(VALU_DEP_2)
	v_fma_f64 v[60:61], v[48:49], v[2:3], -v[60:61]
	v_fmac_f64_e32 v[62:63], v[50:51], v[2:3]
	s_delay_alu instid0(VALU_DEP_2) | instskip(NEXT) | instid1(VALU_DEP_2)
	v_add_f64_e32 v[48:49], v[64:65], v[60:61]
	v_add_f64_e32 v[50:51], v[62:63], v[76:77]
	ds_load_b128 v[60:63], v67 offset:8336
	s_wait_dscnt 0x0
	v_mul_f64_e32 v[64:65], v[62:63], v[58:59]
	v_mul_f64_e32 v[58:59], v[60:61], v[58:59]
	s_delay_alu instid0(VALU_DEP_2) | instskip(NEXT) | instid1(VALU_DEP_2)
	v_fma_f64 v[64:65], v[60:61], v[56:57], -v[64:65]
	v_fmac_f64_e32 v[58:59], v[62:63], v[56:57]
	v_mul_f64_e32 v[56:57], v[62:63], v[4:5]
	v_mul_f64_e32 v[4:5], v[60:61], v[4:5]
	s_delay_alu instid0(VALU_DEP_4) | instskip(NEXT) | instid1(VALU_DEP_4)
	v_add_f64_e32 v[10:11], v[10:11], v[64:65]
	v_add_f64_e32 v[12:13], v[58:59], v[12:13]
	s_delay_alu instid0(VALU_DEP_4) | instskip(NEXT) | instid1(VALU_DEP_4)
	v_fma_f64 v[56:57], v[60:61], v[2:3], -v[56:57]
	v_fmac_f64_e32 v[4:5], v[62:63], v[2:3]
	s_delay_alu instid0(VALU_DEP_2) | instskip(NEXT) | instid1(VALU_DEP_2)
	v_add_f64_e32 v[56:57], v[6:7], v[56:57]
	v_add_f64_e32 v[58:59], v[4:5], v[8:9]
	ds_load_b128 v[2:5], v67 offset:160
	ds_load_b128 v[6:9], v68 offset:5120
	s_wait_dscnt 0x0
	v_mul_f64_e32 v[60:61], v[4:5], v[8:9]
	v_mul_f64_e32 v[62:63], v[2:3], v[8:9]
	s_delay_alu instid0(VALU_DEP_2) | instskip(NEXT) | instid1(VALU_DEP_2)
	v_fma_f64 v[60:61], v[2:3], v[6:7], -v[60:61]
	v_fmac_f64_e32 v[62:63], v[4:5], v[6:7]
	s_delay_alu instid0(VALU_DEP_2) | instskip(NEXT) | instid1(VALU_DEP_2)
	v_add_f64_e32 v[60:61], v[52:53], v[60:61]
	v_add_f64_e32 v[62:63], v[62:63], v[54:55]
	ds_load_b128 v[52:55], v68 offset:5376
	s_wait_dscnt 0x0
	v_mul_f64_e32 v[64:65], v[4:5], v[54:55]
	s_delay_alu instid0(VALU_DEP_1) | instskip(SKIP_1) | instid1(VALU_DEP_2)
	v_fma_f64 v[64:65], v[2:3], v[52:53], -v[64:65]
	v_mul_f64_e32 v[2:3], v[2:3], v[54:55]
	v_add_f64_e32 v[64:65], v[48:49], v[64:65]
	s_delay_alu instid0(VALU_DEP_2) | instskip(NEXT) | instid1(VALU_DEP_1)
	v_fmac_f64_e32 v[2:3], v[4:5], v[52:53]
	v_add_f64_e32 v[76:77], v[2:3], v[50:51]
	ds_load_b128 v[2:5], v67 offset:8352
	s_wait_dscnt 0x0
	v_mul_f64_e32 v[48:49], v[4:5], v[8:9]
	v_mul_f64_e32 v[8:9], v[2:3], v[8:9]
	s_delay_alu instid0(VALU_DEP_2) | instskip(NEXT) | instid1(VALU_DEP_2)
	v_fma_f64 v[48:49], v[2:3], v[6:7], -v[48:49]
	v_fmac_f64_e32 v[8:9], v[4:5], v[6:7]
	v_mul_f64_e32 v[6:7], v[4:5], v[54:55]
	s_delay_alu instid0(VALU_DEP_3) | instskip(NEXT) | instid1(VALU_DEP_3)
	v_add_f64_e32 v[10:11], v[10:11], v[48:49]
	v_add_f64_e32 v[12:13], v[8:9], v[12:13]
	s_delay_alu instid0(VALU_DEP_3) | instskip(SKIP_1) | instid1(VALU_DEP_2)
	v_fma_f64 v[6:7], v[2:3], v[52:53], -v[6:7]
	v_mul_f64_e32 v[2:3], v[2:3], v[54:55]
	v_add_f64_e32 v[6:7], v[56:57], v[6:7]
	s_delay_alu instid0(VALU_DEP_2) | instskip(NEXT) | instid1(VALU_DEP_1)
	v_fmac_f64_e32 v[2:3], v[4:5], v[52:53]
	v_add_f64_e32 v[8:9], v[2:3], v[58:59]
	ds_load_b128 v[48:51], v67 offset:176
	ds_load_b128 v[56:59], v68 offset:5632
	s_wait_dscnt 0x0
	v_mul_f64_e32 v[2:3], v[50:51], v[58:59]
	v_mul_f64_e32 v[4:5], v[48:49], v[58:59]
	s_delay_alu instid0(VALU_DEP_2) | instskip(NEXT) | instid1(VALU_DEP_2)
	v_fma_f64 v[2:3], v[48:49], v[56:57], -v[2:3]
	v_fmac_f64_e32 v[4:5], v[50:51], v[56:57]
	s_delay_alu instid0(VALU_DEP_2) | instskip(NEXT) | instid1(VALU_DEP_2)
	v_add_f64_e32 v[52:53], v[60:61], v[2:3]
	v_add_f64_e32 v[54:55], v[4:5], v[62:63]
	ds_load_b128 v[2:5], v68 offset:5888
	s_wait_dscnt 0x0
	v_mul_f64_e32 v[60:61], v[50:51], v[4:5]
	v_mul_f64_e32 v[62:63], v[48:49], v[4:5]
	s_delay_alu instid0(VALU_DEP_2) | instskip(NEXT) | instid1(VALU_DEP_2)
	v_fma_f64 v[60:61], v[48:49], v[2:3], -v[60:61]
	v_fmac_f64_e32 v[62:63], v[50:51], v[2:3]
	s_delay_alu instid0(VALU_DEP_2) | instskip(NEXT) | instid1(VALU_DEP_2)
	v_add_f64_e32 v[48:49], v[64:65], v[60:61]
	v_add_f64_e32 v[50:51], v[62:63], v[76:77]
	ds_load_b128 v[60:63], v67 offset:8368
	s_wait_dscnt 0x0
	v_mul_f64_e32 v[64:65], v[62:63], v[58:59]
	v_mul_f64_e32 v[58:59], v[60:61], v[58:59]
	s_delay_alu instid0(VALU_DEP_2) | instskip(NEXT) | instid1(VALU_DEP_2)
	v_fma_f64 v[64:65], v[60:61], v[56:57], -v[64:65]
	v_fmac_f64_e32 v[58:59], v[62:63], v[56:57]
	v_mul_f64_e32 v[56:57], v[62:63], v[4:5]
	v_mul_f64_e32 v[4:5], v[60:61], v[4:5]
	s_delay_alu instid0(VALU_DEP_4) | instskip(NEXT) | instid1(VALU_DEP_4)
	v_add_f64_e32 v[10:11], v[10:11], v[64:65]
	v_add_f64_e32 v[12:13], v[58:59], v[12:13]
	s_delay_alu instid0(VALU_DEP_4) | instskip(NEXT) | instid1(VALU_DEP_4)
	v_fma_f64 v[56:57], v[60:61], v[2:3], -v[56:57]
	v_fmac_f64_e32 v[4:5], v[62:63], v[2:3]
	s_delay_alu instid0(VALU_DEP_2) | instskip(NEXT) | instid1(VALU_DEP_2)
	v_add_f64_e32 v[56:57], v[6:7], v[56:57]
	v_add_f64_e32 v[58:59], v[4:5], v[8:9]
	ds_load_b128 v[2:5], v67 offset:192
	ds_load_b128 v[6:9], v68 offset:6144
	s_wait_dscnt 0x0
	v_mul_f64_e32 v[60:61], v[4:5], v[8:9]
	v_mul_f64_e32 v[62:63], v[2:3], v[8:9]
	s_delay_alu instid0(VALU_DEP_2) | instskip(NEXT) | instid1(VALU_DEP_2)
	v_fma_f64 v[60:61], v[2:3], v[6:7], -v[60:61]
	v_fmac_f64_e32 v[62:63], v[4:5], v[6:7]
	s_delay_alu instid0(VALU_DEP_2) | instskip(NEXT) | instid1(VALU_DEP_2)
	v_add_f64_e32 v[60:61], v[52:53], v[60:61]
	v_add_f64_e32 v[62:63], v[62:63], v[54:55]
	ds_load_b128 v[52:55], v68 offset:6400
	s_wait_dscnt 0x0
	v_mul_f64_e32 v[64:65], v[4:5], v[54:55]
	s_delay_alu instid0(VALU_DEP_1) | instskip(SKIP_1) | instid1(VALU_DEP_2)
	v_fma_f64 v[64:65], v[2:3], v[52:53], -v[64:65]
	v_mul_f64_e32 v[2:3], v[2:3], v[54:55]
	v_add_f64_e32 v[64:65], v[48:49], v[64:65]
	s_delay_alu instid0(VALU_DEP_2) | instskip(NEXT) | instid1(VALU_DEP_1)
	v_fmac_f64_e32 v[2:3], v[4:5], v[52:53]
	v_add_f64_e32 v[76:77], v[2:3], v[50:51]
	ds_load_b128 v[2:5], v67 offset:8384
	s_wait_dscnt 0x0
	v_mul_f64_e32 v[48:49], v[4:5], v[8:9]
	v_mul_f64_e32 v[8:9], v[2:3], v[8:9]
	s_delay_alu instid0(VALU_DEP_2) | instskip(NEXT) | instid1(VALU_DEP_2)
	v_fma_f64 v[48:49], v[2:3], v[6:7], -v[48:49]
	v_fmac_f64_e32 v[8:9], v[4:5], v[6:7]
	v_mul_f64_e32 v[6:7], v[4:5], v[54:55]
	s_delay_alu instid0(VALU_DEP_3) | instskip(NEXT) | instid1(VALU_DEP_3)
	v_add_f64_e32 v[10:11], v[10:11], v[48:49]
	v_add_f64_e32 v[12:13], v[8:9], v[12:13]
	s_delay_alu instid0(VALU_DEP_3) | instskip(SKIP_1) | instid1(VALU_DEP_2)
	v_fma_f64 v[6:7], v[2:3], v[52:53], -v[6:7]
	v_mul_f64_e32 v[2:3], v[2:3], v[54:55]
	v_add_f64_e32 v[6:7], v[56:57], v[6:7]
	s_delay_alu instid0(VALU_DEP_2) | instskip(NEXT) | instid1(VALU_DEP_1)
	v_fmac_f64_e32 v[2:3], v[4:5], v[52:53]
	v_add_f64_e32 v[8:9], v[2:3], v[58:59]
	ds_load_b128 v[48:51], v67 offset:208
	ds_load_b128 v[56:59], v68 offset:6656
	s_wait_dscnt 0x0
	v_mul_f64_e32 v[2:3], v[50:51], v[58:59]
	v_mul_f64_e32 v[4:5], v[48:49], v[58:59]
	s_delay_alu instid0(VALU_DEP_2) | instskip(NEXT) | instid1(VALU_DEP_2)
	v_fma_f64 v[2:3], v[48:49], v[56:57], -v[2:3]
	v_fmac_f64_e32 v[4:5], v[50:51], v[56:57]
	s_delay_alu instid0(VALU_DEP_2) | instskip(NEXT) | instid1(VALU_DEP_2)
	v_add_f64_e32 v[52:53], v[60:61], v[2:3]
	v_add_f64_e32 v[54:55], v[4:5], v[62:63]
	ds_load_b128 v[2:5], v68 offset:6912
	s_wait_dscnt 0x0
	v_mul_f64_e32 v[60:61], v[50:51], v[4:5]
	v_mul_f64_e32 v[62:63], v[48:49], v[4:5]
	s_delay_alu instid0(VALU_DEP_2) | instskip(NEXT) | instid1(VALU_DEP_2)
	v_fma_f64 v[60:61], v[48:49], v[2:3], -v[60:61]
	v_fmac_f64_e32 v[62:63], v[50:51], v[2:3]
	s_delay_alu instid0(VALU_DEP_2) | instskip(NEXT) | instid1(VALU_DEP_2)
	v_add_f64_e32 v[48:49], v[64:65], v[60:61]
	v_add_f64_e32 v[50:51], v[62:63], v[76:77]
	ds_load_b128 v[60:63], v67 offset:8400
	s_wait_dscnt 0x0
	v_mul_f64_e32 v[64:65], v[62:63], v[58:59]
	v_mul_f64_e32 v[58:59], v[60:61], v[58:59]
	s_delay_alu instid0(VALU_DEP_2) | instskip(NEXT) | instid1(VALU_DEP_2)
	v_fma_f64 v[64:65], v[60:61], v[56:57], -v[64:65]
	v_fmac_f64_e32 v[58:59], v[62:63], v[56:57]
	v_mul_f64_e32 v[56:57], v[62:63], v[4:5]
	v_mul_f64_e32 v[4:5], v[60:61], v[4:5]
	s_delay_alu instid0(VALU_DEP_4) | instskip(NEXT) | instid1(VALU_DEP_4)
	v_add_f64_e32 v[10:11], v[10:11], v[64:65]
	v_add_f64_e32 v[12:13], v[58:59], v[12:13]
	s_delay_alu instid0(VALU_DEP_4) | instskip(NEXT) | instid1(VALU_DEP_4)
	v_fma_f64 v[56:57], v[60:61], v[2:3], -v[56:57]
	v_fmac_f64_e32 v[4:5], v[62:63], v[2:3]
	s_delay_alu instid0(VALU_DEP_2) | instskip(NEXT) | instid1(VALU_DEP_2)
	v_add_f64_e32 v[56:57], v[6:7], v[56:57]
	v_add_f64_e32 v[58:59], v[4:5], v[8:9]
	ds_load_b128 v[2:5], v67 offset:224
	ds_load_b128 v[6:9], v68 offset:7168
	s_wait_dscnt 0x0
	v_mul_f64_e32 v[60:61], v[4:5], v[8:9]
	v_mul_f64_e32 v[62:63], v[2:3], v[8:9]
	s_delay_alu instid0(VALU_DEP_2) | instskip(NEXT) | instid1(VALU_DEP_2)
	v_fma_f64 v[60:61], v[2:3], v[6:7], -v[60:61]
	v_fmac_f64_e32 v[62:63], v[4:5], v[6:7]
	s_delay_alu instid0(VALU_DEP_2) | instskip(NEXT) | instid1(VALU_DEP_2)
	v_add_f64_e32 v[60:61], v[52:53], v[60:61]
	v_add_f64_e32 v[62:63], v[62:63], v[54:55]
	ds_load_b128 v[52:55], v68 offset:7424
	s_wait_dscnt 0x0
	v_mul_f64_e32 v[64:65], v[4:5], v[54:55]
	s_delay_alu instid0(VALU_DEP_1) | instskip(SKIP_1) | instid1(VALU_DEP_2)
	v_fma_f64 v[64:65], v[2:3], v[52:53], -v[64:65]
	v_mul_f64_e32 v[2:3], v[2:3], v[54:55]
	v_add_f64_e32 v[64:65], v[48:49], v[64:65]
	s_delay_alu instid0(VALU_DEP_2) | instskip(NEXT) | instid1(VALU_DEP_1)
	v_fmac_f64_e32 v[2:3], v[4:5], v[52:53]
	v_add_f64_e32 v[76:77], v[2:3], v[50:51]
	ds_load_b128 v[2:5], v67 offset:8416
	s_wait_dscnt 0x0
	v_mul_f64_e32 v[48:49], v[4:5], v[8:9]
	v_mul_f64_e32 v[8:9], v[2:3], v[8:9]
	s_delay_alu instid0(VALU_DEP_2) | instskip(NEXT) | instid1(VALU_DEP_2)
	v_fma_f64 v[48:49], v[2:3], v[6:7], -v[48:49]
	v_fmac_f64_e32 v[8:9], v[4:5], v[6:7]
	v_mul_f64_e32 v[6:7], v[4:5], v[54:55]
	s_delay_alu instid0(VALU_DEP_3) | instskip(NEXT) | instid1(VALU_DEP_3)
	v_add_f64_e32 v[10:11], v[10:11], v[48:49]
	v_add_f64_e32 v[12:13], v[8:9], v[12:13]
	s_delay_alu instid0(VALU_DEP_3) | instskip(SKIP_1) | instid1(VALU_DEP_2)
	v_fma_f64 v[6:7], v[2:3], v[52:53], -v[6:7]
	v_mul_f64_e32 v[2:3], v[2:3], v[54:55]
	v_add_f64_e32 v[6:7], v[56:57], v[6:7]
	s_delay_alu instid0(VALU_DEP_2) | instskip(NEXT) | instid1(VALU_DEP_1)
	v_fmac_f64_e32 v[2:3], v[4:5], v[52:53]
	v_add_f64_e32 v[8:9], v[2:3], v[58:59]
	ds_load_b128 v[48:51], v67 offset:240
	ds_load_b128 v[56:59], v68 offset:7680
	s_wait_dscnt 0x0
	v_mul_f64_e32 v[2:3], v[50:51], v[58:59]
	v_mul_f64_e32 v[4:5], v[48:49], v[58:59]
	s_delay_alu instid0(VALU_DEP_2) | instskip(NEXT) | instid1(VALU_DEP_2)
	v_fma_f64 v[2:3], v[48:49], v[56:57], -v[2:3]
	v_fmac_f64_e32 v[4:5], v[50:51], v[56:57]
	s_delay_alu instid0(VALU_DEP_2) | instskip(NEXT) | instid1(VALU_DEP_2)
	v_add_f64_e32 v[52:53], v[60:61], v[2:3]
	v_add_f64_e32 v[54:55], v[4:5], v[62:63]
	ds_load_b128 v[2:5], v68 offset:7936
	s_wait_dscnt 0x0
	v_mul_f64_e32 v[60:61], v[50:51], v[4:5]
	v_mul_f64_e32 v[62:63], v[48:49], v[4:5]
	s_delay_alu instid0(VALU_DEP_2) | instskip(NEXT) | instid1(VALU_DEP_2)
	v_fma_f64 v[60:61], v[48:49], v[2:3], -v[60:61]
	v_fmac_f64_e32 v[62:63], v[50:51], v[2:3]
	s_delay_alu instid0(VALU_DEP_2) | instskip(NEXT) | instid1(VALU_DEP_2)
	v_add_f64_e32 v[48:49], v[64:65], v[60:61]
	v_add_f64_e32 v[50:51], v[62:63], v[76:77]
	ds_load_b128 v[60:63], v67 offset:8432
	s_wait_dscnt 0x0
	v_mul_f64_e32 v[64:65], v[62:63], v[58:59]
	v_mul_f64_e32 v[58:59], v[60:61], v[58:59]
	s_delay_alu instid0(VALU_DEP_2) | instskip(NEXT) | instid1(VALU_DEP_2)
	v_fma_f64 v[64:65], v[60:61], v[56:57], -v[64:65]
	v_fmac_f64_e32 v[58:59], v[62:63], v[56:57]
	v_mul_f64_e32 v[56:57], v[62:63], v[4:5]
	v_mul_f64_e32 v[4:5], v[60:61], v[4:5]
	s_delay_alu instid0(VALU_DEP_4) | instskip(NEXT) | instid1(VALU_DEP_4)
	v_add_f64_e32 v[10:11], v[10:11], v[64:65]
	v_add_f64_e32 v[12:13], v[58:59], v[12:13]
	s_delay_alu instid0(VALU_DEP_4) | instskip(NEXT) | instid1(VALU_DEP_4)
	v_fma_f64 v[56:57], v[60:61], v[2:3], -v[56:57]
	v_fmac_f64_e32 v[4:5], v[62:63], v[2:3]
	s_delay_alu instid0(VALU_DEP_2) | instskip(NEXT) | instid1(VALU_DEP_2)
	v_add_f64_e32 v[56:57], v[6:7], v[56:57]
	v_add_f64_e32 v[58:59], v[4:5], v[8:9]
	ds_load_b128 v[2:5], v67 offset:256
	ds_load_b128 v[6:9], v68 offset:8192
	s_wait_dscnt 0x0
	v_mul_f64_e32 v[60:61], v[4:5], v[8:9]
	v_mul_f64_e32 v[62:63], v[2:3], v[8:9]
	s_delay_alu instid0(VALU_DEP_2) | instskip(NEXT) | instid1(VALU_DEP_2)
	v_fma_f64 v[60:61], v[2:3], v[6:7], -v[60:61]
	v_fmac_f64_e32 v[62:63], v[4:5], v[6:7]
	s_delay_alu instid0(VALU_DEP_2) | instskip(NEXT) | instid1(VALU_DEP_2)
	v_add_f64_e32 v[60:61], v[52:53], v[60:61]
	v_add_f64_e32 v[62:63], v[62:63], v[54:55]
	ds_load_b128 v[52:55], v68 offset:8448
	s_wait_dscnt 0x0
	v_mul_f64_e32 v[64:65], v[4:5], v[54:55]
	s_delay_alu instid0(VALU_DEP_1) | instskip(SKIP_1) | instid1(VALU_DEP_2)
	v_fma_f64 v[64:65], v[2:3], v[52:53], -v[64:65]
	v_mul_f64_e32 v[2:3], v[2:3], v[54:55]
	v_add_f64_e32 v[64:65], v[48:49], v[64:65]
	s_delay_alu instid0(VALU_DEP_2) | instskip(NEXT) | instid1(VALU_DEP_1)
	v_fmac_f64_e32 v[2:3], v[4:5], v[52:53]
	v_add_f64_e32 v[76:77], v[2:3], v[50:51]
	ds_load_b128 v[2:5], v67 offset:8448
	s_wait_dscnt 0x0
	v_mul_f64_e32 v[48:49], v[4:5], v[8:9]
	v_mul_f64_e32 v[8:9], v[2:3], v[8:9]
	s_delay_alu instid0(VALU_DEP_2) | instskip(NEXT) | instid1(VALU_DEP_2)
	v_fma_f64 v[48:49], v[2:3], v[6:7], -v[48:49]
	v_fmac_f64_e32 v[8:9], v[4:5], v[6:7]
	v_mul_f64_e32 v[6:7], v[4:5], v[54:55]
	s_delay_alu instid0(VALU_DEP_3) | instskip(NEXT) | instid1(VALU_DEP_3)
	v_add_f64_e32 v[10:11], v[10:11], v[48:49]
	v_add_f64_e32 v[12:13], v[8:9], v[12:13]
	s_delay_alu instid0(VALU_DEP_3) | instskip(SKIP_1) | instid1(VALU_DEP_2)
	v_fma_f64 v[6:7], v[2:3], v[52:53], -v[6:7]
	v_mul_f64_e32 v[2:3], v[2:3], v[54:55]
	v_add_f64_e32 v[6:7], v[56:57], v[6:7]
	s_delay_alu instid0(VALU_DEP_2) | instskip(NEXT) | instid1(VALU_DEP_1)
	v_fmac_f64_e32 v[2:3], v[4:5], v[52:53]
	v_add_f64_e32 v[8:9], v[2:3], v[58:59]
	ds_load_b128 v[48:51], v67 offset:272
	ds_load_b128 v[56:59], v68 offset:8704
	s_wait_dscnt 0x0
	v_mul_f64_e32 v[2:3], v[50:51], v[58:59]
	v_mul_f64_e32 v[4:5], v[48:49], v[58:59]
	s_delay_alu instid0(VALU_DEP_2) | instskip(NEXT) | instid1(VALU_DEP_2)
	v_fma_f64 v[2:3], v[48:49], v[56:57], -v[2:3]
	v_fmac_f64_e32 v[4:5], v[50:51], v[56:57]
	s_delay_alu instid0(VALU_DEP_2) | instskip(NEXT) | instid1(VALU_DEP_2)
	v_add_f64_e32 v[52:53], v[60:61], v[2:3]
	v_add_f64_e32 v[54:55], v[4:5], v[62:63]
	ds_load_b128 v[2:5], v68 offset:8960
	s_wait_dscnt 0x0
	v_mul_f64_e32 v[60:61], v[50:51], v[4:5]
	v_mul_f64_e32 v[62:63], v[48:49], v[4:5]
	s_delay_alu instid0(VALU_DEP_2) | instskip(NEXT) | instid1(VALU_DEP_2)
	v_fma_f64 v[60:61], v[48:49], v[2:3], -v[60:61]
	v_fmac_f64_e32 v[62:63], v[50:51], v[2:3]
	s_delay_alu instid0(VALU_DEP_2) | instskip(NEXT) | instid1(VALU_DEP_2)
	v_add_f64_e32 v[48:49], v[64:65], v[60:61]
	v_add_f64_e32 v[50:51], v[62:63], v[76:77]
	ds_load_b128 v[60:63], v67 offset:8464
	s_wait_dscnt 0x0
	v_mul_f64_e32 v[64:65], v[62:63], v[58:59]
	v_mul_f64_e32 v[58:59], v[60:61], v[58:59]
	s_delay_alu instid0(VALU_DEP_2) | instskip(NEXT) | instid1(VALU_DEP_2)
	v_fma_f64 v[64:65], v[60:61], v[56:57], -v[64:65]
	v_fmac_f64_e32 v[58:59], v[62:63], v[56:57]
	v_mul_f64_e32 v[56:57], v[62:63], v[4:5]
	v_mul_f64_e32 v[4:5], v[60:61], v[4:5]
	s_delay_alu instid0(VALU_DEP_4) | instskip(NEXT) | instid1(VALU_DEP_4)
	v_add_f64_e32 v[10:11], v[10:11], v[64:65]
	v_add_f64_e32 v[12:13], v[58:59], v[12:13]
	s_delay_alu instid0(VALU_DEP_4) | instskip(NEXT) | instid1(VALU_DEP_4)
	v_fma_f64 v[56:57], v[60:61], v[2:3], -v[56:57]
	v_fmac_f64_e32 v[4:5], v[62:63], v[2:3]
	s_delay_alu instid0(VALU_DEP_2) | instskip(NEXT) | instid1(VALU_DEP_2)
	v_add_f64_e32 v[56:57], v[6:7], v[56:57]
	v_add_f64_e32 v[58:59], v[4:5], v[8:9]
	ds_load_b128 v[2:5], v67 offset:288
	ds_load_b128 v[6:9], v68 offset:9216
	s_wait_dscnt 0x0
	v_mul_f64_e32 v[60:61], v[4:5], v[8:9]
	v_mul_f64_e32 v[62:63], v[2:3], v[8:9]
	s_delay_alu instid0(VALU_DEP_2) | instskip(NEXT) | instid1(VALU_DEP_2)
	v_fma_f64 v[60:61], v[2:3], v[6:7], -v[60:61]
	v_fmac_f64_e32 v[62:63], v[4:5], v[6:7]
	s_delay_alu instid0(VALU_DEP_2) | instskip(NEXT) | instid1(VALU_DEP_2)
	v_add_f64_e32 v[60:61], v[52:53], v[60:61]
	v_add_f64_e32 v[62:63], v[62:63], v[54:55]
	ds_load_b128 v[52:55], v68 offset:9472
	s_wait_dscnt 0x0
	v_mul_f64_e32 v[64:65], v[4:5], v[54:55]
	s_delay_alu instid0(VALU_DEP_1) | instskip(SKIP_1) | instid1(VALU_DEP_2)
	v_fma_f64 v[64:65], v[2:3], v[52:53], -v[64:65]
	v_mul_f64_e32 v[2:3], v[2:3], v[54:55]
	v_add_f64_e32 v[64:65], v[48:49], v[64:65]
	s_delay_alu instid0(VALU_DEP_2) | instskip(NEXT) | instid1(VALU_DEP_1)
	v_fmac_f64_e32 v[2:3], v[4:5], v[52:53]
	v_add_f64_e32 v[76:77], v[2:3], v[50:51]
	ds_load_b128 v[2:5], v67 offset:8480
	s_wait_dscnt 0x0
	v_mul_f64_e32 v[48:49], v[4:5], v[8:9]
	v_mul_f64_e32 v[8:9], v[2:3], v[8:9]
	s_delay_alu instid0(VALU_DEP_2) | instskip(NEXT) | instid1(VALU_DEP_2)
	v_fma_f64 v[48:49], v[2:3], v[6:7], -v[48:49]
	v_fmac_f64_e32 v[8:9], v[4:5], v[6:7]
	v_mul_f64_e32 v[6:7], v[4:5], v[54:55]
	s_delay_alu instid0(VALU_DEP_3) | instskip(NEXT) | instid1(VALU_DEP_3)
	v_add_f64_e32 v[10:11], v[10:11], v[48:49]
	v_add_f64_e32 v[12:13], v[8:9], v[12:13]
	s_delay_alu instid0(VALU_DEP_3) | instskip(SKIP_1) | instid1(VALU_DEP_2)
	v_fma_f64 v[6:7], v[2:3], v[52:53], -v[6:7]
	v_mul_f64_e32 v[2:3], v[2:3], v[54:55]
	v_add_f64_e32 v[6:7], v[56:57], v[6:7]
	s_delay_alu instid0(VALU_DEP_2) | instskip(NEXT) | instid1(VALU_DEP_1)
	v_fmac_f64_e32 v[2:3], v[4:5], v[52:53]
	v_add_f64_e32 v[8:9], v[2:3], v[58:59]
	ds_load_b128 v[48:51], v67 offset:304
	ds_load_b128 v[56:59], v68 offset:9728
	s_wait_dscnt 0x0
	v_mul_f64_e32 v[2:3], v[50:51], v[58:59]
	v_mul_f64_e32 v[4:5], v[48:49], v[58:59]
	s_delay_alu instid0(VALU_DEP_2) | instskip(NEXT) | instid1(VALU_DEP_2)
	v_fma_f64 v[2:3], v[48:49], v[56:57], -v[2:3]
	v_fmac_f64_e32 v[4:5], v[50:51], v[56:57]
	s_delay_alu instid0(VALU_DEP_2) | instskip(NEXT) | instid1(VALU_DEP_2)
	v_add_f64_e32 v[52:53], v[60:61], v[2:3]
	v_add_f64_e32 v[54:55], v[4:5], v[62:63]
	ds_load_b128 v[2:5], v68 offset:9984
	s_wait_dscnt 0x0
	v_mul_f64_e32 v[60:61], v[50:51], v[4:5]
	v_mul_f64_e32 v[62:63], v[48:49], v[4:5]
	s_delay_alu instid0(VALU_DEP_2) | instskip(NEXT) | instid1(VALU_DEP_2)
	v_fma_f64 v[60:61], v[48:49], v[2:3], -v[60:61]
	v_fmac_f64_e32 v[62:63], v[50:51], v[2:3]
	s_delay_alu instid0(VALU_DEP_2) | instskip(NEXT) | instid1(VALU_DEP_2)
	v_add_f64_e32 v[48:49], v[64:65], v[60:61]
	v_add_f64_e32 v[50:51], v[62:63], v[76:77]
	ds_load_b128 v[60:63], v67 offset:8496
	s_wait_dscnt 0x0
	v_mul_f64_e32 v[64:65], v[62:63], v[58:59]
	v_mul_f64_e32 v[58:59], v[60:61], v[58:59]
	s_delay_alu instid0(VALU_DEP_2) | instskip(NEXT) | instid1(VALU_DEP_2)
	v_fma_f64 v[64:65], v[60:61], v[56:57], -v[64:65]
	v_fmac_f64_e32 v[58:59], v[62:63], v[56:57]
	v_mul_f64_e32 v[56:57], v[62:63], v[4:5]
	v_mul_f64_e32 v[4:5], v[60:61], v[4:5]
	s_delay_alu instid0(VALU_DEP_4) | instskip(NEXT) | instid1(VALU_DEP_4)
	v_add_f64_e32 v[10:11], v[10:11], v[64:65]
	v_add_f64_e32 v[12:13], v[58:59], v[12:13]
	s_delay_alu instid0(VALU_DEP_4) | instskip(NEXT) | instid1(VALU_DEP_4)
	v_fma_f64 v[56:57], v[60:61], v[2:3], -v[56:57]
	v_fmac_f64_e32 v[4:5], v[62:63], v[2:3]
	s_delay_alu instid0(VALU_DEP_2) | instskip(NEXT) | instid1(VALU_DEP_2)
	v_add_f64_e32 v[56:57], v[6:7], v[56:57]
	v_add_f64_e32 v[58:59], v[4:5], v[8:9]
	ds_load_b128 v[2:5], v67 offset:320
	ds_load_b128 v[6:9], v68 offset:10240
	s_wait_dscnt 0x0
	v_mul_f64_e32 v[60:61], v[4:5], v[8:9]
	v_mul_f64_e32 v[62:63], v[2:3], v[8:9]
	s_delay_alu instid0(VALU_DEP_2) | instskip(NEXT) | instid1(VALU_DEP_2)
	v_fma_f64 v[60:61], v[2:3], v[6:7], -v[60:61]
	v_fmac_f64_e32 v[62:63], v[4:5], v[6:7]
	s_delay_alu instid0(VALU_DEP_2) | instskip(NEXT) | instid1(VALU_DEP_2)
	v_add_f64_e32 v[60:61], v[52:53], v[60:61]
	v_add_f64_e32 v[62:63], v[62:63], v[54:55]
	ds_load_b128 v[52:55], v68 offset:10496
	s_wait_dscnt 0x0
	v_mul_f64_e32 v[64:65], v[4:5], v[54:55]
	s_delay_alu instid0(VALU_DEP_1) | instskip(SKIP_1) | instid1(VALU_DEP_2)
	v_fma_f64 v[64:65], v[2:3], v[52:53], -v[64:65]
	v_mul_f64_e32 v[2:3], v[2:3], v[54:55]
	v_add_f64_e32 v[64:65], v[48:49], v[64:65]
	s_delay_alu instid0(VALU_DEP_2) | instskip(NEXT) | instid1(VALU_DEP_1)
	v_fmac_f64_e32 v[2:3], v[4:5], v[52:53]
	v_add_f64_e32 v[76:77], v[2:3], v[50:51]
	ds_load_b128 v[2:5], v67 offset:8512
	s_wait_dscnt 0x0
	v_mul_f64_e32 v[48:49], v[4:5], v[8:9]
	v_mul_f64_e32 v[8:9], v[2:3], v[8:9]
	s_delay_alu instid0(VALU_DEP_2) | instskip(NEXT) | instid1(VALU_DEP_2)
	v_fma_f64 v[48:49], v[2:3], v[6:7], -v[48:49]
	v_fmac_f64_e32 v[8:9], v[4:5], v[6:7]
	v_mul_f64_e32 v[6:7], v[4:5], v[54:55]
	s_delay_alu instid0(VALU_DEP_3) | instskip(NEXT) | instid1(VALU_DEP_3)
	v_add_f64_e32 v[10:11], v[10:11], v[48:49]
	v_add_f64_e32 v[12:13], v[8:9], v[12:13]
	s_delay_alu instid0(VALU_DEP_3) | instskip(SKIP_1) | instid1(VALU_DEP_2)
	v_fma_f64 v[6:7], v[2:3], v[52:53], -v[6:7]
	v_mul_f64_e32 v[2:3], v[2:3], v[54:55]
	v_add_f64_e32 v[6:7], v[56:57], v[6:7]
	s_delay_alu instid0(VALU_DEP_2) | instskip(NEXT) | instid1(VALU_DEP_1)
	v_fmac_f64_e32 v[2:3], v[4:5], v[52:53]
	v_add_f64_e32 v[8:9], v[2:3], v[58:59]
	ds_load_b128 v[48:51], v67 offset:336
	ds_load_b128 v[56:59], v68 offset:10752
	s_wait_dscnt 0x0
	v_mul_f64_e32 v[2:3], v[50:51], v[58:59]
	v_mul_f64_e32 v[4:5], v[48:49], v[58:59]
	s_delay_alu instid0(VALU_DEP_2) | instskip(NEXT) | instid1(VALU_DEP_2)
	v_fma_f64 v[2:3], v[48:49], v[56:57], -v[2:3]
	v_fmac_f64_e32 v[4:5], v[50:51], v[56:57]
	s_delay_alu instid0(VALU_DEP_2) | instskip(NEXT) | instid1(VALU_DEP_2)
	v_add_f64_e32 v[52:53], v[60:61], v[2:3]
	v_add_f64_e32 v[54:55], v[4:5], v[62:63]
	ds_load_b128 v[2:5], v68 offset:11008
	s_wait_dscnt 0x0
	v_mul_f64_e32 v[60:61], v[50:51], v[4:5]
	v_mul_f64_e32 v[62:63], v[48:49], v[4:5]
	s_delay_alu instid0(VALU_DEP_2) | instskip(NEXT) | instid1(VALU_DEP_2)
	v_fma_f64 v[60:61], v[48:49], v[2:3], -v[60:61]
	v_fmac_f64_e32 v[62:63], v[50:51], v[2:3]
	s_delay_alu instid0(VALU_DEP_2) | instskip(NEXT) | instid1(VALU_DEP_2)
	v_add_f64_e32 v[48:49], v[64:65], v[60:61]
	v_add_f64_e32 v[50:51], v[62:63], v[76:77]
	ds_load_b128 v[60:63], v67 offset:8528
	s_wait_dscnt 0x0
	v_mul_f64_e32 v[64:65], v[62:63], v[58:59]
	v_mul_f64_e32 v[58:59], v[60:61], v[58:59]
	s_delay_alu instid0(VALU_DEP_2) | instskip(NEXT) | instid1(VALU_DEP_2)
	v_fma_f64 v[64:65], v[60:61], v[56:57], -v[64:65]
	v_fmac_f64_e32 v[58:59], v[62:63], v[56:57]
	v_mul_f64_e32 v[56:57], v[62:63], v[4:5]
	v_mul_f64_e32 v[4:5], v[60:61], v[4:5]
	s_delay_alu instid0(VALU_DEP_4) | instskip(NEXT) | instid1(VALU_DEP_4)
	v_add_f64_e32 v[10:11], v[10:11], v[64:65]
	v_add_f64_e32 v[12:13], v[58:59], v[12:13]
	s_delay_alu instid0(VALU_DEP_4) | instskip(NEXT) | instid1(VALU_DEP_4)
	v_fma_f64 v[56:57], v[60:61], v[2:3], -v[56:57]
	v_fmac_f64_e32 v[4:5], v[62:63], v[2:3]
	s_delay_alu instid0(VALU_DEP_2) | instskip(NEXT) | instid1(VALU_DEP_2)
	v_add_f64_e32 v[56:57], v[6:7], v[56:57]
	v_add_f64_e32 v[58:59], v[4:5], v[8:9]
	ds_load_b128 v[2:5], v67 offset:352
	ds_load_b128 v[6:9], v68 offset:11264
	s_wait_dscnt 0x0
	v_mul_f64_e32 v[60:61], v[4:5], v[8:9]
	v_mul_f64_e32 v[62:63], v[2:3], v[8:9]
	s_delay_alu instid0(VALU_DEP_2) | instskip(NEXT) | instid1(VALU_DEP_2)
	v_fma_f64 v[60:61], v[2:3], v[6:7], -v[60:61]
	v_fmac_f64_e32 v[62:63], v[4:5], v[6:7]
	s_delay_alu instid0(VALU_DEP_2) | instskip(NEXT) | instid1(VALU_DEP_2)
	v_add_f64_e32 v[60:61], v[52:53], v[60:61]
	v_add_f64_e32 v[62:63], v[62:63], v[54:55]
	ds_load_b128 v[52:55], v68 offset:11520
	s_wait_dscnt 0x0
	v_mul_f64_e32 v[64:65], v[4:5], v[54:55]
	s_delay_alu instid0(VALU_DEP_1) | instskip(SKIP_1) | instid1(VALU_DEP_2)
	v_fma_f64 v[64:65], v[2:3], v[52:53], -v[64:65]
	v_mul_f64_e32 v[2:3], v[2:3], v[54:55]
	v_add_f64_e32 v[64:65], v[48:49], v[64:65]
	s_delay_alu instid0(VALU_DEP_2) | instskip(NEXT) | instid1(VALU_DEP_1)
	v_fmac_f64_e32 v[2:3], v[4:5], v[52:53]
	v_add_f64_e32 v[76:77], v[2:3], v[50:51]
	ds_load_b128 v[2:5], v67 offset:8544
	s_wait_dscnt 0x0
	v_mul_f64_e32 v[48:49], v[4:5], v[8:9]
	v_mul_f64_e32 v[8:9], v[2:3], v[8:9]
	s_delay_alu instid0(VALU_DEP_2) | instskip(NEXT) | instid1(VALU_DEP_2)
	v_fma_f64 v[48:49], v[2:3], v[6:7], -v[48:49]
	v_fmac_f64_e32 v[8:9], v[4:5], v[6:7]
	v_mul_f64_e32 v[6:7], v[4:5], v[54:55]
	s_delay_alu instid0(VALU_DEP_3) | instskip(NEXT) | instid1(VALU_DEP_3)
	v_add_f64_e32 v[10:11], v[10:11], v[48:49]
	v_add_f64_e32 v[12:13], v[8:9], v[12:13]
	s_delay_alu instid0(VALU_DEP_3) | instskip(SKIP_1) | instid1(VALU_DEP_2)
	v_fma_f64 v[6:7], v[2:3], v[52:53], -v[6:7]
	v_mul_f64_e32 v[2:3], v[2:3], v[54:55]
	v_add_f64_e32 v[6:7], v[56:57], v[6:7]
	s_delay_alu instid0(VALU_DEP_2) | instskip(NEXT) | instid1(VALU_DEP_1)
	v_fmac_f64_e32 v[2:3], v[4:5], v[52:53]
	v_add_f64_e32 v[8:9], v[2:3], v[58:59]
	ds_load_b128 v[48:51], v67 offset:368
	ds_load_b128 v[56:59], v68 offset:11776
	s_wait_dscnt 0x0
	v_mul_f64_e32 v[2:3], v[50:51], v[58:59]
	v_mul_f64_e32 v[4:5], v[48:49], v[58:59]
	s_delay_alu instid0(VALU_DEP_2) | instskip(NEXT) | instid1(VALU_DEP_2)
	v_fma_f64 v[2:3], v[48:49], v[56:57], -v[2:3]
	v_fmac_f64_e32 v[4:5], v[50:51], v[56:57]
	s_delay_alu instid0(VALU_DEP_2) | instskip(NEXT) | instid1(VALU_DEP_2)
	v_add_f64_e32 v[52:53], v[60:61], v[2:3]
	v_add_f64_e32 v[54:55], v[4:5], v[62:63]
	ds_load_b128 v[2:5], v68 offset:12032
	s_wait_dscnt 0x0
	v_mul_f64_e32 v[60:61], v[50:51], v[4:5]
	v_mul_f64_e32 v[62:63], v[48:49], v[4:5]
	s_delay_alu instid0(VALU_DEP_2) | instskip(NEXT) | instid1(VALU_DEP_2)
	v_fma_f64 v[60:61], v[48:49], v[2:3], -v[60:61]
	v_fmac_f64_e32 v[62:63], v[50:51], v[2:3]
	s_delay_alu instid0(VALU_DEP_2) | instskip(NEXT) | instid1(VALU_DEP_2)
	v_add_f64_e32 v[48:49], v[64:65], v[60:61]
	v_add_f64_e32 v[50:51], v[62:63], v[76:77]
	ds_load_b128 v[60:63], v67 offset:8560
	s_wait_dscnt 0x0
	v_mul_f64_e32 v[64:65], v[62:63], v[58:59]
	v_mul_f64_e32 v[58:59], v[60:61], v[58:59]
	s_delay_alu instid0(VALU_DEP_2) | instskip(NEXT) | instid1(VALU_DEP_2)
	v_fma_f64 v[64:65], v[60:61], v[56:57], -v[64:65]
	v_fmac_f64_e32 v[58:59], v[62:63], v[56:57]
	s_delay_alu instid0(VALU_DEP_2) | instskip(SKIP_2) | instid1(VALU_DEP_4)
	v_add_f64_e32 v[56:57], v[10:11], v[64:65]
	v_mul_f64_e32 v[10:11], v[62:63], v[4:5]
	v_mul_f64_e32 v[4:5], v[60:61], v[4:5]
	v_add_f64_e32 v[58:59], v[58:59], v[12:13]
	s_delay_alu instid0(VALU_DEP_3) | instskip(NEXT) | instid1(VALU_DEP_3)
	v_fma_f64 v[10:11], v[60:61], v[2:3], -v[10:11]
	v_fmac_f64_e32 v[4:5], v[62:63], v[2:3]
	s_delay_alu instid0(VALU_DEP_2) | instskip(NEXT) | instid1(VALU_DEP_2)
	v_add_f64_e32 v[60:61], v[6:7], v[10:11]
	v_add_f64_e32 v[62:63], v[4:5], v[8:9]
	ds_load_b128 v[2:5], v67 offset:384
	ds_load_b128 v[6:9], v68 offset:12288
	s_wait_dscnt 0x0
	v_mul_f64_e32 v[10:11], v[4:5], v[8:9]
	v_mul_f64_e32 v[12:13], v[2:3], v[8:9]
	s_delay_alu instid0(VALU_DEP_2) | instskip(NEXT) | instid1(VALU_DEP_2)
	v_fma_f64 v[10:11], v[2:3], v[6:7], -v[10:11]
	v_fmac_f64_e32 v[12:13], v[4:5], v[6:7]
	s_delay_alu instid0(VALU_DEP_2) | instskip(NEXT) | instid1(VALU_DEP_2)
	v_add_f64_e32 v[64:65], v[52:53], v[10:11]
	v_add_f64_e32 v[76:77], v[12:13], v[54:55]
	ds_load_b128 v[10:13], v68 offset:12544
	s_wait_dscnt 0x0
	v_mul_f64_e32 v[52:53], v[4:5], v[12:13]
	s_delay_alu instid0(VALU_DEP_1) | instskip(SKIP_1) | instid1(VALU_DEP_2)
	v_fma_f64 v[52:53], v[2:3], v[10:11], -v[52:53]
	v_mul_f64_e32 v[2:3], v[2:3], v[12:13]
	v_add_f64_e32 v[78:79], v[48:49], v[52:53]
	s_delay_alu instid0(VALU_DEP_2) | instskip(NEXT) | instid1(VALU_DEP_1)
	v_fmac_f64_e32 v[2:3], v[4:5], v[10:11]
	v_add_f64_e32 v[80:81], v[2:3], v[50:51]
	ds_load_b128 v[2:5], v67 offset:8576
	s_wait_dscnt 0x0
	v_mul_f64_e32 v[48:49], v[4:5], v[8:9]
	v_mul_f64_e32 v[8:9], v[2:3], v[8:9]
	s_delay_alu instid0(VALU_DEP_2) | instskip(NEXT) | instid1(VALU_DEP_2)
	v_fma_f64 v[48:49], v[2:3], v[6:7], -v[48:49]
	v_fmac_f64_e32 v[8:9], v[4:5], v[6:7]
	v_mul_f64_e32 v[6:7], v[4:5], v[12:13]
	s_delay_alu instid0(VALU_DEP_3) | instskip(NEXT) | instid1(VALU_DEP_3)
	v_add_f64_e32 v[48:49], v[56:57], v[48:49]
	v_add_f64_e32 v[50:51], v[8:9], v[58:59]
	s_delay_alu instid0(VALU_DEP_3) | instskip(SKIP_1) | instid1(VALU_DEP_2)
	v_fma_f64 v[6:7], v[2:3], v[10:11], -v[6:7]
	v_mul_f64_e32 v[2:3], v[2:3], v[12:13]
	v_add_f64_e32 v[52:53], v[60:61], v[6:7]
	s_delay_alu instid0(VALU_DEP_2) | instskip(NEXT) | instid1(VALU_DEP_1)
	v_fmac_f64_e32 v[2:3], v[4:5], v[10:11]
	v_add_f64_e32 v[54:55], v[2:3], v[62:63]
	ds_load_b128 v[10:13], v67 offset:400
	ds_load_b128 v[2:5], v68 offset:12800
	s_wait_dscnt 0x0
	v_mul_f64_e32 v[6:7], v[12:13], v[4:5]
	v_mul_f64_e32 v[8:9], v[10:11], v[4:5]
	s_delay_alu instid0(VALU_DEP_2) | instskip(NEXT) | instid1(VALU_DEP_2)
	v_fma_f64 v[6:7], v[10:11], v[2:3], -v[6:7]
	v_fmac_f64_e32 v[8:9], v[12:13], v[2:3]
	s_delay_alu instid0(VALU_DEP_2) | instskip(NEXT) | instid1(VALU_DEP_2)
	v_add_f64_e32 v[60:61], v[64:65], v[6:7]
	v_add_f64_e32 v[62:63], v[8:9], v[76:77]
	ds_load_b128 v[6:9], v68 offset:13056
	s_wait_dscnt 0x0
	v_mul_f64_e32 v[56:57], v[12:13], v[8:9]
	s_delay_alu instid0(VALU_DEP_1) | instskip(SKIP_1) | instid1(VALU_DEP_2)
	v_fma_f64 v[56:57], v[10:11], v[6:7], -v[56:57]
	v_mul_f64_e32 v[10:11], v[10:11], v[8:9]
	v_add_f64_e32 v[56:57], v[78:79], v[56:57]
	s_delay_alu instid0(VALU_DEP_2) | instskip(NEXT) | instid1(VALU_DEP_1)
	v_fmac_f64_e32 v[10:11], v[12:13], v[6:7]
	v_add_f64_e32 v[58:59], v[10:11], v[80:81]
	ds_load_b128 v[10:13], v67 offset:8592
	s_wait_dscnt 0x0
	v_mul_f64_e32 v[64:65], v[12:13], v[4:5]
	v_mul_f64_e32 v[4:5], v[10:11], v[4:5]
	s_delay_alu instid0(VALU_DEP_2) | instskip(NEXT) | instid1(VALU_DEP_2)
	v_fma_f64 v[64:65], v[10:11], v[2:3], -v[64:65]
	v_fmac_f64_e32 v[4:5], v[12:13], v[2:3]
	v_mul_f64_e32 v[2:3], v[12:13], v[8:9]
	s_delay_alu instid0(VALU_DEP_3) | instskip(NEXT) | instid1(VALU_DEP_3)
	v_add_f64_e32 v[48:49], v[48:49], v[64:65]
	v_add_f64_e32 v[50:51], v[4:5], v[50:51]
	v_mul_f64_e32 v[4:5], v[10:11], v[8:9]
	s_delay_alu instid0(VALU_DEP_4) | instskip(NEXT) | instid1(VALU_DEP_2)
	v_fma_f64 v[2:3], v[10:11], v[6:7], -v[2:3]
	v_fmac_f64_e32 v[4:5], v[12:13], v[6:7]
	s_delay_alu instid0(VALU_DEP_2) | instskip(NEXT) | instid1(VALU_DEP_2)
	v_add_f64_e32 v[52:53], v[52:53], v[2:3]
	v_add_f64_e32 v[54:55], v[4:5], v[54:55]
	ds_load_b128 v[2:5], v67 offset:416
	ds_load_b128 v[6:9], v68 offset:13312
	s_wait_dscnt 0x0
	v_mul_f64_e32 v[10:11], v[4:5], v[8:9]
	v_mul_f64_e32 v[12:13], v[2:3], v[8:9]
	s_delay_alu instid0(VALU_DEP_2) | instskip(NEXT) | instid1(VALU_DEP_2)
	v_fma_f64 v[10:11], v[2:3], v[6:7], -v[10:11]
	v_fmac_f64_e32 v[12:13], v[4:5], v[6:7]
	s_delay_alu instid0(VALU_DEP_2) | instskip(NEXT) | instid1(VALU_DEP_2)
	v_add_f64_e32 v[60:61], v[60:61], v[10:11]
	v_add_f64_e32 v[62:63], v[12:13], v[62:63]
	ds_load_b128 v[10:13], v68 offset:13568
	s_wait_dscnt 0x0
	v_mul_f64_e32 v[64:65], v[4:5], v[12:13]
	s_delay_alu instid0(VALU_DEP_1) | instskip(SKIP_1) | instid1(VALU_DEP_2)
	v_fma_f64 v[64:65], v[2:3], v[10:11], -v[64:65]
	v_mul_f64_e32 v[2:3], v[2:3], v[12:13]
	v_add_f64_e32 v[64:65], v[56:57], v[64:65]
	s_delay_alu instid0(VALU_DEP_2) | instskip(NEXT) | instid1(VALU_DEP_1)
	v_fmac_f64_e32 v[2:3], v[4:5], v[10:11]
	v_add_f64_e32 v[76:77], v[2:3], v[58:59]
	ds_load_b128 v[2:5], v67 offset:8608
	s_wait_dscnt 0x0
	v_mul_f64_e32 v[56:57], v[4:5], v[8:9]
	v_mul_f64_e32 v[8:9], v[2:3], v[8:9]
	s_delay_alu instid0(VALU_DEP_2) | instskip(NEXT) | instid1(VALU_DEP_2)
	v_fma_f64 v[56:57], v[2:3], v[6:7], -v[56:57]
	v_fmac_f64_e32 v[8:9], v[4:5], v[6:7]
	s_delay_alu instid0(VALU_DEP_2) | instskip(SKIP_2) | instid1(VALU_DEP_4)
	v_add_f64_e32 v[6:7], v[48:49], v[56:57]
	v_mul_f64_e32 v[48:49], v[4:5], v[12:13]
	v_mul_f64_e32 v[12:13], v[2:3], v[12:13]
	v_add_f64_e32 v[8:9], v[8:9], v[50:51]
	s_delay_alu instid0(VALU_DEP_3) | instskip(NEXT) | instid1(VALU_DEP_3)
	v_fma_f64 v[48:49], v[2:3], v[10:11], -v[48:49]
	v_fmac_f64_e32 v[12:13], v[4:5], v[10:11]
	s_delay_alu instid0(VALU_DEP_2) | instskip(NEXT) | instid1(VALU_DEP_2)
	v_add_f64_e32 v[2:3], v[52:53], v[48:49]
	v_add_f64_e32 v[4:5], v[12:13], v[54:55]
	ds_load_b128 v[10:13], v67 offset:432
	ds_load_b128 v[52:55], v68 offset:13824
	;; [unrolled: 1-line block ×3, first 2 shown]
	s_wait_dscnt 0x1
	v_mul_f64_e32 v[48:49], v[12:13], v[54:55]
	v_mul_f64_e32 v[50:51], v[10:11], v[54:55]
	s_delay_alu instid0(VALU_DEP_2) | instskip(NEXT) | instid1(VALU_DEP_2)
	v_fma_f64 v[48:49], v[10:11], v[52:53], -v[48:49]
	v_fmac_f64_e32 v[50:51], v[12:13], v[52:53]
	s_delay_alu instid0(VALU_DEP_2) | instskip(NEXT) | instid1(VALU_DEP_2)
	v_add_f64_e32 v[48:49], v[60:61], v[48:49]
	v_add_f64_e32 v[50:51], v[50:51], v[62:63]
	s_wait_dscnt 0x0
	v_mul_f64_e32 v[60:61], v[12:13], v[58:59]
	v_mul_f64_e32 v[62:63], v[10:11], v[58:59]
	s_delay_alu instid0(VALU_DEP_2) | instskip(NEXT) | instid1(VALU_DEP_2)
	v_fma_f64 v[60:61], v[10:11], v[56:57], -v[60:61]
	v_fmac_f64_e32 v[62:63], v[12:13], v[56:57]
	s_delay_alu instid0(VALU_DEP_2) | instskip(NEXT) | instid1(VALU_DEP_2)
	v_add_f64_e32 v[10:11], v[64:65], v[60:61]
	v_add_f64_e32 v[12:13], v[62:63], v[76:77]
	ds_load_b128 v[60:63], v67 offset:8624
	s_wait_dscnt 0x0
	v_mul_f64_e32 v[64:65], v[62:63], v[54:55]
	v_mul_f64_e32 v[54:55], v[60:61], v[54:55]
	s_delay_alu instid0(VALU_DEP_2) | instskip(NEXT) | instid1(VALU_DEP_2)
	v_fma_f64 v[64:65], v[60:61], v[52:53], -v[64:65]
	v_fmac_f64_e32 v[54:55], v[62:63], v[52:53]
	s_delay_alu instid0(VALU_DEP_2) | instskip(NEXT) | instid1(VALU_DEP_2)
	v_add_f64_e32 v[64:65], v[6:7], v[64:65]
	v_add_f64_e32 v[76:77], v[54:55], v[8:9]
	v_mul_f64_e32 v[6:7], v[62:63], v[58:59]
	v_mul_f64_e32 v[8:9], v[60:61], v[58:59]
	s_delay_alu instid0(VALU_DEP_2) | instskip(NEXT) | instid1(VALU_DEP_2)
	v_fma_f64 v[6:7], v[60:61], v[56:57], -v[6:7]
	v_fmac_f64_e32 v[8:9], v[62:63], v[56:57]
	s_delay_alu instid0(VALU_DEP_2) | instskip(NEXT) | instid1(VALU_DEP_2)
	v_add_f64_e32 v[56:57], v[2:3], v[6:7]
	v_add_f64_e32 v[58:59], v[8:9], v[4:5]
	ds_load_b128 v[2:5], v67 offset:448
	ds_load_b128 v[6:9], v68 offset:14336
	s_wait_dscnt 0x0
	v_mul_f64_e32 v[52:53], v[4:5], v[8:9]
	v_mul_f64_e32 v[54:55], v[2:3], v[8:9]
	s_delay_alu instid0(VALU_DEP_2) | instskip(NEXT) | instid1(VALU_DEP_2)
	v_fma_f64 v[52:53], v[2:3], v[6:7], -v[52:53]
	v_fmac_f64_e32 v[54:55], v[4:5], v[6:7]
	s_delay_alu instid0(VALU_DEP_2) | instskip(NEXT) | instid1(VALU_DEP_2)
	v_add_f64_e32 v[60:61], v[48:49], v[52:53]
	v_add_f64_e32 v[62:63], v[54:55], v[50:51]
	ds_load_b128 v[52:55], v68 offset:14592
	s_wait_dscnt 0x0
	v_mul_f64_e32 v[48:49], v[4:5], v[54:55]
	s_delay_alu instid0(VALU_DEP_1) | instskip(SKIP_1) | instid1(VALU_DEP_2)
	v_fma_f64 v[48:49], v[2:3], v[52:53], -v[48:49]
	v_mul_f64_e32 v[2:3], v[2:3], v[54:55]
	v_add_f64_e32 v[78:79], v[10:11], v[48:49]
	s_delay_alu instid0(VALU_DEP_2) | instskip(NEXT) | instid1(VALU_DEP_1)
	v_fmac_f64_e32 v[2:3], v[4:5], v[52:53]
	v_add_f64_e32 v[80:81], v[2:3], v[12:13]
	ds_load_b128 v[2:5], v67 offset:8640
	s_wait_dscnt 0x0
	v_mul_f64_e32 v[10:11], v[4:5], v[8:9]
	v_mul_f64_e32 v[8:9], v[2:3], v[8:9]
	s_delay_alu instid0(VALU_DEP_2) | instskip(NEXT) | instid1(VALU_DEP_2)
	v_fma_f64 v[10:11], v[2:3], v[6:7], -v[10:11]
	v_fmac_f64_e32 v[8:9], v[4:5], v[6:7]
	v_mul_f64_e32 v[6:7], v[4:5], v[54:55]
	s_delay_alu instid0(VALU_DEP_3) | instskip(NEXT) | instid1(VALU_DEP_3)
	v_add_f64_e32 v[48:49], v[64:65], v[10:11]
	v_add_f64_e32 v[50:51], v[8:9], v[76:77]
	s_delay_alu instid0(VALU_DEP_3) | instskip(SKIP_1) | instid1(VALU_DEP_2)
	v_fma_f64 v[6:7], v[2:3], v[52:53], -v[6:7]
	v_mul_f64_e32 v[2:3], v[2:3], v[54:55]
	v_add_f64_e32 v[10:11], v[56:57], v[6:7]
	s_delay_alu instid0(VALU_DEP_2)
	v_fmac_f64_e32 v[2:3], v[4:5], v[52:53]
	ds_load_b128 v[52:55], v67 offset:464
	ds_load_b128 v[6:9], v68 offset:14848
	s_wait_dscnt 0x0
	v_mul_f64_e32 v[4:5], v[52:53], v[8:9]
	v_add_f64_e32 v[12:13], v[2:3], v[58:59]
	v_mul_f64_e32 v[2:3], v[54:55], v[8:9]
	s_delay_alu instid0(VALU_DEP_3) | instskip(NEXT) | instid1(VALU_DEP_2)
	v_fmac_f64_e32 v[4:5], v[54:55], v[6:7]
	v_fma_f64 v[2:3], v[52:53], v[6:7], -v[2:3]
	s_delay_alu instid0(VALU_DEP_2) | instskip(NEXT) | instid1(VALU_DEP_2)
	v_add_f64_e32 v[58:59], v[4:5], v[62:63]
	v_add_f64_e32 v[56:57], v[60:61], v[2:3]
	ds_load_b128 v[2:5], v68 offset:15104
	s_wait_dscnt 0x0
	v_mul_f64_e32 v[60:61], v[54:55], v[4:5]
	v_mul_f64_e32 v[62:63], v[52:53], v[4:5]
	s_delay_alu instid0(VALU_DEP_2) | instskip(NEXT) | instid1(VALU_DEP_2)
	v_fma_f64 v[60:61], v[52:53], v[2:3], -v[60:61]
	v_fmac_f64_e32 v[62:63], v[54:55], v[2:3]
	s_delay_alu instid0(VALU_DEP_2) | instskip(NEXT) | instid1(VALU_DEP_2)
	v_add_f64_e32 v[52:53], v[78:79], v[60:61]
	v_add_f64_e32 v[54:55], v[62:63], v[80:81]
	ds_load_b128 v[60:63], v67 offset:8656
	s_wait_dscnt 0x0
	v_mul_f64_e32 v[64:65], v[62:63], v[8:9]
	v_mul_f64_e32 v[8:9], v[60:61], v[8:9]
	s_delay_alu instid0(VALU_DEP_2) | instskip(NEXT) | instid1(VALU_DEP_2)
	v_fma_f64 v[64:65], v[60:61], v[6:7], -v[64:65]
	v_fmac_f64_e32 v[8:9], v[62:63], v[6:7]
	v_mul_f64_e32 v[6:7], v[62:63], v[4:5]
	v_mul_f64_e32 v[4:5], v[60:61], v[4:5]
	s_delay_alu instid0(VALU_DEP_4) | instskip(NEXT) | instid1(VALU_DEP_4)
	v_add_f64_e32 v[48:49], v[48:49], v[64:65]
	v_add_f64_e32 v[50:51], v[8:9], v[50:51]
	s_delay_alu instid0(VALU_DEP_4) | instskip(NEXT) | instid1(VALU_DEP_4)
	v_fma_f64 v[6:7], v[60:61], v[2:3], -v[6:7]
	v_fmac_f64_e32 v[4:5], v[62:63], v[2:3]
	s_delay_alu instid0(VALU_DEP_2) | instskip(NEXT) | instid1(VALU_DEP_2)
	v_add_f64_e32 v[62:63], v[10:11], v[6:7]
	v_add_f64_e32 v[76:77], v[4:5], v[12:13]
	ds_load_b128 v[2:5], v67 offset:480
	ds_load_b128 v[6:9], v68 offset:15360
	s_wait_dscnt 0x0
	v_mul_f64_e32 v[10:11], v[4:5], v[8:9]
	v_mul_f64_e32 v[12:13], v[2:3], v[8:9]
	s_delay_alu instid0(VALU_DEP_2) | instskip(NEXT) | instid1(VALU_DEP_2)
	v_fma_f64 v[10:11], v[2:3], v[6:7], -v[10:11]
	v_fmac_f64_e32 v[12:13], v[4:5], v[6:7]
	s_delay_alu instid0(VALU_DEP_2) | instskip(NEXT) | instid1(VALU_DEP_2)
	v_add_f64_e32 v[78:79], v[56:57], v[10:11]
	v_add_f64_e32 v[80:81], v[12:13], v[58:59]
	ds_load_b128 v[10:13], v68 offset:15616
	s_wait_dscnt 0x0
	v_mul_f64_e32 v[56:57], v[4:5], v[12:13]
	s_delay_alu instid0(VALU_DEP_1) | instskip(SKIP_1) | instid1(VALU_DEP_2)
	v_fma_f64 v[56:57], v[2:3], v[10:11], -v[56:57]
	v_mul_f64_e32 v[2:3], v[2:3], v[12:13]
	v_add_f64_e32 v[82:83], v[52:53], v[56:57]
	s_delay_alu instid0(VALU_DEP_2) | instskip(NEXT) | instid1(VALU_DEP_1)
	v_fmac_f64_e32 v[2:3], v[4:5], v[10:11]
	v_add_f64_e32 v[84:85], v[2:3], v[54:55]
	ds_load_b128 v[2:5], v67 offset:8672
	s_wait_dscnt 0x0
	v_mul_f64_e32 v[52:53], v[4:5], v[8:9]
	v_mul_f64_e32 v[8:9], v[2:3], v[8:9]
	s_delay_alu instid0(VALU_DEP_2) | instskip(NEXT) | instid1(VALU_DEP_2)
	v_fma_f64 v[52:53], v[2:3], v[6:7], -v[52:53]
	v_fmac_f64_e32 v[8:9], v[4:5], v[6:7]
	v_mul_f64_e32 v[6:7], v[4:5], v[12:13]
	s_delay_alu instid0(VALU_DEP_3) | instskip(NEXT) | instid1(VALU_DEP_3)
	v_add_f64_e32 v[60:61], v[48:49], v[52:53]
	v_add_f64_e32 v[64:65], v[8:9], v[50:51]
	s_delay_alu instid0(VALU_DEP_3) | instskip(SKIP_1) | instid1(VALU_DEP_2)
	v_fma_f64 v[6:7], v[2:3], v[10:11], -v[6:7]
	v_mul_f64_e32 v[2:3], v[2:3], v[12:13]
	v_add_f64_e32 v[56:57], v[62:63], v[6:7]
	s_delay_alu instid0(VALU_DEP_2)
	v_fmac_f64_e32 v[2:3], v[4:5], v[10:11]
	ds_load_b128 v[10:13], v67 offset:496
	ds_load_b128 v[6:9], v68 offset:15872
	s_wait_dscnt 0x0
	v_mul_f64_e32 v[4:5], v[10:11], v[8:9]
	v_add_f64_e32 v[58:59], v[2:3], v[76:77]
	v_mul_f64_e32 v[2:3], v[12:13], v[8:9]
	s_delay_alu instid0(VALU_DEP_3) | instskip(NEXT) | instid1(VALU_DEP_2)
	v_fmac_f64_e32 v[4:5], v[12:13], v[6:7]
	v_fma_f64 v[2:3], v[10:11], v[6:7], -v[2:3]
	s_delay_alu instid0(VALU_DEP_2) | instskip(NEXT) | instid1(VALU_DEP_2)
	v_add_f64_e32 v[54:55], v[4:5], v[80:81]
	v_add_f64_e32 v[52:53], v[78:79], v[2:3]
	ds_load_b128 v[2:5], v68 offset:16128
	s_wait_dscnt 0x0
	v_mul_f64_e32 v[48:49], v[12:13], v[4:5]
	s_delay_alu instid0(VALU_DEP_1) | instskip(SKIP_1) | instid1(VALU_DEP_2)
	v_fma_f64 v[48:49], v[10:11], v[2:3], -v[48:49]
	v_mul_f64_e32 v[10:11], v[10:11], v[4:5]
	v_add_f64_e32 v[48:49], v[82:83], v[48:49]
	s_delay_alu instid0(VALU_DEP_2) | instskip(NEXT) | instid1(VALU_DEP_1)
	v_fmac_f64_e32 v[10:11], v[12:13], v[2:3]
	v_add_f64_e32 v[50:51], v[10:11], v[84:85]
	ds_load_b128 v[10:13], v67 offset:8688
	s_wait_dscnt 0x0
	s_barrier_signal -1
	s_barrier_wait -1
	v_mul_f64_e32 v[62:63], v[12:13], v[8:9]
	v_mul_f64_e32 v[8:9], v[10:11], v[8:9]
	s_delay_alu instid0(VALU_DEP_2) | instskip(NEXT) | instid1(VALU_DEP_2)
	v_fma_f64 v[62:63], v[10:11], v[6:7], -v[62:63]
	v_fmac_f64_e32 v[8:9], v[12:13], v[6:7]
	v_mul_f64_e32 v[6:7], v[12:13], v[4:5]
	v_mul_f64_e32 v[4:5], v[10:11], v[4:5]
	s_delay_alu instid0(VALU_DEP_4) | instskip(NEXT) | instid1(VALU_DEP_4)
	v_add_f64_e32 v[62:63], v[60:61], v[62:63]
	v_add_f64_e32 v[60:61], v[8:9], v[64:65]
	s_delay_alu instid0(VALU_DEP_4) | instskip(NEXT) | instid1(VALU_DEP_4)
	v_fma_f64 v[6:7], v[10:11], v[2:3], -v[6:7]
	v_fmac_f64_e32 v[4:5], v[12:13], v[2:3]
	s_delay_alu instid0(VALU_DEP_2) | instskip(NEXT) | instid1(VALU_DEP_2)
	v_add_f64_e32 v[64:65], v[56:57], v[6:7]
	v_add_f64_e32 v[56:57], v[4:5], v[58:59]
	s_cbranch_scc1 .LBB131_59
.LBB131_10:                             ;   Parent Loop BB131_4 Depth=1
                                        ;     Parent Loop BB131_7 Depth=2
                                        ; =>    This Inner Loop Header: Depth=3
	v_add_nc_u64_e32 v[6:7], s[54:55], v[24:25]
	v_cmp_eq_u64_e64 s7, s[54:55], v[38:39]
	v_add_nc_u64_e32 v[4:5], v[32:33], v[28:29]
	s_delay_alu instid0(VALU_DEP_3) | instskip(SKIP_3) | instid1(SALU_CYCLE_1)
	v_cmp_lt_i64_e64 s5, v[6:7], v[26:27]
	v_cmp_le_i64_e64 s6, s[46:47], v[6:7]
	s_and_b32 s64, s58, s7
	s_or_b32 s8, s4, s5
	s_or_b32 s7, s6, s8
	s_delay_alu instid0(SALU_CYCLE_1) | instskip(NEXT) | instid1(SALU_CYCLE_1)
	s_nor_b32 s7, s7, s64
	s_and_saveexec_b32 s8, s7
	s_delay_alu instid0(SALU_CYCLE_1)
	s_xor_b32 s7, exec_lo, s8
	s_cbranch_execz .LBB131_12
; %bb.11:                               ;   in Loop: Header=BB131_10 Depth=3
	global_load_b128 v[8:11], v[4:5], off
	s_wait_loadcnt 0x0
	v_xor_b32_e32 v11, 0x80000000, v11
	ds_store_b128 v69, v[8:11]
.LBB131_12:                             ;   in Loop: Header=BB131_10 Depth=3
	s_wait_xcnt 0x0
	s_or_saveexec_b32 s7, s7
	s_xor_b32 s63, s64, -1
	s_xor_b32 exec_lo, exec_lo, s7
	s_cbranch_execz .LBB131_18
; %bb.13:                               ;   in Loop: Header=BB131_10 Depth=3
	s_and_saveexec_b32 s8, s63
	s_delay_alu instid0(SALU_CYCLE_1)
	s_xor_b32 s8, exec_lo, s8
; %bb.14:                               ;   in Loop: Header=BB131_10 Depth=3
	v_dual_mov_b32 v8, v0 :: v_dual_mov_b32 v9, v0
	v_dual_mov_b32 v10, v0 :: v_dual_mov_b32 v11, v0
	ds_store_b128 v69, v[8:11]
; %bb.15:                               ;   in Loop: Header=BB131_10 Depth=3
	s_and_not1_saveexec_b32 s8, s8
; %bb.16:                               ;   in Loop: Header=BB131_10 Depth=3
	v_dual_mov_b32 v2, v0 :: v_dual_mov_b32 v3, v0
	ds_store_b128 v69, v[0:3]
; %bb.17:                               ;   in Loop: Header=BB131_10 Depth=3
	s_or_b32 exec_lo, exec_lo, s8
.LBB131_18:                             ;   in Loop: Header=BB131_10 Depth=3
	s_delay_alu instid0(SALU_CYCLE_1) | instskip(SKIP_3) | instid1(VALU_DEP_3)
	s_or_b32 exec_lo, exec_lo, s7
	v_add_nc_u64_e32 v[2:3], 16, v[6:7]
	v_cmp_eq_u64_e64 s9, s[54:55], v[44:45]
	v_add_nc_u64_e32 v[8:9], v[34:35], v[28:29]
	v_cmp_lt_i64_e64 s8, v[2:3], v[26:27]
	v_cmp_le_i64_e64 s7, s[46:47], v[2:3]
	s_and_b32 s9, s58, s9
	s_or_b32 s8, s4, s8
	s_delay_alu instid0(SALU_CYCLE_1) | instskip(NEXT) | instid1(SALU_CYCLE_1)
	s_or_b32 s8, s7, s8
	s_nor_b32 s8, s8, s9
	s_delay_alu instid0(SALU_CYCLE_1) | instskip(NEXT) | instid1(SALU_CYCLE_1)
	s_and_saveexec_b32 s65, s8
	s_xor_b32 s8, exec_lo, s65
	s_cbranch_execz .LBB131_20
; %bb.19:                               ;   in Loop: Header=BB131_10 Depth=3
	global_load_b128 v[10:13], v[8:9], off
	s_wait_loadcnt 0x0
	v_xor_b32_e32 v13, 0x80000000, v13
	ds_store_b128 v69, v[10:13] offset:256
.LBB131_20:                             ;   in Loop: Header=BB131_10 Depth=3
	s_wait_xcnt 0x0
	s_and_not1_saveexec_b32 s8, s8
	s_cbranch_execz .LBB131_26
; %bb.21:                               ;   in Loop: Header=BB131_10 Depth=3
	s_xor_b32 s9, s9, -1
	s_delay_alu instid0(SALU_CYCLE_1) | instskip(NEXT) | instid1(SALU_CYCLE_1)
	s_and_saveexec_b32 s65, s9
	s_xor_b32 s9, exec_lo, s65
; %bb.22:                               ;   in Loop: Header=BB131_10 Depth=3
	v_dual_mov_b32 v10, v0 :: v_dual_mov_b32 v11, v0
	v_dual_mov_b32 v12, v0 :: v_dual_mov_b32 v13, v0
	ds_store_b128 v69, v[10:13] offset:256
; %bb.23:                               ;   in Loop: Header=BB131_10 Depth=3
	s_and_not1_saveexec_b32 s9, s9
; %bb.24:                               ;   in Loop: Header=BB131_10 Depth=3
	v_dual_mov_b32 v2, v0 :: v_dual_mov_b32 v3, v0
	ds_store_b128 v69, v[0:3] offset:256
; %bb.25:                               ;   in Loop: Header=BB131_10 Depth=3
	s_or_b32 exec_lo, exec_lo, s9
.LBB131_26:                             ;   in Loop: Header=BB131_10 Depth=3
	s_delay_alu instid0(SALU_CYCLE_1) | instskip(SKIP_4) | instid1(SALU_CYCLE_1)
	s_or_b32 exec_lo, exec_lo, s8
	v_cmp_eq_u64_e64 s8, s[54:55], v[42:43]
	v_cmp_lt_i64_e64 s9, v[6:7], v[40:41]
	s_and_b32 s8, s58, s8
	s_or_b32 s9, vcc_lo, s9
	s_or_b32 s9, s9, s8
	s_delay_alu instid0(SALU_CYCLE_1) | instskip(NEXT) | instid1(SALU_CYCLE_1)
	s_nor_b32 s6, s6, s9
	s_and_saveexec_b32 s9, s6
	s_delay_alu instid0(SALU_CYCLE_1)
	s_xor_b32 s6, exec_lo, s9
	s_cbranch_execz .LBB131_28
; %bb.27:                               ;   in Loop: Header=BB131_10 Depth=3
	global_load_b128 v[2:5], v[4:5], off offset:256
	s_wait_loadcnt 0x0
	s_wait_xcnt 0x0
	v_xor_b32_e32 v5, 0x80000000, v5
	ds_store_b128 v69, v[2:5] offset:8192
.LBB131_28:                             ;   in Loop: Header=BB131_10 Depth=3
	s_and_not1_saveexec_b32 s6, s6
	s_cbranch_execz .LBB131_34
; %bb.29:                               ;   in Loop: Header=BB131_10 Depth=3
	s_xor_b32 s8, s8, -1
	s_delay_alu instid0(SALU_CYCLE_1) | instskip(NEXT) | instid1(SALU_CYCLE_1)
	s_and_saveexec_b32 s9, s8
	s_xor_b32 s8, exec_lo, s9
; %bb.30:                               ;   in Loop: Header=BB131_10 Depth=3
	v_dual_mov_b32 v2, v0 :: v_dual_mov_b32 v3, v0
	v_dual_mov_b32 v4, v0 :: v_dual_mov_b32 v5, v0
	ds_store_b128 v69, v[2:5] offset:8192
; %bb.31:                               ;   in Loop: Header=BB131_10 Depth=3
	s_and_not1_saveexec_b32 s8, s8
; %bb.32:                               ;   in Loop: Header=BB131_10 Depth=3
	v_dual_mov_b32 v2, v0 :: v_dual_mov_b32 v3, v0
	ds_store_b128 v69, v[0:3] offset:8192
; %bb.33:                               ;   in Loop: Header=BB131_10 Depth=3
	s_or_b32 exec_lo, exec_lo, s8
.LBB131_34:                             ;   in Loop: Header=BB131_10 Depth=3
	s_delay_alu instid0(SALU_CYCLE_1) | instskip(SKIP_1) | instid1(SALU_CYCLE_1)
	s_or_b32 exec_lo, exec_lo, s6
	s_or_b32 s5, vcc_lo, s5
	s_or_b32 s5, s7, s5
	s_delay_alu instid0(SALU_CYCLE_1) | instskip(NEXT) | instid1(SALU_CYCLE_1)
	s_nor_b32 s5, s5, s64
	s_and_saveexec_b32 s6, s5
	s_delay_alu instid0(SALU_CYCLE_1)
	s_xor_b32 s5, exec_lo, s6
	s_cbranch_execz .LBB131_36
; %bb.35:                               ;   in Loop: Header=BB131_10 Depth=3
	global_load_b128 v[2:5], v[8:9], off offset:256
	s_wait_loadcnt 0x0
	v_xor_b32_e32 v5, 0x80000000, v5
	ds_store_b128 v69, v[2:5] offset:8448
.LBB131_36:                             ;   in Loop: Header=BB131_10 Depth=3
	s_wait_xcnt 0x0
	s_and_not1_saveexec_b32 s5, s5
	s_cbranch_execz .LBB131_42
; %bb.37:                               ;   in Loop: Header=BB131_10 Depth=3
	s_and_saveexec_b32 s6, s63
	s_delay_alu instid0(SALU_CYCLE_1)
	s_xor_b32 s6, exec_lo, s6
; %bb.38:                               ;   in Loop: Header=BB131_10 Depth=3
	v_dual_mov_b32 v2, v0 :: v_dual_mov_b32 v3, v0
	v_dual_mov_b32 v4, v0 :: v_dual_mov_b32 v5, v0
	ds_store_b128 v69, v[2:5] offset:8448
; %bb.39:                               ;   in Loop: Header=BB131_10 Depth=3
	s_and_not1_saveexec_b32 s6, s6
; %bb.40:                               ;   in Loop: Header=BB131_10 Depth=3
	v_dual_mov_b32 v2, v0 :: v_dual_mov_b32 v3, v0
	ds_store_b128 v69, v[0:3] offset:8448
; %bb.41:                               ;   in Loop: Header=BB131_10 Depth=3
	s_or_b32 exec_lo, exec_lo, s6
.LBB131_42:                             ;   in Loop: Header=BB131_10 Depth=3
	s_delay_alu instid0(SALU_CYCLE_1) | instskip(SKIP_2) | instid1(VALU_DEP_2)
	s_or_b32 exec_lo, exec_lo, s5
	v_add_nc_u64_e32 v[2:3], s[54:55], v[22:23]
	v_add_nc_u64_e32 v[4:5], v[46:47], v[30:31]
	v_cmp_le_i64_e64 s5, s[46:47], v[2:3]
	s_nor_b32 s6, s5, s0
	s_delay_alu instid0(SALU_CYCLE_1) | instskip(NEXT) | instid1(SALU_CYCLE_1)
	s_and_saveexec_b32 s7, s6
	s_xor_b32 s6, exec_lo, s7
	s_cbranch_execz .LBB131_44
; %bb.43:                               ;   in Loop: Header=BB131_10 Depth=3
	global_load_b128 v[6:9], v[4:5], off offset:-256
	s_wait_loadcnt 0x0
	ds_store_2addr_b64 v70, v[6:7], v[8:9] offset1:1
.LBB131_44:                             ;   in Loop: Header=BB131_10 Depth=3
	s_wait_xcnt 0x0
	s_and_not1_saveexec_b32 s6, s6
; %bb.45:                               ;   in Loop: Header=BB131_10 Depth=3
	v_dual_mov_b32 v6, v0 :: v_dual_mov_b32 v7, v0
	v_dual_mov_b32 v8, v0 :: v_dual_mov_b32 v9, v0
	ds_store_b128 v70, v[6:9]
; %bb.46:                               ;   in Loop: Header=BB131_10 Depth=3
	s_or_b32 exec_lo, exec_lo, s6
	s_nor_b32 s5, s5, s1
	s_delay_alu instid0(SALU_CYCLE_1) | instskip(NEXT) | instid1(SALU_CYCLE_1)
	s_and_saveexec_b32 s6, s5
	s_xor_b32 s5, exec_lo, s6
	s_cbranch_execz .LBB131_48
; %bb.47:                               ;   in Loop: Header=BB131_10 Depth=3
	global_load_b128 v[4:7], v[4:5], off
	s_wait_loadcnt 0x0
	ds_store_2addr_b64 v71, v[4:5], v[6:7] offset1:1
.LBB131_48:                             ;   in Loop: Header=BB131_10 Depth=3
	s_wait_xcnt 0x0
	s_and_not1_saveexec_b32 s5, s5
; %bb.49:                               ;   in Loop: Header=BB131_10 Depth=3
	v_dual_mov_b32 v4, v0 :: v_dual_mov_b32 v5, v0
	v_dual_mov_b32 v6, v0 :: v_dual_mov_b32 v7, v0
	ds_store_b128 v70, v[4:7] offset:256
; %bb.50:                               ;   in Loop: Header=BB131_10 Depth=3
	s_or_b32 exec_lo, exec_lo, s5
	v_cmp_le_i64_e64 s5, s[26:27], v[2:3]
	v_add_nc_u64_e32 v[2:3], v[46:47], v[36:37]
	s_nor_b32 s6, s5, s0
	s_delay_alu instid0(SALU_CYCLE_1) | instskip(NEXT) | instid1(SALU_CYCLE_1)
	s_and_saveexec_b32 s7, s6
	s_xor_b32 s6, exec_lo, s7
	s_cbranch_execz .LBB131_52
; %bb.51:                               ;   in Loop: Header=BB131_10 Depth=3
	global_load_b128 v[4:7], v[2:3], off offset:-256
	s_wait_loadcnt 0x0
	ds_store_2addr_b64 v72, v[4:5], v[6:7] offset1:1
.LBB131_52:                             ;   in Loop: Header=BB131_10 Depth=3
	s_wait_xcnt 0x0
	s_and_not1_saveexec_b32 s6, s6
; %bb.53:                               ;   in Loop: Header=BB131_10 Depth=3
	v_dual_mov_b32 v4, v0 :: v_dual_mov_b32 v5, v0
	v_dual_mov_b32 v6, v0 :: v_dual_mov_b32 v7, v0
	ds_store_b128 v70, v[4:7] offset:8192
; %bb.54:                               ;   in Loop: Header=BB131_10 Depth=3
	s_or_b32 exec_lo, exec_lo, s6
	s_nor_b32 s5, s5, s1
	s_delay_alu instid0(SALU_CYCLE_1) | instskip(NEXT) | instid1(SALU_CYCLE_1)
	s_and_saveexec_b32 s6, s5
	s_xor_b32 s5, exec_lo, s6
	s_cbranch_execz .LBB131_56
; %bb.55:                               ;   in Loop: Header=BB131_10 Depth=3
	global_load_b128 v[2:5], v[2:3], off
	s_wait_loadcnt 0x0
	ds_store_2addr_b64 v73, v[2:3], v[4:5] offset1:1
.LBB131_56:                             ;   in Loop: Header=BB131_10 Depth=3
	s_wait_xcnt 0x0
	s_and_not1_saveexec_b32 s5, s5
	s_cbranch_execz .LBB131_9
; %bb.57:                               ;   in Loop: Header=BB131_10 Depth=3
	v_dual_mov_b32 v2, v0 :: v_dual_mov_b32 v3, v0
	v_dual_mov_b32 v4, v0 :: v_dual_mov_b32 v5, v0
	ds_store_b128 v70, v[2:5] offset:8448
	s_branch .LBB131_9
.LBB131_58:                             ;   in Loop: Header=BB131_7 Depth=2
	v_mov_b64_e32 v[52:53], 0
	v_mov_b64_e32 v[54:55], 0
	;; [unrolled: 1-line block ×8, first 2 shown]
.LBB131_59:                             ;   in Loop: Header=BB131_7 Depth=2
	v_mul_u64_e32 v[2:3], s[28:29], v[26:27]
	v_cmp_gt_i32_e32 vcc_lo, s42, v26
	s_and_b32 s5, s2, vcc_lo
	s_delay_alu instid0(VALU_DEP_2)
	v_lshl_add_u64 v[2:3], v[2:3], 4, s[52:53]
	s_and_saveexec_b32 s4, s5
	s_cbranch_execz .LBB131_61
; %bb.60:                               ;   in Loop: Header=BB131_7 Depth=2
	s_delay_alu instid0(VALU_DEP_1)
	v_lshl_add_u64 v[8:9], v[14:15], 4, v[2:3]
	v_mul_f64_e32 v[10:11], s[38:39], v[54:55]
	v_mul_f64_e32 v[12:13], s[36:37], v[54:55]
	global_load_b128 v[4:7], v[8:9], off
	v_fma_f64 v[10:11], s[36:37], v[52:53], -v[10:11]
	v_fmac_f64_e32 v[12:13], s[38:39], v[52:53]
	s_wait_loadcnt 0x0
	s_delay_alu instid0(VALU_DEP_2) | instskip(NEXT) | instid1(VALU_DEP_2)
	v_add_f64_e32 v[4:5], v[4:5], v[10:11]
	v_add_f64_e32 v[6:7], v[12:13], v[6:7]
	global_store_b128 v[8:9], v[4:7], off
.LBB131_61:                             ;   in Loop: Header=BB131_7 Depth=2
	s_wait_xcnt 0x0
	s_or_b32 exec_lo, exec_lo, s4
	s_and_b32 s5, s3, vcc_lo
	s_delay_alu instid0(SALU_CYCLE_1)
	s_and_saveexec_b32 s4, s5
	s_cbranch_execz .LBB131_63
; %bb.62:                               ;   in Loop: Header=BB131_7 Depth=2
	v_lshl_add_u64 v[6:7], v[16:17], 4, v[2:3]
	v_mul_f64_e32 v[8:9], s[38:39], v[50:51]
	v_mul_f64_e32 v[10:11], s[36:37], v[50:51]
	global_load_b128 v[2:5], v[6:7], off
	v_fma_f64 v[8:9], s[36:37], v[48:49], -v[8:9]
	v_fmac_f64_e32 v[10:11], s[38:39], v[48:49]
	s_wait_loadcnt 0x0
	s_delay_alu instid0(VALU_DEP_2) | instskip(NEXT) | instid1(VALU_DEP_2)
	v_add_f64_e32 v[2:3], v[2:3], v[8:9]
	v_add_f64_e32 v[4:5], v[10:11], v[4:5]
	global_store_b128 v[6:7], v[2:5], off
.LBB131_63:                             ;   in Loop: Header=BB131_7 Depth=2
	s_wait_xcnt 0x0
	s_or_b32 exec_lo, exec_lo, s4
	v_add_nc_u32_e32 v2, 16, v26
	s_delay_alu instid0(VALU_DEP_1) | instskip(SKIP_1) | instid1(VALU_DEP_2)
	v_ashrrev_i32_e32 v3, 31, v2
	v_cmp_gt_i32_e32 vcc_lo, s42, v2
	v_mul_u64_e32 v[4:5], s[28:29], v[2:3]
	s_and_b32 s5, s2, vcc_lo
	s_delay_alu instid0(VALU_DEP_1)
	v_lshl_add_u64 v[2:3], v[4:5], 4, s[52:53]
	s_and_saveexec_b32 s4, s5
	s_cbranch_execz .LBB131_65
; %bb.64:                               ;   in Loop: Header=BB131_7 Depth=2
	s_delay_alu instid0(VALU_DEP_1)
	v_lshl_add_u64 v[8:9], v[14:15], 4, v[2:3]
	v_mul_f64_e32 v[10:11], s[38:39], v[60:61]
	v_mul_f64_e32 v[12:13], s[36:37], v[60:61]
	global_load_b128 v[4:7], v[8:9], off
	v_fma_f64 v[10:11], s[36:37], v[62:63], -v[10:11]
	v_fmac_f64_e32 v[12:13], s[38:39], v[62:63]
	s_wait_loadcnt 0x0
	s_delay_alu instid0(VALU_DEP_2) | instskip(NEXT) | instid1(VALU_DEP_2)
	v_add_f64_e32 v[4:5], v[4:5], v[10:11]
	v_add_f64_e32 v[6:7], v[12:13], v[6:7]
	global_store_b128 v[8:9], v[4:7], off
.LBB131_65:                             ;   in Loop: Header=BB131_7 Depth=2
	s_wait_xcnt 0x0
	s_or_b32 exec_lo, exec_lo, s4
	s_and_b32 s5, s3, vcc_lo
	s_delay_alu instid0(SALU_CYCLE_1)
	s_and_saveexec_b32 s4, s5
	s_cbranch_execz .LBB131_6
; %bb.66:                               ;   in Loop: Header=BB131_7 Depth=2
	v_lshl_add_u64 v[6:7], v[16:17], 4, v[2:3]
	v_mul_f64_e32 v[8:9], s[38:39], v[56:57]
	v_mul_f64_e32 v[10:11], s[36:37], v[56:57]
	global_load_b128 v[2:5], v[6:7], off
	v_fma_f64 v[8:9], s[36:37], v[64:65], -v[8:9]
	v_fmac_f64_e32 v[10:11], s[38:39], v[64:65]
	s_wait_loadcnt 0x0
	s_delay_alu instid0(VALU_DEP_2) | instskip(NEXT) | instid1(VALU_DEP_2)
	v_add_f64_e32 v[2:3], v[2:3], v[8:9]
	v_add_f64_e32 v[4:5], v[10:11], v[4:5]
	global_store_b128 v[6:7], v[2:5], off
	s_branch .LBB131_6
.LBB131_67:
	s_sendmsg sendmsg(MSG_DEALLOC_VGPRS)
	s_endpgm
	.section	.rodata,"a",@progbits
	.p2align	6, 0x0
	.amdhsa_kernel _ZL30rocblas_trmm_outofplace_kernelI19rocblas_complex_numIdELi32ELi2ELb0ELb1ELb1ELb1ES1_KS1_S1_Ev17rocblas_diagonal_iiT6_lPT7_lllS6_lllPT8_llli
		.amdhsa_group_segment_fixed_size 32768
		.amdhsa_private_segment_fixed_size 0
		.amdhsa_kernarg_size 400
		.amdhsa_user_sgpr_count 2
		.amdhsa_user_sgpr_dispatch_ptr 0
		.amdhsa_user_sgpr_queue_ptr 0
		.amdhsa_user_sgpr_kernarg_segment_ptr 1
		.amdhsa_user_sgpr_dispatch_id 0
		.amdhsa_user_sgpr_kernarg_preload_length 0
		.amdhsa_user_sgpr_kernarg_preload_offset 0
		.amdhsa_user_sgpr_private_segment_size 0
		.amdhsa_wavefront_size32 1
		.amdhsa_uses_dynamic_stack 0
		.amdhsa_enable_private_segment 0
		.amdhsa_system_sgpr_workgroup_id_x 1
		.amdhsa_system_sgpr_workgroup_id_y 1
		.amdhsa_system_sgpr_workgroup_id_z 1
		.amdhsa_system_sgpr_workgroup_info 0
		.amdhsa_system_vgpr_workitem_id 1
		.amdhsa_next_free_vgpr 90
		.amdhsa_next_free_sgpr 66
		.amdhsa_named_barrier_count 0
		.amdhsa_reserve_vcc 1
		.amdhsa_float_round_mode_32 0
		.amdhsa_float_round_mode_16_64 0
		.amdhsa_float_denorm_mode_32 3
		.amdhsa_float_denorm_mode_16_64 3
		.amdhsa_fp16_overflow 0
		.amdhsa_memory_ordered 1
		.amdhsa_forward_progress 1
		.amdhsa_inst_pref_size 66
		.amdhsa_round_robin_scheduling 0
		.amdhsa_exception_fp_ieee_invalid_op 0
		.amdhsa_exception_fp_denorm_src 0
		.amdhsa_exception_fp_ieee_div_zero 0
		.amdhsa_exception_fp_ieee_overflow 0
		.amdhsa_exception_fp_ieee_underflow 0
		.amdhsa_exception_fp_ieee_inexact 0
		.amdhsa_exception_int_div_zero 0
	.end_amdhsa_kernel
	.section	.text._ZL30rocblas_trmm_outofplace_kernelI19rocblas_complex_numIdELi32ELi2ELb0ELb1ELb1ELb1ES1_KS1_S1_Ev17rocblas_diagonal_iiT6_lPT7_lllS6_lllPT8_llli,"axG",@progbits,_ZL30rocblas_trmm_outofplace_kernelI19rocblas_complex_numIdELi32ELi2ELb0ELb1ELb1ELb1ES1_KS1_S1_Ev17rocblas_diagonal_iiT6_lPT7_lllS6_lllPT8_llli,comdat
.Lfunc_end131:
	.size	_ZL30rocblas_trmm_outofplace_kernelI19rocblas_complex_numIdELi32ELi2ELb0ELb1ELb1ELb1ES1_KS1_S1_Ev17rocblas_diagonal_iiT6_lPT7_lllS6_lllPT8_llli, .Lfunc_end131-_ZL30rocblas_trmm_outofplace_kernelI19rocblas_complex_numIdELi32ELi2ELb0ELb1ELb1ELb1ES1_KS1_S1_Ev17rocblas_diagonal_iiT6_lPT7_lllS6_lllPT8_llli
                                        ; -- End function
	.set _ZL30rocblas_trmm_outofplace_kernelI19rocblas_complex_numIdELi32ELi2ELb0ELb1ELb1ELb1ES1_KS1_S1_Ev17rocblas_diagonal_iiT6_lPT7_lllS6_lllPT8_llli.num_vgpr, 90
	.set _ZL30rocblas_trmm_outofplace_kernelI19rocblas_complex_numIdELi32ELi2ELb0ELb1ELb1ELb1ES1_KS1_S1_Ev17rocblas_diagonal_iiT6_lPT7_lllS6_lllPT8_llli.num_agpr, 0
	.set _ZL30rocblas_trmm_outofplace_kernelI19rocblas_complex_numIdELi32ELi2ELb0ELb1ELb1ELb1ES1_KS1_S1_Ev17rocblas_diagonal_iiT6_lPT7_lllS6_lllPT8_llli.numbered_sgpr, 66
	.set _ZL30rocblas_trmm_outofplace_kernelI19rocblas_complex_numIdELi32ELi2ELb0ELb1ELb1ELb1ES1_KS1_S1_Ev17rocblas_diagonal_iiT6_lPT7_lllS6_lllPT8_llli.num_named_barrier, 0
	.set _ZL30rocblas_trmm_outofplace_kernelI19rocblas_complex_numIdELi32ELi2ELb0ELb1ELb1ELb1ES1_KS1_S1_Ev17rocblas_diagonal_iiT6_lPT7_lllS6_lllPT8_llli.private_seg_size, 0
	.set _ZL30rocblas_trmm_outofplace_kernelI19rocblas_complex_numIdELi32ELi2ELb0ELb1ELb1ELb1ES1_KS1_S1_Ev17rocblas_diagonal_iiT6_lPT7_lllS6_lllPT8_llli.uses_vcc, 1
	.set _ZL30rocblas_trmm_outofplace_kernelI19rocblas_complex_numIdELi32ELi2ELb0ELb1ELb1ELb1ES1_KS1_S1_Ev17rocblas_diagonal_iiT6_lPT7_lllS6_lllPT8_llli.uses_flat_scratch, 0
	.set _ZL30rocblas_trmm_outofplace_kernelI19rocblas_complex_numIdELi32ELi2ELb0ELb1ELb1ELb1ES1_KS1_S1_Ev17rocblas_diagonal_iiT6_lPT7_lllS6_lllPT8_llli.has_dyn_sized_stack, 0
	.set _ZL30rocblas_trmm_outofplace_kernelI19rocblas_complex_numIdELi32ELi2ELb0ELb1ELb1ELb1ES1_KS1_S1_Ev17rocblas_diagonal_iiT6_lPT7_lllS6_lllPT8_llli.has_recursion, 0
	.set _ZL30rocblas_trmm_outofplace_kernelI19rocblas_complex_numIdELi32ELi2ELb0ELb1ELb1ELb1ES1_KS1_S1_Ev17rocblas_diagonal_iiT6_lPT7_lllS6_lllPT8_llli.has_indirect_call, 0
	.section	.AMDGPU.csdata,"",@progbits
; Kernel info:
; codeLenInByte = 8448
; TotalNumSgprs: 68
; NumVgprs: 90
; ScratchSize: 0
; MemoryBound: 0
; FloatMode: 240
; IeeeMode: 1
; LDSByteSize: 32768 bytes/workgroup (compile time only)
; SGPRBlocks: 0
; VGPRBlocks: 5
; NumSGPRsForWavesPerEU: 68
; NumVGPRsForWavesPerEU: 90
; NamedBarCnt: 0
; Occupancy: 10
; WaveLimiterHint : 0
; COMPUTE_PGM_RSRC2:SCRATCH_EN: 0
; COMPUTE_PGM_RSRC2:USER_SGPR: 2
; COMPUTE_PGM_RSRC2:TRAP_HANDLER: 0
; COMPUTE_PGM_RSRC2:TGID_X_EN: 1
; COMPUTE_PGM_RSRC2:TGID_Y_EN: 1
; COMPUTE_PGM_RSRC2:TGID_Z_EN: 1
; COMPUTE_PGM_RSRC2:TIDIG_COMP_CNT: 1
	.section	.text._ZL23rocblas_trmm_lNx_kernelILi16E19rocblas_complex_numIdEPKS1_S2_S1_Ev13rocblas_fill_17rocblas_diagonal_iiT1_lPT2_llS8_llPT3_lli,"axG",@progbits,_ZL23rocblas_trmm_lNx_kernelILi16E19rocblas_complex_numIdEPKS1_S2_S1_Ev13rocblas_fill_17rocblas_diagonal_iiT1_lPT2_llS8_llPT3_lli,comdat
	.globl	_ZL23rocblas_trmm_lNx_kernelILi16E19rocblas_complex_numIdEPKS1_S2_S1_Ev13rocblas_fill_17rocblas_diagonal_iiT1_lPT2_llS8_llPT3_lli ; -- Begin function _ZL23rocblas_trmm_lNx_kernelILi16E19rocblas_complex_numIdEPKS1_S2_S1_Ev13rocblas_fill_17rocblas_diagonal_iiT1_lPT2_llS8_llPT3_lli
	.p2align	8
	.type	_ZL23rocblas_trmm_lNx_kernelILi16E19rocblas_complex_numIdEPKS1_S2_S1_Ev13rocblas_fill_17rocblas_diagonal_iiT1_lPT2_llS8_llPT3_lli,@function
_ZL23rocblas_trmm_lNx_kernelILi16E19rocblas_complex_numIdEPKS1_S2_S1_Ev13rocblas_fill_17rocblas_diagonal_iiT1_lPT2_llS8_llPT3_lli: ; @_ZL23rocblas_trmm_lNx_kernelILi16E19rocblas_complex_numIdEPKS1_S2_S1_Ev13rocblas_fill_17rocblas_diagonal_iiT1_lPT2_llS8_llPT3_lli
; %bb.0:
	s_load_b32 s33, s[0:1], 0x68
	s_bfe_u32 s2, ttmp6, 0x40014
	s_lshr_b32 s3, ttmp7, 16
	s_add_co_i32 s2, s2, 1
	s_bfe_u32 s5, ttmp6, 0x40008
	s_mul_i32 s4, s3, s2
	s_getreg_b32 s2, hwreg(HW_REG_IB_STS2, 6, 4)
	s_add_co_i32 s5, s5, s4
	s_cmp_eq_u32 s2, 0
	s_mov_b32 s29, 0
	s_cselect_b32 s28, s3, s5
	s_wait_kmcnt 0x0
	s_cmp_ge_u32 s28, s33
	s_cbranch_scc1 .LBB132_19
; %bb.1:
	s_clause 0x3
	s_load_b128 s[20:23], s[0:1], 0x0
	s_load_b512 s[4:19], s[0:1], 0x10
	s_load_b128 s[24:27], s[0:1], 0x50
	s_load_b64 s[30:31], s[0:1], 0x60
	v_bfe_u32 v2, v0, 10, 10
	v_and_b32_e32 v1, 0x3ff, v0
	v_mov_b32_e32 v0, 0
	s_wait_xcnt 0x0
	s_bfe_u32 s0, ttmp6, 0x4000c
	s_and_b32 s3, ttmp6, 15
	v_dual_lshlrev_b32 v12, 4, v2 :: v_dual_lshlrev_b32 v8, 4, v1
	v_mov_b32_e32 v3, v0
	s_add_co_i32 s0, s0, 1
	v_mov_b32_e32 v9, v0
	s_mul_i32 s34, ttmp9, s0
	v_cmp_eq_u32_e32 vcc_lo, v2, v1
	s_add_co_i32 s3, s3, s34
	v_add_lshl_u32 v16, v12, v1, 4
	v_cmp_lt_u32_e64 s0, v1, v2
	s_wait_kmcnt 0x0
	s_add_co_i32 s35, s23, -1
	v_mul_u64_e32 v[4:5], s[10:11], v[2:3]
	v_mul_u64_e32 v[6:7], s[16:17], v[2:3]
	;; [unrolled: 1-line block ×3, first 2 shown]
	s_ashr_i32 s1, s35, 31
	v_add_nc_u32_e32 v17, 0x1000, v16
	s_lshr_b32 s10, s1, 28
	v_cmp_gt_u32_e64 s1, v1, v2
	s_add_co_i32 s35, s35, s10
	s_delay_alu instid0(SALU_CYCLE_1)
	s_and_b32 s10, s35, -16
	s_ashr_i32 s11, s35, 4
	s_sub_co_i32 s10, s23, s10
	s_cmp_eq_u32 s2, 0
	v_cmp_gt_i32_e64 s2, s22, v2
	s_cselect_b32 s23, ttmp9, s3
	v_cmp_gt_i32_e64 s3, s22, v1
	s_cmp_ge_i32 s23, s11
	v_mov_b32_e32 v1, 0x3ff00000
	s_cselect_b32 s11, s10, 16
	s_lshl_b32 s22, s23, 4
	s_and_b32 s10, s2, s3
	s_ashr_i32 s23, s22, 31
	v_cmp_gt_i32_e64 s2, s11, v2
	s_mul_u64 s[16:17], s[16:17], s[22:23]
	s_mul_u64 s[22:23], s[26:27], s[22:23]
	s_lshl_b64 s[16:17], s[16:17], 4
	s_lshl_b64 s[22:23], s[22:23], 4
	s_add_nc_u64 s[14:15], s[14:15], s[16:17]
	s_add_nc_u64 s[16:17], s[24:25], s[22:23]
	s_and_b32 s3, s3, s2
	s_cmp_eq_u32 s21, 0x84
	s_cselect_b32 s2, -1, 0
	v_lshl_add_u64 v[4:5], v[4:5], 4, s[8:9]
	v_lshl_add_u64 v[6:7], v[6:7], 4, s[14:15]
	;; [unrolled: 1-line block ×3, first 2 shown]
	s_and_b32 s8, vcc_lo, s2
	s_cmp_lg_u32 s20, 0x79
	v_add_nc_u64_e32 v[10:11], v[4:5], v[8:9]
	v_add_nc_u64_e32 v[12:13], v[6:7], v[8:9]
	;; [unrolled: 1-line block ×3, first 2 shown]
	v_lshl_add_u32 v9, v2, 8, 0x1000
	s_cselect_b32 s9, -1, 0
	s_branch .LBB132_4
.LBB132_2:                              ;   in Loop: Header=BB132_4 Depth=1
	s_wait_xcnt 0x0
	s_or_b32 exec_lo, exec_lo, s2
.LBB132_3:                              ;   in Loop: Header=BB132_4 Depth=1
	s_add_co_i32 s28, s28, 0x10000
	s_delay_alu instid0(SALU_CYCLE_1)
	s_cmp_lt_u32 s28, s33
	s_cbranch_scc0 .LBB132_19
.LBB132_4:                              ; =>This Inner Loop Header: Depth=1
	s_wait_xcnt 0x0
	s_mul_u64 s[14:15], s[6:7], s[28:29]
	s_delay_alu instid0(SALU_CYCLE_1) | instskip(NEXT) | instid1(SALU_CYCLE_1)
	s_lshl_b64 s[14:15], s[14:15], 4
	s_add_nc_u64 s[14:15], s[4:5], s[14:15]
	global_load_b128 v[4:7], v0, s[14:15]
	s_wait_loadcnt 0x0
	v_cmp_neq_f64_e32 vcc_lo, 0, v[4:5]
	v_cmp_neq_f64_e64 s2, 0, v[6:7]
	s_or_b32 s2, vcc_lo, s2
	s_delay_alu instid0(SALU_CYCLE_1)
	s_and_not1_b32 vcc_lo, exec_lo, s2
	s_cbranch_vccnz .LBB132_3
; %bb.5:                                ;   in Loop: Header=BB132_4 Depth=1
	s_mov_b32 s20, s29
	s_mov_b32 s21, s29
	;; [unrolled: 1-line block ×4, first 2 shown]
	v_mov_b64_e32 v[18:19], s[20:21]
	v_mov_b64_e32 v[20:21], s[22:23]
	ds_store_b128 v16, v[18:21]
	ds_store_b128 v17, v[18:21]
	s_wait_xcnt 0x0
	s_and_saveexec_b32 s2, s10
	s_cbranch_execnz .LBB132_10
; %bb.6:                                ;   in Loop: Header=BB132_4 Depth=1
	s_or_b32 exec_lo, exec_lo, s2
	s_and_saveexec_b32 s2, s3
	s_cbranch_execnz .LBB132_11
.LBB132_7:                              ;   in Loop: Header=BB132_4 Depth=1
	s_or_b32 exec_lo, exec_lo, s2
	s_and_saveexec_b32 s2, s8
	s_cbranch_execnz .LBB132_12
.LBB132_8:                              ;   in Loop: Header=BB132_4 Depth=1
	s_or_b32 exec_lo, exec_lo, s2
	s_delay_alu instid0(SALU_CYCLE_1)
	s_and_b32 vcc_lo, exec_lo, s9
	s_cbranch_vccz .LBB132_13
.LBB132_9:                              ;   in Loop: Header=BB132_4 Depth=1
	s_and_b32 s2, s0, exec_lo
	s_cbranch_execz .LBB132_14
	s_branch .LBB132_15
.LBB132_10:                             ;   in Loop: Header=BB132_4 Depth=1
	s_mul_u64 s[14:15], s[12:13], s[28:29]
	s_delay_alu instid0(SALU_CYCLE_1)
	v_lshl_add_u64 v[2:3], s[14:15], 4, v[10:11]
	global_load_b128 v[18:21], v[2:3], off
	s_wait_loadcnt 0x0
	ds_store_2addr_b64 v16, v[18:19], v[20:21] offset1:1
	s_wait_xcnt 0x0
	s_or_b32 exec_lo, exec_lo, s2
	s_and_saveexec_b32 s2, s3
	s_cbranch_execz .LBB132_7
.LBB132_11:                             ;   in Loop: Header=BB132_4 Depth=1
	s_mul_u64 s[14:15], s[18:19], s[28:29]
	s_delay_alu instid0(SALU_CYCLE_1)
	v_lshl_add_u64 v[2:3], s[14:15], 4, v[12:13]
	global_load_b128 v[18:21], v[2:3], off
	s_wait_loadcnt 0x0
	ds_store_2addr_b64 v17, v[18:19], v[20:21] offset1:1
	s_wait_xcnt 0x0
	s_or_b32 exec_lo, exec_lo, s2
	s_and_saveexec_b32 s2, s8
	s_cbranch_execz .LBB132_8
.LBB132_12:                             ;   in Loop: Header=BB132_4 Depth=1
	v_dual_mov_b32 v2, v0 :: v_dual_mov_b32 v3, v0
	ds_store_b128 v16, v[0:3]
	s_or_b32 exec_lo, exec_lo, s2
	s_delay_alu instid0(SALU_CYCLE_1)
	s_and_b32 vcc_lo, exec_lo, s9
	s_cbranch_vccnz .LBB132_9
.LBB132_13:                             ;   in Loop: Header=BB132_4 Depth=1
	s_mov_b32 s2, 0
.LBB132_14:                             ;   in Loop: Header=BB132_4 Depth=1
	s_delay_alu instid0(SALU_CYCLE_1) | instskip(SKIP_1) | instid1(SALU_CYCLE_1)
	s_and_not1_b32 s2, s2, exec_lo
	s_and_b32 s11, s1, exec_lo
	s_or_b32 s2, s2, s11
.LBB132_15:                             ;   in Loop: Header=BB132_4 Depth=1
	s_delay_alu instid0(SALU_CYCLE_1)
	s_and_saveexec_b32 s11, s2
; %bb.16:                               ;   in Loop: Header=BB132_4 Depth=1
	v_dual_mov_b32 v18, v0 :: v_dual_mov_b32 v19, v0
	v_dual_mov_b32 v20, v0 :: v_dual_mov_b32 v21, v0
	ds_store_b128 v16, v[18:21]
; %bb.17:                               ;   in Loop: Header=BB132_4 Depth=1
	s_or_b32 exec_lo, exec_lo, s11
	s_wait_dscnt 0x0
	s_barrier_signal -1
	s_barrier_wait -1
	s_and_saveexec_b32 s2, s3
	s_cbranch_execz .LBB132_2
; %bb.18:                               ;   in Loop: Header=BB132_4 Depth=1
	ds_load_b128 v[18:21], v8
	ds_load_b128 v[22:25], v9
	ds_load_b128 v[26:29], v9 offset:16
	ds_load_b128 v[30:33], v8 offset:256
	;; [unrolled: 1-line block ×6, first 2 shown]
	s_mul_u64 s[14:15], s[30:31], s[28:29]
	s_wait_dscnt 0x6
	v_mul_f64_e32 v[2:3], v[22:23], v[20:21]
	v_mul_f64_e32 v[20:21], v[24:25], v[20:21]
	s_wait_dscnt 0x4
	v_mul_f64_e32 v[50:51], v[26:27], v[32:33]
	s_wait_dscnt 0x2
	;; [unrolled: 2-line block ×3, first 2 shown]
	v_mul_f64_e32 v[54:55], v[42:43], v[48:49]
	v_mul_f64_e32 v[36:37], v[40:41], v[36:37]
	;; [unrolled: 1-line block ×3, first 2 shown]
	v_fmac_f64_e32 v[2:3], v[24:25], v[18:19]
	v_mul_f64_e32 v[24:25], v[28:29], v[32:33]
	v_fmac_f64_e32 v[50:51], v[28:29], v[30:31]
	v_fma_f64 v[18:19], v[22:23], v[18:19], -v[20:21]
	v_fmac_f64_e32 v[52:53], v[40:41], v[34:35]
	v_fmac_f64_e32 v[54:55], v[44:45], v[46:47]
	v_fma_f64 v[34:35], v[38:39], v[34:35], -v[36:37]
	v_add_f64_e32 v[2:3], 0, v[2:3]
	v_fma_f64 v[40:41], v[26:27], v[30:31], -v[24:25]
	v_add_f64_e32 v[56:57], 0, v[18:19]
	ds_load_b128 v[18:21], v8 offset:1024
	ds_load_b128 v[22:25], v9 offset:64
	ds_load_b128 v[26:29], v9 offset:80
	ds_load_b128 v[30:33], v8 offset:1280
	v_add_f64_e32 v[2:3], v[2:3], v[50:51]
	s_wait_dscnt 0x2
	v_mul_f64_e32 v[50:51], v[22:23], v[20:21]
	v_mul_f64_e32 v[20:21], v[24:25], v[20:21]
	v_add_f64_e32 v[36:37], v[56:57], v[40:41]
	s_delay_alu instid0(VALU_DEP_4)
	v_add_f64_e32 v[2:3], v[2:3], v[52:53]
	s_wait_dscnt 0x0
	v_mul_f64_e32 v[52:53], v[26:27], v[32:33]
	v_fmac_f64_e32 v[50:51], v[24:25], v[18:19]
	v_fma_f64 v[24:25], v[42:43], v[46:47], -v[48:49]
	v_add_f64_e32 v[56:57], v[36:37], v[34:35]
	ds_load_b128 v[34:37], v8 offset:1536
	ds_load_b128 v[38:41], v9 offset:96
	ds_load_b128 v[42:45], v9 offset:112
	ds_load_b128 v[46:49], v8 offset:1792
	v_mul_f64_e32 v[32:33], v[28:29], v[32:33]
	v_fma_f64 v[18:19], v[22:23], v[18:19], -v[20:21]
	v_add_f64_e32 v[2:3], v[2:3], v[54:55]
	s_wait_dscnt 0x2
	v_mul_f64_e32 v[54:55], v[38:39], v[36:37]
	v_fmac_f64_e32 v[52:53], v[28:29], v[30:31]
	v_mul_f64_e32 v[36:37], v[40:41], v[36:37]
	v_add_f64_e32 v[20:21], v[56:57], v[24:25]
	v_add_f64_e32 v[2:3], v[2:3], v[50:51]
	s_wait_dscnt 0x0
	v_mul_f64_e32 v[50:51], v[42:43], v[48:49]
	v_fmac_f64_e32 v[54:55], v[40:41], v[34:35]
	v_fma_f64 v[40:41], v[26:27], v[30:31], -v[32:33]
	v_add_f64_e32 v[56:57], v[20:21], v[18:19]
	ds_load_b128 v[18:21], v8 offset:2048
	ds_load_b128 v[22:25], v9 offset:128
	ds_load_b128 v[26:29], v9 offset:144
	ds_load_b128 v[30:33], v8 offset:2304
	v_mul_f64_e32 v[48:49], v[44:45], v[48:49]
	v_fma_f64 v[34:35], v[38:39], v[34:35], -v[36:37]
	v_add_f64_e32 v[2:3], v[2:3], v[52:53]
	s_wait_dscnt 0x2
	v_mul_f64_e32 v[52:53], v[22:23], v[20:21]
	v_fmac_f64_e32 v[50:51], v[44:45], v[46:47]
	v_mul_f64_e32 v[20:21], v[24:25], v[20:21]
	v_add_f64_e32 v[36:37], v[56:57], v[40:41]
	v_add_f64_e32 v[2:3], v[2:3], v[54:55]
	s_wait_dscnt 0x0
	v_mul_f64_e32 v[54:55], v[26:27], v[32:33]
	v_fmac_f64_e32 v[52:53], v[24:25], v[18:19]
	v_fma_f64 v[24:25], v[42:43], v[46:47], -v[48:49]
	v_add_f64_e32 v[56:57], v[36:37], v[34:35]
	ds_load_b128 v[34:37], v8 offset:2560
	ds_load_b128 v[38:41], v9 offset:160
	ds_load_b128 v[42:45], v9 offset:176
	ds_load_b128 v[46:49], v8 offset:2816
	v_mul_f64_e32 v[32:33], v[28:29], v[32:33]
	v_fma_f64 v[18:19], v[22:23], v[18:19], -v[20:21]
	v_add_f64_e32 v[2:3], v[2:3], v[50:51]
	s_wait_dscnt 0x2
	v_mul_f64_e32 v[50:51], v[38:39], v[36:37]
	v_fmac_f64_e32 v[54:55], v[28:29], v[30:31]
	v_mul_f64_e32 v[36:37], v[40:41], v[36:37]
	v_add_f64_e32 v[20:21], v[56:57], v[24:25]
	v_add_f64_e32 v[2:3], v[2:3], v[52:53]
	s_wait_dscnt 0x0
	v_mul_f64_e32 v[52:53], v[42:43], v[48:49]
	v_fmac_f64_e32 v[50:51], v[40:41], v[34:35]
	v_fma_f64 v[40:41], v[26:27], v[30:31], -v[32:33]
	v_add_f64_e32 v[56:57], v[20:21], v[18:19]
	ds_load_b128 v[18:21], v8 offset:3072
	ds_load_b128 v[22:25], v9 offset:192
	ds_load_b128 v[26:29], v9 offset:208
	ds_load_b128 v[30:33], v8 offset:3328
	v_mul_f64_e32 v[48:49], v[44:45], v[48:49]
	v_fma_f64 v[34:35], v[38:39], v[34:35], -v[36:37]
	v_add_f64_e32 v[2:3], v[2:3], v[54:55]
	s_wait_dscnt 0x2
	v_mul_f64_e32 v[54:55], v[22:23], v[20:21]
	v_fmac_f64_e32 v[52:53], v[44:45], v[46:47]
	v_mul_f64_e32 v[20:21], v[24:25], v[20:21]
	v_add_f64_e32 v[36:37], v[56:57], v[40:41]
	v_add_f64_e32 v[2:3], v[2:3], v[50:51]
	s_wait_dscnt 0x0
	v_mul_f64_e32 v[50:51], v[26:27], v[32:33]
	v_fmac_f64_e32 v[54:55], v[24:25], v[18:19]
	v_fma_f64 v[24:25], v[42:43], v[46:47], -v[48:49]
	v_add_f64_e32 v[56:57], v[36:37], v[34:35]
	ds_load_b128 v[34:37], v8 offset:3584
	ds_load_b128 v[38:41], v9 offset:224
	ds_load_b128 v[42:45], v9 offset:240
	ds_load_b128 v[46:49], v8 offset:3840
	v_mul_f64_e32 v[32:33], v[28:29], v[32:33]
	v_fma_f64 v[18:19], v[22:23], v[18:19], -v[20:21]
	s_wait_dscnt 0x0
	v_mul_f64_e32 v[22:23], v[42:43], v[48:49]
	v_add_f64_e32 v[2:3], v[2:3], v[52:53]
	v_mul_f64_e32 v[52:53], v[38:39], v[36:37]
	v_fmac_f64_e32 v[50:51], v[28:29], v[30:31]
	v_add_f64_e32 v[20:21], v[56:57], v[24:25]
	v_mul_f64_e32 v[24:25], v[40:41], v[36:37]
	v_fma_f64 v[26:27], v[26:27], v[30:31], -v[32:33]
	v_fmac_f64_e32 v[22:23], v[44:45], v[46:47]
	v_add_f64_e32 v[2:3], v[2:3], v[54:55]
	v_fmac_f64_e32 v[52:53], v[40:41], v[34:35]
	v_add_f64_e32 v[18:19], v[20:21], v[18:19]
	v_mul_f64_e32 v[20:21], v[44:45], v[48:49]
	v_fma_f64 v[24:25], v[38:39], v[34:35], -v[24:25]
	v_add_f64_e32 v[2:3], v[2:3], v[50:51]
	s_delay_alu instid0(VALU_DEP_4) | instskip(NEXT) | instid1(VALU_DEP_4)
	v_add_f64_e32 v[18:19], v[18:19], v[26:27]
	v_fma_f64 v[20:21], v[42:43], v[46:47], -v[20:21]
	s_delay_alu instid0(VALU_DEP_3) | instskip(NEXT) | instid1(VALU_DEP_3)
	v_add_f64_e32 v[2:3], v[2:3], v[52:53]
	v_add_f64_e32 v[18:19], v[18:19], v[24:25]
	s_delay_alu instid0(VALU_DEP_2) | instskip(NEXT) | instid1(VALU_DEP_2)
	v_add_f64_e32 v[2:3], v[2:3], v[22:23]
	v_add_f64_e32 v[18:19], v[18:19], v[20:21]
	s_delay_alu instid0(VALU_DEP_2) | instskip(SKIP_1) | instid1(VALU_DEP_2)
	v_mul_f64_e32 v[20:21], v[4:5], v[2:3]
	v_mul_f64_e32 v[2:3], v[6:7], v[2:3]
	v_fmac_f64_e32 v[20:21], v[6:7], v[18:19]
	s_delay_alu instid0(VALU_DEP_2)
	v_fma_f64 v[18:19], v[4:5], v[18:19], -v[2:3]
	v_lshl_add_u64 v[2:3], s[14:15], 4, v[14:15]
	global_store_b128 v[2:3], v[18:21], off
	s_branch .LBB132_2
.LBB132_19:
	s_endpgm
	.section	.rodata,"a",@progbits
	.p2align	6, 0x0
	.amdhsa_kernel _ZL23rocblas_trmm_lNx_kernelILi16E19rocblas_complex_numIdEPKS1_S2_S1_Ev13rocblas_fill_17rocblas_diagonal_iiT1_lPT2_llS8_llPT3_lli
		.amdhsa_group_segment_fixed_size 8192
		.amdhsa_private_segment_fixed_size 0
		.amdhsa_kernarg_size 108
		.amdhsa_user_sgpr_count 2
		.amdhsa_user_sgpr_dispatch_ptr 0
		.amdhsa_user_sgpr_queue_ptr 0
		.amdhsa_user_sgpr_kernarg_segment_ptr 1
		.amdhsa_user_sgpr_dispatch_id 0
		.amdhsa_user_sgpr_kernarg_preload_length 0
		.amdhsa_user_sgpr_kernarg_preload_offset 0
		.amdhsa_user_sgpr_private_segment_size 0
		.amdhsa_wavefront_size32 1
		.amdhsa_uses_dynamic_stack 0
		.amdhsa_enable_private_segment 0
		.amdhsa_system_sgpr_workgroup_id_x 1
		.amdhsa_system_sgpr_workgroup_id_y 0
		.amdhsa_system_sgpr_workgroup_id_z 1
		.amdhsa_system_sgpr_workgroup_info 0
		.amdhsa_system_vgpr_workitem_id 1
		.amdhsa_next_free_vgpr 58
		.amdhsa_next_free_sgpr 36
		.amdhsa_named_barrier_count 0
		.amdhsa_reserve_vcc 1
		.amdhsa_float_round_mode_32 0
		.amdhsa_float_round_mode_16_64 0
		.amdhsa_float_denorm_mode_32 3
		.amdhsa_float_denorm_mode_16_64 3
		.amdhsa_fp16_overflow 0
		.amdhsa_memory_ordered 1
		.amdhsa_forward_progress 1
		.amdhsa_inst_pref_size 14
		.amdhsa_round_robin_scheduling 0
		.amdhsa_exception_fp_ieee_invalid_op 0
		.amdhsa_exception_fp_denorm_src 0
		.amdhsa_exception_fp_ieee_div_zero 0
		.amdhsa_exception_fp_ieee_overflow 0
		.amdhsa_exception_fp_ieee_underflow 0
		.amdhsa_exception_fp_ieee_inexact 0
		.amdhsa_exception_int_div_zero 0
	.end_amdhsa_kernel
	.section	.text._ZL23rocblas_trmm_lNx_kernelILi16E19rocblas_complex_numIdEPKS1_S2_S1_Ev13rocblas_fill_17rocblas_diagonal_iiT1_lPT2_llS8_llPT3_lli,"axG",@progbits,_ZL23rocblas_trmm_lNx_kernelILi16E19rocblas_complex_numIdEPKS1_S2_S1_Ev13rocblas_fill_17rocblas_diagonal_iiT1_lPT2_llS8_llPT3_lli,comdat
.Lfunc_end132:
	.size	_ZL23rocblas_trmm_lNx_kernelILi16E19rocblas_complex_numIdEPKS1_S2_S1_Ev13rocblas_fill_17rocblas_diagonal_iiT1_lPT2_llS8_llPT3_lli, .Lfunc_end132-_ZL23rocblas_trmm_lNx_kernelILi16E19rocblas_complex_numIdEPKS1_S2_S1_Ev13rocblas_fill_17rocblas_diagonal_iiT1_lPT2_llS8_llPT3_lli
                                        ; -- End function
	.set _ZL23rocblas_trmm_lNx_kernelILi16E19rocblas_complex_numIdEPKS1_S2_S1_Ev13rocblas_fill_17rocblas_diagonal_iiT1_lPT2_llS8_llPT3_lli.num_vgpr, 58
	.set _ZL23rocblas_trmm_lNx_kernelILi16E19rocblas_complex_numIdEPKS1_S2_S1_Ev13rocblas_fill_17rocblas_diagonal_iiT1_lPT2_llS8_llPT3_lli.num_agpr, 0
	.set _ZL23rocblas_trmm_lNx_kernelILi16E19rocblas_complex_numIdEPKS1_S2_S1_Ev13rocblas_fill_17rocblas_diagonal_iiT1_lPT2_llS8_llPT3_lli.numbered_sgpr, 36
	.set _ZL23rocblas_trmm_lNx_kernelILi16E19rocblas_complex_numIdEPKS1_S2_S1_Ev13rocblas_fill_17rocblas_diagonal_iiT1_lPT2_llS8_llPT3_lli.num_named_barrier, 0
	.set _ZL23rocblas_trmm_lNx_kernelILi16E19rocblas_complex_numIdEPKS1_S2_S1_Ev13rocblas_fill_17rocblas_diagonal_iiT1_lPT2_llS8_llPT3_lli.private_seg_size, 0
	.set _ZL23rocblas_trmm_lNx_kernelILi16E19rocblas_complex_numIdEPKS1_S2_S1_Ev13rocblas_fill_17rocblas_diagonal_iiT1_lPT2_llS8_llPT3_lli.uses_vcc, 1
	.set _ZL23rocblas_trmm_lNx_kernelILi16E19rocblas_complex_numIdEPKS1_S2_S1_Ev13rocblas_fill_17rocblas_diagonal_iiT1_lPT2_llS8_llPT3_lli.uses_flat_scratch, 0
	.set _ZL23rocblas_trmm_lNx_kernelILi16E19rocblas_complex_numIdEPKS1_S2_S1_Ev13rocblas_fill_17rocblas_diagonal_iiT1_lPT2_llS8_llPT3_lli.has_dyn_sized_stack, 0
	.set _ZL23rocblas_trmm_lNx_kernelILi16E19rocblas_complex_numIdEPKS1_S2_S1_Ev13rocblas_fill_17rocblas_diagonal_iiT1_lPT2_llS8_llPT3_lli.has_recursion, 0
	.set _ZL23rocblas_trmm_lNx_kernelILi16E19rocblas_complex_numIdEPKS1_S2_S1_Ev13rocblas_fill_17rocblas_diagonal_iiT1_lPT2_llS8_llPT3_lli.has_indirect_call, 0
	.section	.AMDGPU.csdata,"",@progbits
; Kernel info:
; codeLenInByte = 1680
; TotalNumSgprs: 38
; NumVgprs: 58
; ScratchSize: 0
; MemoryBound: 0
; FloatMode: 240
; IeeeMode: 1
; LDSByteSize: 8192 bytes/workgroup (compile time only)
; SGPRBlocks: 0
; VGPRBlocks: 3
; NumSGPRsForWavesPerEU: 38
; NumVGPRsForWavesPerEU: 58
; NamedBarCnt: 0
; Occupancy: 16
; WaveLimiterHint : 0
; COMPUTE_PGM_RSRC2:SCRATCH_EN: 0
; COMPUTE_PGM_RSRC2:USER_SGPR: 2
; COMPUTE_PGM_RSRC2:TRAP_HANDLER: 0
; COMPUTE_PGM_RSRC2:TGID_X_EN: 1
; COMPUTE_PGM_RSRC2:TGID_Y_EN: 0
; COMPUTE_PGM_RSRC2:TGID_Z_EN: 1
; COMPUTE_PGM_RSRC2:TIDIG_COMP_CNT: 1
	.section	.text._ZL23rocblas_trmm_lNx_kernelILi16E19rocblas_complex_numIdES1_KS1_S1_Ev13rocblas_fill_17rocblas_diagonal_iiT1_lPT2_llS7_llPT3_lli,"axG",@progbits,_ZL23rocblas_trmm_lNx_kernelILi16E19rocblas_complex_numIdES1_KS1_S1_Ev13rocblas_fill_17rocblas_diagonal_iiT1_lPT2_llS7_llPT3_lli,comdat
	.globl	_ZL23rocblas_trmm_lNx_kernelILi16E19rocblas_complex_numIdES1_KS1_S1_Ev13rocblas_fill_17rocblas_diagonal_iiT1_lPT2_llS7_llPT3_lli ; -- Begin function _ZL23rocblas_trmm_lNx_kernelILi16E19rocblas_complex_numIdES1_KS1_S1_Ev13rocblas_fill_17rocblas_diagonal_iiT1_lPT2_llS7_llPT3_lli
	.p2align	8
	.type	_ZL23rocblas_trmm_lNx_kernelILi16E19rocblas_complex_numIdES1_KS1_S1_Ev13rocblas_fill_17rocblas_diagonal_iiT1_lPT2_llS7_llPT3_lli,@function
_ZL23rocblas_trmm_lNx_kernelILi16E19rocblas_complex_numIdES1_KS1_S1_Ev13rocblas_fill_17rocblas_diagonal_iiT1_lPT2_llS7_llPT3_lli: ; @_ZL23rocblas_trmm_lNx_kernelILi16E19rocblas_complex_numIdES1_KS1_S1_Ev13rocblas_fill_17rocblas_diagonal_iiT1_lPT2_llS7_llPT3_lli
; %bb.0:
	s_load_b32 s30, s[0:1], 0x70
	s_bfe_u32 s2, ttmp6, 0x40014
	s_lshr_b32 s3, ttmp7, 16
	s_add_co_i32 s2, s2, 1
	s_bfe_u32 s5, ttmp6, 0x40008
	s_mul_i32 s4, s3, s2
	s_getreg_b32 s2, hwreg(HW_REG_IB_STS2, 6, 4)
	s_add_co_i32 s5, s5, s4
	s_cmp_eq_u32 s2, 0
	s_mov_b32 s29, 0
	s_cselect_b32 s28, s3, s5
	s_wait_kmcnt 0x0
	s_cmp_ge_u32 s28, s30
	s_cbranch_scc1 .LBB133_19
; %bb.1:
	s_clause 0x1
	s_load_b256 s[20:27], s[0:1], 0x0
	s_load_b512 s[4:19], s[0:1], 0x28
	v_bfe_u32 v4, v0, 10, 10
	v_mov_b32_e32 v2, 0
	v_and_b32_e32 v3, 0x3ff, v0
	s_and_b32 s33, ttmp6, 15
	s_delay_alu instid0(VALU_DEP_2) | instskip(NEXT) | instid1(VALU_DEP_2)
	v_dual_mov_b32 v5, v2 :: v_dual_lshlrev_b32 v12, 4, v4
	v_lshlrev_b32_e32 v0, 4, v3
	v_cmp_eq_u32_e32 vcc_lo, v4, v3
	v_lshl_add_u32 v13, v4, 8, 0x1000
	s_delay_alu instid0(VALU_DEP_4) | instskip(NEXT) | instid1(VALU_DEP_1)
	v_add_lshl_u32 v12, v12, v3, 4
	v_dual_mov_b32 v1, v2 :: v_dual_add_nc_u32 v14, 0x1000, v12
	s_wait_kmcnt 0x0
	v_cmp_neq_f64_e64 s3, s[24:25], 0
	v_cmp_neq_f64_e64 s31, s[26:27], 0
	v_mul_u64_e32 v[6:7], s[6:7], v[4:5]
	v_mul_u64_e32 v[8:9], s[12:13], v[4:5]
	;; [unrolled: 1-line block ×3, first 2 shown]
	s_add_co_i32 s35, s23, -1
	s_load_b64 s[6:7], s[0:1], 0x68
	s_wait_xcnt 0x0
	s_bfe_u32 s0, ttmp6, 0x4000c
	s_ashr_i32 s36, s35, 31
	s_add_co_i32 s0, s0, 1
	s_lshr_b32 s36, s36, 28
	s_mul_i32 s34, ttmp9, s0
	s_add_co_i32 s35, s35, s36
	s_add_co_i32 s33, s33, s34
	s_and_b32 s34, s35, -16
	s_ashr_i32 s35, s35, 4
	s_sub_co_i32 s34, s23, s34
	v_cmp_lt_u32_e64 s0, v3, v4
	v_cmp_gt_u32_e64 s1, v3, v4
	s_or_b32 s23, s3, s31
	s_cmp_eq_u32 s2, 0
	v_lshl_add_u64 v[6:7], v[6:7], 4, s[4:5]
	s_cselect_b32 s31, ttmp9, s33
	v_cmp_gt_i32_e64 s2, s22, v4
	s_cmp_ge_i32 s31, s35
	v_cmp_gt_i32_e64 s3, s22, v3
	s_cselect_b32 s5, s34, 16
	s_lshl_b32 s34, s31, 4
	v_add_nc_u64_e32 v[6:7], v[6:7], v[0:1]
	s_ashr_i32 s35, s34, 31
	s_and_b32 s4, s2, s3
	s_mul_u64 s[12:13], s[12:13], s[34:35]
	s_mul_u64 s[18:19], s[18:19], s[34:35]
	s_lshl_b64 s[12:13], s[12:13], 4
	s_lshl_b64 s[18:19], s[18:19], 4
	v_cmp_gt_i32_e64 s2, s5, v4
	s_add_nc_u64 s[10:11], s[10:11], s[12:13]
	s_add_nc_u64 s[12:13], s[16:17], s[18:19]
	v_lshl_add_u64 v[4:5], v[8:9], 4, s[10:11]
	v_lshl_add_u64 v[10:11], v[10:11], 4, s[12:13]
	s_and_b32 s2, s3, s2
	s_cmp_eq_u32 s21, 0x84
	v_mov_b32_e32 v3, 0x3ff00000
	s_cselect_b32 s3, -1, 0
	v_add_nc_u64_e32 v[8:9], v[4:5], v[0:1]
	v_add_nc_u64_e32 v[10:11], v[10:11], v[0:1]
	s_and_b32 s3, vcc_lo, s3
	s_cmp_lg_u32 s20, 0x79
	s_cselect_b32 s5, -1, 0
	s_branch .LBB133_4
.LBB133_2:                              ;   in Loop: Header=BB133_4 Depth=1
	s_wait_xcnt 0x0
	s_or_b32 exec_lo, exec_lo, s10
.LBB133_3:                              ;   in Loop: Header=BB133_4 Depth=1
	s_add_co_i32 s28, s28, 0x10000
	s_delay_alu instid0(SALU_CYCLE_1)
	s_cmp_lt_u32 s28, s30
	s_cbranch_scc0 .LBB133_19
.LBB133_4:                              ; =>This Inner Loop Header: Depth=1
	s_and_not1_b32 vcc_lo, exec_lo, s23
	s_cbranch_vccnz .LBB133_3
; %bb.5:                                ;   in Loop: Header=BB133_4 Depth=1
	s_mov_b32 s16, s29
	s_mov_b32 s17, s29
	;; [unrolled: 1-line block ×4, first 2 shown]
	v_mov_b64_e32 v[16:17], s[16:17]
	v_mov_b64_e32 v[18:19], s[18:19]
	ds_store_b128 v12, v[16:19]
	ds_store_b128 v14, v[16:19]
	s_and_saveexec_b32 s10, s4
	s_cbranch_execnz .LBB133_10
; %bb.6:                                ;   in Loop: Header=BB133_4 Depth=1
	s_or_b32 exec_lo, exec_lo, s10
	s_and_saveexec_b32 s10, s2
	s_cbranch_execnz .LBB133_11
.LBB133_7:                              ;   in Loop: Header=BB133_4 Depth=1
	s_or_b32 exec_lo, exec_lo, s10
	s_and_saveexec_b32 s10, s3
	s_cbranch_execnz .LBB133_12
.LBB133_8:                              ;   in Loop: Header=BB133_4 Depth=1
	s_or_b32 exec_lo, exec_lo, s10
	s_delay_alu instid0(SALU_CYCLE_1)
	s_and_b32 vcc_lo, exec_lo, s5
	s_cbranch_vccz .LBB133_13
.LBB133_9:                              ;   in Loop: Header=BB133_4 Depth=1
	s_and_b32 s10, s0, exec_lo
	s_cbranch_execz .LBB133_14
	s_branch .LBB133_15
.LBB133_10:                             ;   in Loop: Header=BB133_4 Depth=1
	s_mul_u64 s[12:13], s[8:9], s[28:29]
	s_delay_alu instid0(SALU_CYCLE_1)
	v_lshl_add_u64 v[4:5], s[12:13], 4, v[6:7]
	global_load_b128 v[16:19], v[4:5], off
	s_wait_loadcnt 0x0
	ds_store_2addr_b64 v12, v[16:17], v[18:19] offset1:1
	s_wait_xcnt 0x0
	s_or_b32 exec_lo, exec_lo, s10
	s_and_saveexec_b32 s10, s2
	s_cbranch_execz .LBB133_7
.LBB133_11:                             ;   in Loop: Header=BB133_4 Depth=1
	s_mul_u64 s[12:13], s[14:15], s[28:29]
	s_delay_alu instid0(SALU_CYCLE_1)
	v_lshl_add_u64 v[4:5], s[12:13], 4, v[8:9]
	global_load_b128 v[16:19], v[4:5], off
	s_wait_loadcnt 0x0
	ds_store_2addr_b64 v14, v[16:17], v[18:19] offset1:1
	s_wait_xcnt 0x0
	s_or_b32 exec_lo, exec_lo, s10
	s_and_saveexec_b32 s10, s3
	s_cbranch_execz .LBB133_8
.LBB133_12:                             ;   in Loop: Header=BB133_4 Depth=1
	v_dual_mov_b32 v4, v2 :: v_dual_mov_b32 v5, v2
	ds_store_b128 v12, v[2:5]
	s_or_b32 exec_lo, exec_lo, s10
	s_delay_alu instid0(SALU_CYCLE_1)
	s_and_b32 vcc_lo, exec_lo, s5
	s_cbranch_vccnz .LBB133_9
.LBB133_13:                             ;   in Loop: Header=BB133_4 Depth=1
	s_mov_b32 s10, 0
.LBB133_14:                             ;   in Loop: Header=BB133_4 Depth=1
	s_delay_alu instid0(SALU_CYCLE_1) | instskip(SKIP_1) | instid1(SALU_CYCLE_1)
	s_and_not1_b32 s10, s10, exec_lo
	s_and_b32 s11, s1, exec_lo
	s_or_b32 s10, s10, s11
.LBB133_15:                             ;   in Loop: Header=BB133_4 Depth=1
	s_delay_alu instid0(SALU_CYCLE_1)
	s_and_saveexec_b32 s11, s10
; %bb.16:                               ;   in Loop: Header=BB133_4 Depth=1
	v_dual_mov_b32 v16, v2 :: v_dual_mov_b32 v17, v2
	v_dual_mov_b32 v18, v2 :: v_dual_mov_b32 v19, v2
	ds_store_b128 v12, v[16:19]
; %bb.17:                               ;   in Loop: Header=BB133_4 Depth=1
	s_or_b32 exec_lo, exec_lo, s11
	s_wait_dscnt 0x0
	s_barrier_signal -1
	s_barrier_wait -1
	s_and_saveexec_b32 s10, s2
	s_cbranch_execz .LBB133_2
; %bb.18:                               ;   in Loop: Header=BB133_4 Depth=1
	ds_load_b128 v[16:19], v0
	ds_load_b128 v[20:23], v13
	ds_load_b128 v[24:27], v13 offset:16
	ds_load_b128 v[28:31], v0 offset:256
	;; [unrolled: 1-line block ×6, first 2 shown]
	s_wait_kmcnt 0x0
	s_mul_u64 s[12:13], s[6:7], s[28:29]
	s_wait_dscnt 0x6
	v_mul_f64_e32 v[4:5], v[20:21], v[18:19]
	v_mul_f64_e32 v[18:19], v[22:23], v[18:19]
	s_wait_dscnt 0x4
	v_mul_f64_e32 v[48:49], v[24:25], v[30:31]
	s_wait_dscnt 0x2
	;; [unrolled: 2-line block ×3, first 2 shown]
	v_mul_f64_e32 v[52:53], v[40:41], v[46:47]
	v_mul_f64_e32 v[34:35], v[38:39], v[34:35]
	;; [unrolled: 1-line block ×3, first 2 shown]
	v_fmac_f64_e32 v[4:5], v[22:23], v[16:17]
	v_mul_f64_e32 v[22:23], v[26:27], v[30:31]
	v_fmac_f64_e32 v[48:49], v[26:27], v[28:29]
	v_fma_f64 v[16:17], v[20:21], v[16:17], -v[18:19]
	v_fmac_f64_e32 v[50:51], v[38:39], v[32:33]
	v_fmac_f64_e32 v[52:53], v[42:43], v[44:45]
	v_fma_f64 v[32:33], v[36:37], v[32:33], -v[34:35]
	v_add_f64_e32 v[4:5], 0, v[4:5]
	v_fma_f64 v[38:39], v[24:25], v[28:29], -v[22:23]
	v_add_f64_e32 v[54:55], 0, v[16:17]
	ds_load_b128 v[16:19], v0 offset:1024
	ds_load_b128 v[20:23], v13 offset:64
	ds_load_b128 v[24:27], v13 offset:80
	ds_load_b128 v[28:31], v0 offset:1280
	v_add_f64_e32 v[4:5], v[4:5], v[48:49]
	s_wait_dscnt 0x2
	v_mul_f64_e32 v[48:49], v[20:21], v[18:19]
	v_mul_f64_e32 v[18:19], v[22:23], v[18:19]
	v_add_f64_e32 v[34:35], v[54:55], v[38:39]
	s_delay_alu instid0(VALU_DEP_4)
	v_add_f64_e32 v[4:5], v[4:5], v[50:51]
	s_wait_dscnt 0x0
	v_mul_f64_e32 v[50:51], v[24:25], v[30:31]
	v_fmac_f64_e32 v[48:49], v[22:23], v[16:17]
	v_fma_f64 v[22:23], v[40:41], v[44:45], -v[46:47]
	v_add_f64_e32 v[54:55], v[34:35], v[32:33]
	ds_load_b128 v[32:35], v0 offset:1536
	ds_load_b128 v[36:39], v13 offset:96
	ds_load_b128 v[40:43], v13 offset:112
	ds_load_b128 v[44:47], v0 offset:1792
	v_mul_f64_e32 v[30:31], v[26:27], v[30:31]
	v_fma_f64 v[16:17], v[20:21], v[16:17], -v[18:19]
	v_add_f64_e32 v[4:5], v[4:5], v[52:53]
	s_wait_dscnt 0x2
	v_mul_f64_e32 v[52:53], v[36:37], v[34:35]
	v_fmac_f64_e32 v[50:51], v[26:27], v[28:29]
	v_mul_f64_e32 v[34:35], v[38:39], v[34:35]
	v_add_f64_e32 v[18:19], v[54:55], v[22:23]
	v_add_f64_e32 v[4:5], v[4:5], v[48:49]
	s_wait_dscnt 0x0
	v_mul_f64_e32 v[48:49], v[40:41], v[46:47]
	v_fmac_f64_e32 v[52:53], v[38:39], v[32:33]
	v_fma_f64 v[38:39], v[24:25], v[28:29], -v[30:31]
	v_add_f64_e32 v[54:55], v[18:19], v[16:17]
	ds_load_b128 v[16:19], v0 offset:2048
	ds_load_b128 v[20:23], v13 offset:128
	ds_load_b128 v[24:27], v13 offset:144
	ds_load_b128 v[28:31], v0 offset:2304
	v_mul_f64_e32 v[46:47], v[42:43], v[46:47]
	v_fma_f64 v[32:33], v[36:37], v[32:33], -v[34:35]
	v_add_f64_e32 v[4:5], v[4:5], v[50:51]
	s_wait_dscnt 0x2
	v_mul_f64_e32 v[50:51], v[20:21], v[18:19]
	v_fmac_f64_e32 v[48:49], v[42:43], v[44:45]
	v_mul_f64_e32 v[18:19], v[22:23], v[18:19]
	v_add_f64_e32 v[34:35], v[54:55], v[38:39]
	;; [unrolled: 18-line block ×4, first 2 shown]
	v_add_f64_e32 v[4:5], v[4:5], v[48:49]
	s_wait_dscnt 0x0
	v_mul_f64_e32 v[48:49], v[24:25], v[30:31]
	v_fmac_f64_e32 v[52:53], v[22:23], v[16:17]
	v_fma_f64 v[22:23], v[40:41], v[44:45], -v[46:47]
	v_add_f64_e32 v[54:55], v[34:35], v[32:33]
	ds_load_b128 v[32:35], v0 offset:3584
	ds_load_b128 v[36:39], v13 offset:224
	;; [unrolled: 1-line block ×4, first 2 shown]
	v_mul_f64_e32 v[30:31], v[26:27], v[30:31]
	v_fma_f64 v[16:17], v[20:21], v[16:17], -v[18:19]
	s_wait_dscnt 0x0
	v_mul_f64_e32 v[20:21], v[40:41], v[46:47]
	v_add_f64_e32 v[4:5], v[4:5], v[50:51]
	v_mul_f64_e32 v[50:51], v[36:37], v[34:35]
	v_fmac_f64_e32 v[48:49], v[26:27], v[28:29]
	v_add_f64_e32 v[18:19], v[54:55], v[22:23]
	v_mul_f64_e32 v[22:23], v[38:39], v[34:35]
	v_fma_f64 v[24:25], v[24:25], v[28:29], -v[30:31]
	v_fmac_f64_e32 v[20:21], v[42:43], v[44:45]
	v_add_f64_e32 v[4:5], v[4:5], v[52:53]
	v_fmac_f64_e32 v[50:51], v[38:39], v[32:33]
	v_add_f64_e32 v[16:17], v[18:19], v[16:17]
	v_mul_f64_e32 v[18:19], v[42:43], v[46:47]
	v_fma_f64 v[22:23], v[36:37], v[32:33], -v[22:23]
	v_add_f64_e32 v[4:5], v[4:5], v[48:49]
	s_delay_alu instid0(VALU_DEP_4) | instskip(NEXT) | instid1(VALU_DEP_4)
	v_add_f64_e32 v[16:17], v[16:17], v[24:25]
	v_fma_f64 v[18:19], v[40:41], v[44:45], -v[18:19]
	s_delay_alu instid0(VALU_DEP_3) | instskip(NEXT) | instid1(VALU_DEP_3)
	v_add_f64_e32 v[4:5], v[4:5], v[50:51]
	v_add_f64_e32 v[16:17], v[16:17], v[22:23]
	s_delay_alu instid0(VALU_DEP_2) | instskip(NEXT) | instid1(VALU_DEP_2)
	v_add_f64_e32 v[4:5], v[4:5], v[20:21]
	v_add_f64_e32 v[16:17], v[16:17], v[18:19]
	s_delay_alu instid0(VALU_DEP_2) | instskip(SKIP_1) | instid1(VALU_DEP_2)
	v_mul_f64_e32 v[18:19], s[24:25], v[4:5]
	v_mul_f64_e32 v[4:5], s[26:27], v[4:5]
	v_fmac_f64_e32 v[18:19], s[26:27], v[16:17]
	s_delay_alu instid0(VALU_DEP_2)
	v_fma_f64 v[16:17], s[24:25], v[16:17], -v[4:5]
	v_lshl_add_u64 v[4:5], s[12:13], 4, v[10:11]
	global_store_b128 v[4:5], v[16:19], off
	s_branch .LBB133_2
.LBB133_19:
	s_endpgm
	.section	.rodata,"a",@progbits
	.p2align	6, 0x0
	.amdhsa_kernel _ZL23rocblas_trmm_lNx_kernelILi16E19rocblas_complex_numIdES1_KS1_S1_Ev13rocblas_fill_17rocblas_diagonal_iiT1_lPT2_llS7_llPT3_lli
		.amdhsa_group_segment_fixed_size 8192
		.amdhsa_private_segment_fixed_size 0
		.amdhsa_kernarg_size 116
		.amdhsa_user_sgpr_count 2
		.amdhsa_user_sgpr_dispatch_ptr 0
		.amdhsa_user_sgpr_queue_ptr 0
		.amdhsa_user_sgpr_kernarg_segment_ptr 1
		.amdhsa_user_sgpr_dispatch_id 0
		.amdhsa_user_sgpr_kernarg_preload_length 0
		.amdhsa_user_sgpr_kernarg_preload_offset 0
		.amdhsa_user_sgpr_private_segment_size 0
		.amdhsa_wavefront_size32 1
		.amdhsa_uses_dynamic_stack 0
		.amdhsa_enable_private_segment 0
		.amdhsa_system_sgpr_workgroup_id_x 1
		.amdhsa_system_sgpr_workgroup_id_y 0
		.amdhsa_system_sgpr_workgroup_id_z 1
		.amdhsa_system_sgpr_workgroup_info 0
		.amdhsa_system_vgpr_workitem_id 1
		.amdhsa_next_free_vgpr 56
		.amdhsa_next_free_sgpr 37
		.amdhsa_named_barrier_count 0
		.amdhsa_reserve_vcc 1
		.amdhsa_float_round_mode_32 0
		.amdhsa_float_round_mode_16_64 0
		.amdhsa_float_denorm_mode_32 3
		.amdhsa_float_denorm_mode_16_64 3
		.amdhsa_fp16_overflow 0
		.amdhsa_memory_ordered 1
		.amdhsa_forward_progress 1
		.amdhsa_inst_pref_size 13
		.amdhsa_round_robin_scheduling 0
		.amdhsa_exception_fp_ieee_invalid_op 0
		.amdhsa_exception_fp_denorm_src 0
		.amdhsa_exception_fp_ieee_div_zero 0
		.amdhsa_exception_fp_ieee_overflow 0
		.amdhsa_exception_fp_ieee_underflow 0
		.amdhsa_exception_fp_ieee_inexact 0
		.amdhsa_exception_int_div_zero 0
	.end_amdhsa_kernel
	.section	.text._ZL23rocblas_trmm_lNx_kernelILi16E19rocblas_complex_numIdES1_KS1_S1_Ev13rocblas_fill_17rocblas_diagonal_iiT1_lPT2_llS7_llPT3_lli,"axG",@progbits,_ZL23rocblas_trmm_lNx_kernelILi16E19rocblas_complex_numIdES1_KS1_S1_Ev13rocblas_fill_17rocblas_diagonal_iiT1_lPT2_llS7_llPT3_lli,comdat
.Lfunc_end133:
	.size	_ZL23rocblas_trmm_lNx_kernelILi16E19rocblas_complex_numIdES1_KS1_S1_Ev13rocblas_fill_17rocblas_diagonal_iiT1_lPT2_llS7_llPT3_lli, .Lfunc_end133-_ZL23rocblas_trmm_lNx_kernelILi16E19rocblas_complex_numIdES1_KS1_S1_Ev13rocblas_fill_17rocblas_diagonal_iiT1_lPT2_llS7_llPT3_lli
                                        ; -- End function
	.set _ZL23rocblas_trmm_lNx_kernelILi16E19rocblas_complex_numIdES1_KS1_S1_Ev13rocblas_fill_17rocblas_diagonal_iiT1_lPT2_llS7_llPT3_lli.num_vgpr, 56
	.set _ZL23rocblas_trmm_lNx_kernelILi16E19rocblas_complex_numIdES1_KS1_S1_Ev13rocblas_fill_17rocblas_diagonal_iiT1_lPT2_llS7_llPT3_lli.num_agpr, 0
	.set _ZL23rocblas_trmm_lNx_kernelILi16E19rocblas_complex_numIdES1_KS1_S1_Ev13rocblas_fill_17rocblas_diagonal_iiT1_lPT2_llS7_llPT3_lli.numbered_sgpr, 37
	.set _ZL23rocblas_trmm_lNx_kernelILi16E19rocblas_complex_numIdES1_KS1_S1_Ev13rocblas_fill_17rocblas_diagonal_iiT1_lPT2_llS7_llPT3_lli.num_named_barrier, 0
	.set _ZL23rocblas_trmm_lNx_kernelILi16E19rocblas_complex_numIdES1_KS1_S1_Ev13rocblas_fill_17rocblas_diagonal_iiT1_lPT2_llS7_llPT3_lli.private_seg_size, 0
	.set _ZL23rocblas_trmm_lNx_kernelILi16E19rocblas_complex_numIdES1_KS1_S1_Ev13rocblas_fill_17rocblas_diagonal_iiT1_lPT2_llS7_llPT3_lli.uses_vcc, 1
	.set _ZL23rocblas_trmm_lNx_kernelILi16E19rocblas_complex_numIdES1_KS1_S1_Ev13rocblas_fill_17rocblas_diagonal_iiT1_lPT2_llS7_llPT3_lli.uses_flat_scratch, 0
	.set _ZL23rocblas_trmm_lNx_kernelILi16E19rocblas_complex_numIdES1_KS1_S1_Ev13rocblas_fill_17rocblas_diagonal_iiT1_lPT2_llS7_llPT3_lli.has_dyn_sized_stack, 0
	.set _ZL23rocblas_trmm_lNx_kernelILi16E19rocblas_complex_numIdES1_KS1_S1_Ev13rocblas_fill_17rocblas_diagonal_iiT1_lPT2_llS7_llPT3_lli.has_recursion, 0
	.set _ZL23rocblas_trmm_lNx_kernelILi16E19rocblas_complex_numIdES1_KS1_S1_Ev13rocblas_fill_17rocblas_diagonal_iiT1_lPT2_llS7_llPT3_lli.has_indirect_call, 0
	.section	.AMDGPU.csdata,"",@progbits
; Kernel info:
; codeLenInByte = 1636
; TotalNumSgprs: 39
; NumVgprs: 56
; ScratchSize: 0
; MemoryBound: 0
; FloatMode: 240
; IeeeMode: 1
; LDSByteSize: 8192 bytes/workgroup (compile time only)
; SGPRBlocks: 0
; VGPRBlocks: 3
; NumSGPRsForWavesPerEU: 39
; NumVGPRsForWavesPerEU: 56
; NamedBarCnt: 0
; Occupancy: 16
; WaveLimiterHint : 1
; COMPUTE_PGM_RSRC2:SCRATCH_EN: 0
; COMPUTE_PGM_RSRC2:USER_SGPR: 2
; COMPUTE_PGM_RSRC2:TRAP_HANDLER: 0
; COMPUTE_PGM_RSRC2:TGID_X_EN: 1
; COMPUTE_PGM_RSRC2:TGID_Y_EN: 0
; COMPUTE_PGM_RSRC2:TGID_Z_EN: 1
; COMPUTE_PGM_RSRC2:TIDIG_COMP_CNT: 1
	.section	.text._ZL23rocblas_trmm_lTx_kernelILi16ELb0E19rocblas_complex_numIdEPKS1_S2_S1_Ev13rocblas_fill_17rocblas_diagonal_iiT2_lPT3_llS8_llPT4_lli,"axG",@progbits,_ZL23rocblas_trmm_lTx_kernelILi16ELb0E19rocblas_complex_numIdEPKS1_S2_S1_Ev13rocblas_fill_17rocblas_diagonal_iiT2_lPT3_llS8_llPT4_lli,comdat
	.globl	_ZL23rocblas_trmm_lTx_kernelILi16ELb0E19rocblas_complex_numIdEPKS1_S2_S1_Ev13rocblas_fill_17rocblas_diagonal_iiT2_lPT3_llS8_llPT4_lli ; -- Begin function _ZL23rocblas_trmm_lTx_kernelILi16ELb0E19rocblas_complex_numIdEPKS1_S2_S1_Ev13rocblas_fill_17rocblas_diagonal_iiT2_lPT3_llS8_llPT4_lli
	.p2align	8
	.type	_ZL23rocblas_trmm_lTx_kernelILi16ELb0E19rocblas_complex_numIdEPKS1_S2_S1_Ev13rocblas_fill_17rocblas_diagonal_iiT2_lPT3_llS8_llPT4_lli,@function
_ZL23rocblas_trmm_lTx_kernelILi16ELb0E19rocblas_complex_numIdEPKS1_S2_S1_Ev13rocblas_fill_17rocblas_diagonal_iiT2_lPT3_llS8_llPT4_lli: ; @_ZL23rocblas_trmm_lTx_kernelILi16ELb0E19rocblas_complex_numIdEPKS1_S2_S1_Ev13rocblas_fill_17rocblas_diagonal_iiT2_lPT3_llS8_llPT4_lli
; %bb.0:
	s_load_b32 s33, s[0:1], 0x68
	s_bfe_u32 s2, ttmp6, 0x40014
	s_lshr_b32 s3, ttmp7, 16
	s_add_co_i32 s2, s2, 1
	s_bfe_u32 s5, ttmp6, 0x40008
	s_mul_i32 s4, s3, s2
	s_getreg_b32 s2, hwreg(HW_REG_IB_STS2, 6, 4)
	s_add_co_i32 s5, s5, s4
	s_cmp_eq_u32 s2, 0
	s_mov_b32 s29, 0
	s_cselect_b32 s28, s3, s5
	s_wait_kmcnt 0x0
	s_cmp_ge_u32 s28, s33
	s_cbranch_scc1 .LBB134_19
; %bb.1:
	s_clause 0x3
	s_load_b128 s[20:23], s[0:1], 0x0
	s_load_b512 s[4:19], s[0:1], 0x10
	s_load_b128 s[24:27], s[0:1], 0x50
	s_load_b64 s[30:31], s[0:1], 0x60
	v_bfe_u32 v2, v0, 10, 10
	v_and_b32_e32 v1, 0x3ff, v0
	v_mov_b32_e32 v0, 0
	s_wait_xcnt 0x0
	s_bfe_u32 s0, ttmp6, 0x4000c
	s_and_b32 s3, ttmp6, 15
	v_dual_lshlrev_b32 v12, 4, v2 :: v_dual_lshlrev_b32 v8, 4, v1
	v_mov_b32_e32 v3, v0
	s_add_co_i32 s0, s0, 1
	v_cmp_eq_u32_e32 vcc_lo, v2, v1
	s_mul_i32 s34, ttmp9, s0
	v_add_lshl_u32 v16, v12, v1, 4
	s_add_co_i32 s3, s3, s34
	v_mov_b32_e32 v9, v0
	v_lshl_add_u32 v17, v1, 8, v12
	v_cmp_lt_u32_e64 s0, v1, v2
	s_wait_kmcnt 0x0
	s_add_co_i32 s35, s23, -1
	v_mul_u64_e32 v[4:5], s[10:11], v[2:3]
	v_mul_u64_e32 v[6:7], s[16:17], v[2:3]
	;; [unrolled: 1-line block ×3, first 2 shown]
	s_ashr_i32 s10, s35, 31
	v_add_nc_u32_e32 v18, 0x1000, v16
	s_lshr_b32 s10, s10, 28
	v_cmp_gt_u32_e64 s1, v1, v2
	s_add_co_i32 s35, s35, s10
	s_delay_alu instid0(SALU_CYCLE_1)
	s_and_b32 s10, s35, -16
	s_ashr_i32 s11, s35, 4
	s_sub_co_i32 s10, s23, s10
	s_cmp_eq_u32 s2, 0
	v_cmp_gt_i32_e64 s2, s22, v2
	s_cselect_b32 s23, ttmp9, s3
	v_cmp_gt_i32_e64 s3, s22, v1
	s_cmp_ge_i32 s23, s11
	v_mov_b32_e32 v1, 0x3ff00000
	s_cselect_b32 s11, s10, 16
	s_lshl_b32 s22, s23, 4
	s_and_b32 s10, s2, s3
	s_ashr_i32 s23, s22, 31
	v_cmp_gt_i32_e64 s2, s11, v2
	s_mul_u64 s[16:17], s[16:17], s[22:23]
	s_mul_u64 s[22:23], s[26:27], s[22:23]
	s_lshl_b64 s[16:17], s[16:17], 4
	s_lshl_b64 s[22:23], s[22:23], 4
	s_add_nc_u64 s[14:15], s[14:15], s[16:17]
	s_add_nc_u64 s[16:17], s[24:25], s[22:23]
	s_and_b32 s3, s3, s2
	s_cmp_eq_u32 s21, 0x84
	s_cselect_b32 s2, -1, 0
	v_lshl_add_u64 v[4:5], v[4:5], 4, s[8:9]
	v_lshl_add_u64 v[6:7], v[6:7], 4, s[14:15]
	;; [unrolled: 1-line block ×3, first 2 shown]
	s_and_b32 s8, vcc_lo, s2
	s_cmp_lg_u32 s20, 0x7a
	v_add_nc_u64_e32 v[10:11], v[4:5], v[8:9]
	v_add_nc_u64_e32 v[12:13], v[6:7], v[8:9]
	;; [unrolled: 1-line block ×3, first 2 shown]
	v_lshl_add_u32 v9, v2, 8, 0x1000
	s_cselect_b32 s9, -1, 0
	s_branch .LBB134_4
.LBB134_2:                              ;   in Loop: Header=BB134_4 Depth=1
	s_wait_xcnt 0x0
	s_or_b32 exec_lo, exec_lo, s2
.LBB134_3:                              ;   in Loop: Header=BB134_4 Depth=1
	s_add_co_i32 s28, s28, 0x10000
	s_delay_alu instid0(SALU_CYCLE_1)
	s_cmp_lt_u32 s28, s33
	s_cbranch_scc0 .LBB134_19
.LBB134_4:                              ; =>This Inner Loop Header: Depth=1
	s_wait_xcnt 0x0
	s_mul_u64 s[14:15], s[6:7], s[28:29]
	s_delay_alu instid0(SALU_CYCLE_1) | instskip(NEXT) | instid1(SALU_CYCLE_1)
	s_lshl_b64 s[14:15], s[14:15], 4
	s_add_nc_u64 s[14:15], s[4:5], s[14:15]
	global_load_b128 v[4:7], v0, s[14:15]
	s_wait_loadcnt 0x0
	v_cmp_neq_f64_e32 vcc_lo, 0, v[4:5]
	v_cmp_neq_f64_e64 s2, 0, v[6:7]
	s_or_b32 s2, vcc_lo, s2
	s_delay_alu instid0(SALU_CYCLE_1)
	s_and_not1_b32 vcc_lo, exec_lo, s2
	s_cbranch_vccnz .LBB134_3
; %bb.5:                                ;   in Loop: Header=BB134_4 Depth=1
	s_mov_b32 s20, s29
	s_mov_b32 s21, s29
	s_mov_b32 s22, s29
	s_mov_b32 s23, s29
	v_mov_b64_e32 v[20:21], s[20:21]
	v_mov_b64_e32 v[22:23], s[22:23]
	ds_store_b128 v16, v[20:23]
	ds_store_b128 v18, v[20:23]
	s_wait_dscnt 0x0
	s_barrier_signal -1
	s_barrier_wait -1
	s_wait_xcnt 0x0
	s_and_saveexec_b32 s2, s10
	s_cbranch_execnz .LBB134_11
; %bb.6:                                ;   in Loop: Header=BB134_4 Depth=1
	s_or_b32 exec_lo, exec_lo, s2
	s_and_saveexec_b32 s2, s3
	s_cbranch_execnz .LBB134_12
.LBB134_7:                              ;   in Loop: Header=BB134_4 Depth=1
	s_or_b32 exec_lo, exec_lo, s2
	s_and_saveexec_b32 s2, s8
.LBB134_8:                              ;   in Loop: Header=BB134_4 Depth=1
	v_dual_mov_b32 v2, v0 :: v_dual_mov_b32 v3, v0
	ds_store_b128 v16, v[0:3]
.LBB134_9:                              ;   in Loop: Header=BB134_4 Depth=1
	s_or_b32 exec_lo, exec_lo, s2
	s_delay_alu instid0(SALU_CYCLE_1)
	s_and_b32 vcc_lo, exec_lo, s9
	s_wait_dscnt 0x0
	s_barrier_signal -1
	s_barrier_wait -1
	s_cbranch_vccz .LBB134_13
; %bb.10:                               ;   in Loop: Header=BB134_4 Depth=1
	s_and_b32 s2, s0, exec_lo
	s_cbranch_execz .LBB134_14
	s_branch .LBB134_15
.LBB134_11:                             ;   in Loop: Header=BB134_4 Depth=1
	s_mul_u64 s[14:15], s[12:13], s[28:29]
	s_delay_alu instid0(SALU_CYCLE_1)
	v_lshl_add_u64 v[2:3], s[14:15], 4, v[10:11]
	global_load_b128 v[20:23], v[2:3], off
	s_wait_loadcnt 0x0
	ds_store_2addr_b64 v17, v[20:21], v[22:23] offset1:1
	s_wait_xcnt 0x0
	s_or_b32 exec_lo, exec_lo, s2
	s_and_saveexec_b32 s2, s3
	s_cbranch_execz .LBB134_7
.LBB134_12:                             ;   in Loop: Header=BB134_4 Depth=1
	s_mul_u64 s[14:15], s[18:19], s[28:29]
	s_delay_alu instid0(SALU_CYCLE_1)
	v_lshl_add_u64 v[2:3], s[14:15], 4, v[12:13]
	global_load_b128 v[20:23], v[2:3], off
	s_wait_loadcnt 0x0
	ds_store_2addr_b64 v18, v[20:21], v[22:23] offset1:1
	s_wait_xcnt 0x0
	s_or_b32 exec_lo, exec_lo, s2
	s_and_saveexec_b32 s2, s8
	s_cbranch_execnz .LBB134_8
	s_branch .LBB134_9
.LBB134_13:                             ;   in Loop: Header=BB134_4 Depth=1
	s_mov_b32 s2, 0
.LBB134_14:                             ;   in Loop: Header=BB134_4 Depth=1
	s_delay_alu instid0(SALU_CYCLE_1) | instskip(SKIP_1) | instid1(SALU_CYCLE_1)
	s_and_not1_b32 s2, s2, exec_lo
	s_and_b32 s11, s1, exec_lo
	s_or_b32 s2, s2, s11
.LBB134_15:                             ;   in Loop: Header=BB134_4 Depth=1
	s_delay_alu instid0(SALU_CYCLE_1)
	s_and_saveexec_b32 s11, s2
; %bb.16:                               ;   in Loop: Header=BB134_4 Depth=1
	v_dual_mov_b32 v20, v0 :: v_dual_mov_b32 v21, v0
	v_dual_mov_b32 v22, v0 :: v_dual_mov_b32 v23, v0
	ds_store_b128 v16, v[20:23]
; %bb.17:                               ;   in Loop: Header=BB134_4 Depth=1
	s_or_b32 exec_lo, exec_lo, s11
	s_wait_dscnt 0x0
	s_barrier_signal -1
	s_barrier_wait -1
	s_and_saveexec_b32 s2, s3
	s_cbranch_execz .LBB134_2
; %bb.18:                               ;   in Loop: Header=BB134_4 Depth=1
	ds_load_b128 v[20:23], v8
	ds_load_b128 v[24:27], v9
	ds_load_b128 v[28:31], v9 offset:16
	ds_load_b128 v[32:35], v8 offset:256
	;; [unrolled: 1-line block ×6, first 2 shown]
	s_mul_u64 s[14:15], s[30:31], s[28:29]
	s_wait_dscnt 0x6
	v_mul_f64_e32 v[2:3], v[24:25], v[22:23]
	v_mul_f64_e32 v[22:23], v[26:27], v[22:23]
	s_wait_dscnt 0x4
	v_mul_f64_e32 v[52:53], v[28:29], v[34:35]
	s_wait_dscnt 0x2
	;; [unrolled: 2-line block ×3, first 2 shown]
	v_mul_f64_e32 v[56:57], v[44:45], v[50:51]
	v_mul_f64_e32 v[38:39], v[42:43], v[38:39]
	;; [unrolled: 1-line block ×3, first 2 shown]
	v_fmac_f64_e32 v[2:3], v[26:27], v[20:21]
	v_mul_f64_e32 v[26:27], v[30:31], v[34:35]
	v_fmac_f64_e32 v[52:53], v[30:31], v[32:33]
	v_fma_f64 v[20:21], v[24:25], v[20:21], -v[22:23]
	v_fmac_f64_e32 v[54:55], v[42:43], v[36:37]
	v_fmac_f64_e32 v[56:57], v[46:47], v[48:49]
	v_fma_f64 v[36:37], v[40:41], v[36:37], -v[38:39]
	v_add_f64_e32 v[2:3], 0, v[2:3]
	v_fma_f64 v[42:43], v[28:29], v[32:33], -v[26:27]
	v_add_f64_e32 v[58:59], 0, v[20:21]
	ds_load_b128 v[20:23], v8 offset:1024
	ds_load_b128 v[24:27], v9 offset:64
	;; [unrolled: 1-line block ×4, first 2 shown]
	v_add_f64_e32 v[2:3], v[2:3], v[52:53]
	s_wait_dscnt 0x2
	v_mul_f64_e32 v[52:53], v[24:25], v[22:23]
	v_mul_f64_e32 v[22:23], v[26:27], v[22:23]
	v_add_f64_e32 v[38:39], v[58:59], v[42:43]
	s_delay_alu instid0(VALU_DEP_4)
	v_add_f64_e32 v[2:3], v[2:3], v[54:55]
	s_wait_dscnt 0x0
	v_mul_f64_e32 v[54:55], v[28:29], v[34:35]
	v_fmac_f64_e32 v[52:53], v[26:27], v[20:21]
	v_fma_f64 v[26:27], v[44:45], v[48:49], -v[50:51]
	v_add_f64_e32 v[58:59], v[38:39], v[36:37]
	ds_load_b128 v[36:39], v8 offset:1536
	ds_load_b128 v[40:43], v9 offset:96
	ds_load_b128 v[44:47], v9 offset:112
	ds_load_b128 v[48:51], v8 offset:1792
	v_mul_f64_e32 v[34:35], v[30:31], v[34:35]
	v_fma_f64 v[20:21], v[24:25], v[20:21], -v[22:23]
	v_add_f64_e32 v[2:3], v[2:3], v[56:57]
	s_wait_dscnt 0x2
	v_mul_f64_e32 v[56:57], v[40:41], v[38:39]
	v_fmac_f64_e32 v[54:55], v[30:31], v[32:33]
	v_mul_f64_e32 v[38:39], v[42:43], v[38:39]
	v_add_f64_e32 v[22:23], v[58:59], v[26:27]
	v_add_f64_e32 v[2:3], v[2:3], v[52:53]
	s_wait_dscnt 0x0
	v_mul_f64_e32 v[52:53], v[44:45], v[50:51]
	v_fmac_f64_e32 v[56:57], v[42:43], v[36:37]
	v_fma_f64 v[42:43], v[28:29], v[32:33], -v[34:35]
	v_add_f64_e32 v[58:59], v[22:23], v[20:21]
	ds_load_b128 v[20:23], v8 offset:2048
	ds_load_b128 v[24:27], v9 offset:128
	ds_load_b128 v[28:31], v9 offset:144
	ds_load_b128 v[32:35], v8 offset:2304
	v_mul_f64_e32 v[50:51], v[46:47], v[50:51]
	v_fma_f64 v[36:37], v[40:41], v[36:37], -v[38:39]
	v_add_f64_e32 v[2:3], v[2:3], v[54:55]
	s_wait_dscnt 0x2
	v_mul_f64_e32 v[54:55], v[24:25], v[22:23]
	v_fmac_f64_e32 v[52:53], v[46:47], v[48:49]
	v_mul_f64_e32 v[22:23], v[26:27], v[22:23]
	v_add_f64_e32 v[38:39], v[58:59], v[42:43]
	;; [unrolled: 18-line block ×4, first 2 shown]
	v_add_f64_e32 v[2:3], v[2:3], v[52:53]
	s_wait_dscnt 0x0
	v_mul_f64_e32 v[52:53], v[28:29], v[34:35]
	v_fmac_f64_e32 v[56:57], v[26:27], v[20:21]
	v_fma_f64 v[26:27], v[44:45], v[48:49], -v[50:51]
	v_add_f64_e32 v[58:59], v[38:39], v[36:37]
	ds_load_b128 v[36:39], v8 offset:3584
	ds_load_b128 v[40:43], v9 offset:224
	;; [unrolled: 1-line block ×4, first 2 shown]
	v_mul_f64_e32 v[34:35], v[30:31], v[34:35]
	v_fma_f64 v[20:21], v[24:25], v[20:21], -v[22:23]
	s_wait_dscnt 0x0
	v_mul_f64_e32 v[24:25], v[44:45], v[50:51]
	v_add_f64_e32 v[2:3], v[2:3], v[54:55]
	v_mul_f64_e32 v[54:55], v[40:41], v[38:39]
	v_fmac_f64_e32 v[52:53], v[30:31], v[32:33]
	v_add_f64_e32 v[22:23], v[58:59], v[26:27]
	v_mul_f64_e32 v[26:27], v[42:43], v[38:39]
	v_fma_f64 v[28:29], v[28:29], v[32:33], -v[34:35]
	v_fmac_f64_e32 v[24:25], v[46:47], v[48:49]
	v_add_f64_e32 v[2:3], v[2:3], v[56:57]
	v_fmac_f64_e32 v[54:55], v[42:43], v[36:37]
	v_add_f64_e32 v[20:21], v[22:23], v[20:21]
	v_mul_f64_e32 v[22:23], v[46:47], v[50:51]
	v_fma_f64 v[26:27], v[40:41], v[36:37], -v[26:27]
	v_add_f64_e32 v[2:3], v[2:3], v[52:53]
	s_delay_alu instid0(VALU_DEP_4) | instskip(NEXT) | instid1(VALU_DEP_4)
	v_add_f64_e32 v[20:21], v[20:21], v[28:29]
	v_fma_f64 v[22:23], v[44:45], v[48:49], -v[22:23]
	s_delay_alu instid0(VALU_DEP_3) | instskip(NEXT) | instid1(VALU_DEP_3)
	v_add_f64_e32 v[2:3], v[2:3], v[54:55]
	v_add_f64_e32 v[20:21], v[20:21], v[26:27]
	s_delay_alu instid0(VALU_DEP_2) | instskip(NEXT) | instid1(VALU_DEP_2)
	v_add_f64_e32 v[2:3], v[2:3], v[24:25]
	v_add_f64_e32 v[20:21], v[20:21], v[22:23]
	s_delay_alu instid0(VALU_DEP_2) | instskip(SKIP_1) | instid1(VALU_DEP_2)
	v_mul_f64_e32 v[22:23], v[4:5], v[2:3]
	v_mul_f64_e32 v[2:3], v[6:7], v[2:3]
	v_fmac_f64_e32 v[22:23], v[6:7], v[20:21]
	s_delay_alu instid0(VALU_DEP_2)
	v_fma_f64 v[20:21], v[4:5], v[20:21], -v[2:3]
	v_lshl_add_u64 v[2:3], s[14:15], 4, v[14:15]
	global_store_b128 v[2:3], v[20:23], off
	s_branch .LBB134_2
.LBB134_19:
	s_endpgm
	.section	.rodata,"a",@progbits
	.p2align	6, 0x0
	.amdhsa_kernel _ZL23rocblas_trmm_lTx_kernelILi16ELb0E19rocblas_complex_numIdEPKS1_S2_S1_Ev13rocblas_fill_17rocblas_diagonal_iiT2_lPT3_llS8_llPT4_lli
		.amdhsa_group_segment_fixed_size 8192
		.amdhsa_private_segment_fixed_size 0
		.amdhsa_kernarg_size 108
		.amdhsa_user_sgpr_count 2
		.amdhsa_user_sgpr_dispatch_ptr 0
		.amdhsa_user_sgpr_queue_ptr 0
		.amdhsa_user_sgpr_kernarg_segment_ptr 1
		.amdhsa_user_sgpr_dispatch_id 0
		.amdhsa_user_sgpr_kernarg_preload_length 0
		.amdhsa_user_sgpr_kernarg_preload_offset 0
		.amdhsa_user_sgpr_private_segment_size 0
		.amdhsa_wavefront_size32 1
		.amdhsa_uses_dynamic_stack 0
		.amdhsa_enable_private_segment 0
		.amdhsa_system_sgpr_workgroup_id_x 1
		.amdhsa_system_sgpr_workgroup_id_y 0
		.amdhsa_system_sgpr_workgroup_id_z 1
		.amdhsa_system_sgpr_workgroup_info 0
		.amdhsa_system_vgpr_workitem_id 1
		.amdhsa_next_free_vgpr 60
		.amdhsa_next_free_sgpr 36
		.amdhsa_named_barrier_count 0
		.amdhsa_reserve_vcc 1
		.amdhsa_float_round_mode_32 0
		.amdhsa_float_round_mode_16_64 0
		.amdhsa_float_denorm_mode_32 3
		.amdhsa_float_denorm_mode_16_64 3
		.amdhsa_fp16_overflow 0
		.amdhsa_memory_ordered 1
		.amdhsa_forward_progress 1
		.amdhsa_inst_pref_size 14
		.amdhsa_round_robin_scheduling 0
		.amdhsa_exception_fp_ieee_invalid_op 0
		.amdhsa_exception_fp_denorm_src 0
		.amdhsa_exception_fp_ieee_div_zero 0
		.amdhsa_exception_fp_ieee_overflow 0
		.amdhsa_exception_fp_ieee_underflow 0
		.amdhsa_exception_fp_ieee_inexact 0
		.amdhsa_exception_int_div_zero 0
	.end_amdhsa_kernel
	.section	.text._ZL23rocblas_trmm_lTx_kernelILi16ELb0E19rocblas_complex_numIdEPKS1_S2_S1_Ev13rocblas_fill_17rocblas_diagonal_iiT2_lPT3_llS8_llPT4_lli,"axG",@progbits,_ZL23rocblas_trmm_lTx_kernelILi16ELb0E19rocblas_complex_numIdEPKS1_S2_S1_Ev13rocblas_fill_17rocblas_diagonal_iiT2_lPT3_llS8_llPT4_lli,comdat
.Lfunc_end134:
	.size	_ZL23rocblas_trmm_lTx_kernelILi16ELb0E19rocblas_complex_numIdEPKS1_S2_S1_Ev13rocblas_fill_17rocblas_diagonal_iiT2_lPT3_llS8_llPT4_lli, .Lfunc_end134-_ZL23rocblas_trmm_lTx_kernelILi16ELb0E19rocblas_complex_numIdEPKS1_S2_S1_Ev13rocblas_fill_17rocblas_diagonal_iiT2_lPT3_llS8_llPT4_lli
                                        ; -- End function
	.set _ZL23rocblas_trmm_lTx_kernelILi16ELb0E19rocblas_complex_numIdEPKS1_S2_S1_Ev13rocblas_fill_17rocblas_diagonal_iiT2_lPT3_llS8_llPT4_lli.num_vgpr, 60
	.set _ZL23rocblas_trmm_lTx_kernelILi16ELb0E19rocblas_complex_numIdEPKS1_S2_S1_Ev13rocblas_fill_17rocblas_diagonal_iiT2_lPT3_llS8_llPT4_lli.num_agpr, 0
	.set _ZL23rocblas_trmm_lTx_kernelILi16ELb0E19rocblas_complex_numIdEPKS1_S2_S1_Ev13rocblas_fill_17rocblas_diagonal_iiT2_lPT3_llS8_llPT4_lli.numbered_sgpr, 36
	.set _ZL23rocblas_trmm_lTx_kernelILi16ELb0E19rocblas_complex_numIdEPKS1_S2_S1_Ev13rocblas_fill_17rocblas_diagonal_iiT2_lPT3_llS8_llPT4_lli.num_named_barrier, 0
	.set _ZL23rocblas_trmm_lTx_kernelILi16ELb0E19rocblas_complex_numIdEPKS1_S2_S1_Ev13rocblas_fill_17rocblas_diagonal_iiT2_lPT3_llS8_llPT4_lli.private_seg_size, 0
	.set _ZL23rocblas_trmm_lTx_kernelILi16ELb0E19rocblas_complex_numIdEPKS1_S2_S1_Ev13rocblas_fill_17rocblas_diagonal_iiT2_lPT3_llS8_llPT4_lli.uses_vcc, 1
	.set _ZL23rocblas_trmm_lTx_kernelILi16ELb0E19rocblas_complex_numIdEPKS1_S2_S1_Ev13rocblas_fill_17rocblas_diagonal_iiT2_lPT3_llS8_llPT4_lli.uses_flat_scratch, 0
	.set _ZL23rocblas_trmm_lTx_kernelILi16ELb0E19rocblas_complex_numIdEPKS1_S2_S1_Ev13rocblas_fill_17rocblas_diagonal_iiT2_lPT3_llS8_llPT4_lli.has_dyn_sized_stack, 0
	.set _ZL23rocblas_trmm_lTx_kernelILi16ELb0E19rocblas_complex_numIdEPKS1_S2_S1_Ev13rocblas_fill_17rocblas_diagonal_iiT2_lPT3_llS8_llPT4_lli.has_recursion, 0
	.set _ZL23rocblas_trmm_lTx_kernelILi16ELb0E19rocblas_complex_numIdEPKS1_S2_S1_Ev13rocblas_fill_17rocblas_diagonal_iiT2_lPT3_llS8_llPT4_lli.has_indirect_call, 0
	.section	.AMDGPU.csdata,"",@progbits
; Kernel info:
; codeLenInByte = 1696
; TotalNumSgprs: 38
; NumVgprs: 60
; ScratchSize: 0
; MemoryBound: 0
; FloatMode: 240
; IeeeMode: 1
; LDSByteSize: 8192 bytes/workgroup (compile time only)
; SGPRBlocks: 0
; VGPRBlocks: 3
; NumSGPRsForWavesPerEU: 38
; NumVGPRsForWavesPerEU: 60
; NamedBarCnt: 0
; Occupancy: 16
; WaveLimiterHint : 0
; COMPUTE_PGM_RSRC2:SCRATCH_EN: 0
; COMPUTE_PGM_RSRC2:USER_SGPR: 2
; COMPUTE_PGM_RSRC2:TRAP_HANDLER: 0
; COMPUTE_PGM_RSRC2:TGID_X_EN: 1
; COMPUTE_PGM_RSRC2:TGID_Y_EN: 0
; COMPUTE_PGM_RSRC2:TGID_Z_EN: 1
; COMPUTE_PGM_RSRC2:TIDIG_COMP_CNT: 1
	.section	.text._ZL23rocblas_trmm_lTx_kernelILi16ELb0E19rocblas_complex_numIdES1_KS1_S1_Ev13rocblas_fill_17rocblas_diagonal_iiT2_lPT3_llS7_llPT4_lli,"axG",@progbits,_ZL23rocblas_trmm_lTx_kernelILi16ELb0E19rocblas_complex_numIdES1_KS1_S1_Ev13rocblas_fill_17rocblas_diagonal_iiT2_lPT3_llS7_llPT4_lli,comdat
	.globl	_ZL23rocblas_trmm_lTx_kernelILi16ELb0E19rocblas_complex_numIdES1_KS1_S1_Ev13rocblas_fill_17rocblas_diagonal_iiT2_lPT3_llS7_llPT4_lli ; -- Begin function _ZL23rocblas_trmm_lTx_kernelILi16ELb0E19rocblas_complex_numIdES1_KS1_S1_Ev13rocblas_fill_17rocblas_diagonal_iiT2_lPT3_llS7_llPT4_lli
	.p2align	8
	.type	_ZL23rocblas_trmm_lTx_kernelILi16ELb0E19rocblas_complex_numIdES1_KS1_S1_Ev13rocblas_fill_17rocblas_diagonal_iiT2_lPT3_llS7_llPT4_lli,@function
_ZL23rocblas_trmm_lTx_kernelILi16ELb0E19rocblas_complex_numIdES1_KS1_S1_Ev13rocblas_fill_17rocblas_diagonal_iiT2_lPT3_llS7_llPT4_lli: ; @_ZL23rocblas_trmm_lTx_kernelILi16ELb0E19rocblas_complex_numIdES1_KS1_S1_Ev13rocblas_fill_17rocblas_diagonal_iiT2_lPT3_llS7_llPT4_lli
; %bb.0:
	s_load_b32 s33, s[0:1], 0x70
	s_bfe_u32 s2, ttmp6, 0x40014
	s_lshr_b32 s3, ttmp7, 16
	s_add_co_i32 s2, s2, 1
	s_bfe_u32 s5, ttmp6, 0x40008
	s_mul_i32 s4, s3, s2
	s_getreg_b32 s2, hwreg(HW_REG_IB_STS2, 6, 4)
	s_add_co_i32 s5, s5, s4
	s_cmp_eq_u32 s2, 0
	s_mov_b32 s29, 0
	s_cselect_b32 s28, s3, s5
	s_wait_kmcnt 0x0
	s_cmp_ge_u32 s28, s33
	s_cbranch_scc1 .LBB135_19
; %bb.1:
	s_clause 0x1
	s_load_b256 s[20:27], s[0:1], 0x0
	s_load_b512 s[4:19], s[0:1], 0x28
	v_bfe_u32 v4, v0, 10, 10
	v_mov_b32_e32 v2, 0
	v_and_b32_e32 v3, 0x3ff, v0
	s_load_b64 s[30:31], s[0:1], 0x68
	s_wait_xcnt 0x0
	s_bfe_u32 s0, ttmp6, 0x4000c
	v_dual_mov_b32 v5, v2 :: v_dual_lshlrev_b32 v14, 4, v4
	v_lshlrev_b32_e32 v0, 4, v3
	s_add_co_i32 s0, s0, 1
	v_mov_b32_e32 v1, v2
	v_cmp_eq_u32_e32 vcc_lo, v4, v3
	v_cmp_gt_u32_e64 s1, v3, v4
	v_lshl_add_u32 v12, v4, 8, 0x1000
	v_add_lshl_u32 v13, v14, v3, 4
	v_lshl_add_u32 v14, v3, 8, v14
	s_delay_alu instid0(VALU_DEP_2)
	v_add_nc_u32_e32 v15, 0x1000, v13
	s_wait_kmcnt 0x0
	v_cmp_neq_f64_e64 s3, s[24:25], 0
	v_cmp_neq_f64_e64 s34, s[26:27], 0
	v_mul_u64_e32 v[6:7], s[6:7], v[4:5]
	v_mul_u64_e32 v[8:9], s[12:13], v[4:5]
	;; [unrolled: 1-line block ×3, first 2 shown]
	s_add_co_i32 s35, s23, -1
	s_and_b32 s6, ttmp6, 15
	s_mul_i32 s7, ttmp9, s0
	s_ashr_i32 s36, s35, 31
	s_add_co_i32 s7, s6, s7
	s_lshr_b32 s6, s36, 28
	v_cmp_lt_u32_e64 s0, v3, v4
	s_add_co_i32 s35, s35, s6
	s_delay_alu instid0(SALU_CYCLE_1)
	s_and_b32 s6, s35, -16
	s_ashr_i32 s35, s35, 4
	s_sub_co_i32 s23, s23, s6
	s_or_b32 s6, s3, s34
	s_cmp_eq_u32 s2, 0
	v_cmp_gt_i32_e64 s2, s22, v4
	s_cselect_b32 s7, ttmp9, s7
	v_cmp_gt_i32_e64 s3, s22, v3
	s_cmp_ge_i32 s7, s35
	v_lshl_add_u64 v[6:7], v[6:7], 4, s[4:5]
	s_cselect_b32 s5, s23, 16
	s_lshl_b32 s22, s7, 4
	s_and_b32 s4, s2, s3
	s_ashr_i32 s23, s22, 31
	v_cmp_gt_i32_e64 s2, s5, v4
	s_mul_u64 s[12:13], s[12:13], s[22:23]
	s_mul_u64 s[18:19], s[18:19], s[22:23]
	s_lshl_b64 s[12:13], s[12:13], 4
	s_lshl_b64 s[18:19], s[18:19], 4
	s_add_nc_u64 s[10:11], s[10:11], s[12:13]
	s_add_nc_u64 s[12:13], s[16:17], s[18:19]
	v_lshl_add_u64 v[4:5], v[8:9], 4, s[10:11]
	v_lshl_add_u64 v[10:11], v[10:11], 4, s[12:13]
	s_and_b32 s2, s3, s2
	s_cmp_eq_u32 s21, 0x84
	v_add_nc_u64_e32 v[6:7], v[6:7], v[0:1]
	s_cselect_b32 s3, -1, 0
	v_add_nc_u64_e32 v[8:9], v[4:5], v[0:1]
	v_add_nc_u64_e32 v[10:11], v[10:11], v[0:1]
	s_and_b32 s3, vcc_lo, s3
	v_mov_b32_e32 v3, 0x3ff00000
	s_cmp_lg_u32 s20, 0x7a
	s_cselect_b32 s5, -1, 0
	s_branch .LBB135_4
.LBB135_2:                              ;   in Loop: Header=BB135_4 Depth=1
	s_wait_xcnt 0x0
	s_or_b32 exec_lo, exec_lo, s7
.LBB135_3:                              ;   in Loop: Header=BB135_4 Depth=1
	s_add_co_i32 s28, s28, 0x10000
	s_delay_alu instid0(SALU_CYCLE_1)
	s_cmp_lt_u32 s28, s33
	s_cbranch_scc0 .LBB135_19
.LBB135_4:                              ; =>This Inner Loop Header: Depth=1
	s_and_not1_b32 vcc_lo, exec_lo, s6
	s_cbranch_vccnz .LBB135_3
; %bb.5:                                ;   in Loop: Header=BB135_4 Depth=1
	s_mov_b32 s16, s29
	s_mov_b32 s17, s29
	s_mov_b32 s18, s29
	s_mov_b32 s19, s29
	v_mov_b64_e32 v[16:17], s[16:17]
	v_mov_b64_e32 v[18:19], s[18:19]
	ds_store_b128 v13, v[16:19]
	ds_store_b128 v15, v[16:19]
	s_wait_dscnt 0x0
	s_barrier_signal -1
	s_barrier_wait -1
	s_and_saveexec_b32 s7, s4
	s_cbranch_execnz .LBB135_11
; %bb.6:                                ;   in Loop: Header=BB135_4 Depth=1
	s_or_b32 exec_lo, exec_lo, s7
	s_and_saveexec_b32 s7, s2
	s_cbranch_execnz .LBB135_12
.LBB135_7:                              ;   in Loop: Header=BB135_4 Depth=1
	s_or_b32 exec_lo, exec_lo, s7
	s_and_saveexec_b32 s7, s3
.LBB135_8:                              ;   in Loop: Header=BB135_4 Depth=1
	v_dual_mov_b32 v4, v2 :: v_dual_mov_b32 v5, v2
	ds_store_b128 v13, v[2:5]
.LBB135_9:                              ;   in Loop: Header=BB135_4 Depth=1
	s_or_b32 exec_lo, exec_lo, s7
	s_delay_alu instid0(SALU_CYCLE_1)
	s_and_b32 vcc_lo, exec_lo, s5
	s_wait_dscnt 0x0
	s_barrier_signal -1
	s_barrier_wait -1
	s_cbranch_vccz .LBB135_13
; %bb.10:                               ;   in Loop: Header=BB135_4 Depth=1
	s_and_b32 s7, s0, exec_lo
	s_cbranch_execz .LBB135_14
	s_branch .LBB135_15
.LBB135_11:                             ;   in Loop: Header=BB135_4 Depth=1
	s_mul_u64 s[10:11], s[8:9], s[28:29]
	s_delay_alu instid0(SALU_CYCLE_1)
	v_lshl_add_u64 v[4:5], s[10:11], 4, v[6:7]
	global_load_b128 v[16:19], v[4:5], off
	s_wait_loadcnt 0x0
	ds_store_2addr_b64 v14, v[16:17], v[18:19] offset1:1
	s_wait_xcnt 0x0
	s_or_b32 exec_lo, exec_lo, s7
	s_and_saveexec_b32 s7, s2
	s_cbranch_execz .LBB135_7
.LBB135_12:                             ;   in Loop: Header=BB135_4 Depth=1
	s_mul_u64 s[10:11], s[14:15], s[28:29]
	s_delay_alu instid0(SALU_CYCLE_1)
	v_lshl_add_u64 v[4:5], s[10:11], 4, v[8:9]
	global_load_b128 v[16:19], v[4:5], off
	s_wait_loadcnt 0x0
	ds_store_2addr_b64 v15, v[16:17], v[18:19] offset1:1
	s_wait_xcnt 0x0
	s_or_b32 exec_lo, exec_lo, s7
	s_and_saveexec_b32 s7, s3
	s_cbranch_execnz .LBB135_8
	s_branch .LBB135_9
.LBB135_13:                             ;   in Loop: Header=BB135_4 Depth=1
	s_mov_b32 s7, 0
.LBB135_14:                             ;   in Loop: Header=BB135_4 Depth=1
	s_delay_alu instid0(SALU_CYCLE_1) | instskip(SKIP_1) | instid1(SALU_CYCLE_1)
	s_and_not1_b32 s7, s7, exec_lo
	s_and_b32 s10, s1, exec_lo
	s_or_b32 s7, s7, s10
.LBB135_15:                             ;   in Loop: Header=BB135_4 Depth=1
	s_delay_alu instid0(SALU_CYCLE_1)
	s_and_saveexec_b32 s10, s7
; %bb.16:                               ;   in Loop: Header=BB135_4 Depth=1
	v_dual_mov_b32 v16, v2 :: v_dual_mov_b32 v17, v2
	v_dual_mov_b32 v18, v2 :: v_dual_mov_b32 v19, v2
	ds_store_b128 v13, v[16:19]
; %bb.17:                               ;   in Loop: Header=BB135_4 Depth=1
	s_or_b32 exec_lo, exec_lo, s10
	s_wait_dscnt 0x0
	s_barrier_signal -1
	s_barrier_wait -1
	s_and_saveexec_b32 s7, s2
	s_cbranch_execz .LBB135_2
; %bb.18:                               ;   in Loop: Header=BB135_4 Depth=1
	ds_load_b128 v[16:19], v0
	ds_load_b128 v[20:23], v12
	ds_load_b128 v[24:27], v12 offset:16
	ds_load_b128 v[28:31], v0 offset:256
	ds_load_b128 v[32:35], v0 offset:512
	ds_load_b128 v[36:39], v12 offset:32
	ds_load_b128 v[40:43], v12 offset:48
	ds_load_b128 v[44:47], v0 offset:768
	s_mul_u64 s[10:11], s[30:31], s[28:29]
	s_wait_dscnt 0x6
	v_mul_f64_e32 v[4:5], v[20:21], v[18:19]
	v_mul_f64_e32 v[18:19], v[22:23], v[18:19]
	s_wait_dscnt 0x4
	v_mul_f64_e32 v[48:49], v[24:25], v[30:31]
	s_wait_dscnt 0x2
	;; [unrolled: 2-line block ×3, first 2 shown]
	v_mul_f64_e32 v[52:53], v[40:41], v[46:47]
	v_mul_f64_e32 v[34:35], v[38:39], v[34:35]
	;; [unrolled: 1-line block ×3, first 2 shown]
	v_fmac_f64_e32 v[4:5], v[22:23], v[16:17]
	v_mul_f64_e32 v[22:23], v[26:27], v[30:31]
	v_fmac_f64_e32 v[48:49], v[26:27], v[28:29]
	v_fma_f64 v[16:17], v[20:21], v[16:17], -v[18:19]
	v_fmac_f64_e32 v[50:51], v[38:39], v[32:33]
	v_fmac_f64_e32 v[52:53], v[42:43], v[44:45]
	v_fma_f64 v[32:33], v[36:37], v[32:33], -v[34:35]
	v_add_f64_e32 v[4:5], 0, v[4:5]
	v_fma_f64 v[38:39], v[24:25], v[28:29], -v[22:23]
	v_add_f64_e32 v[54:55], 0, v[16:17]
	ds_load_b128 v[16:19], v0 offset:1024
	ds_load_b128 v[20:23], v12 offset:64
	ds_load_b128 v[24:27], v12 offset:80
	ds_load_b128 v[28:31], v0 offset:1280
	v_add_f64_e32 v[4:5], v[4:5], v[48:49]
	s_wait_dscnt 0x2
	v_mul_f64_e32 v[48:49], v[20:21], v[18:19]
	v_mul_f64_e32 v[18:19], v[22:23], v[18:19]
	v_add_f64_e32 v[34:35], v[54:55], v[38:39]
	s_delay_alu instid0(VALU_DEP_4)
	v_add_f64_e32 v[4:5], v[4:5], v[50:51]
	s_wait_dscnt 0x0
	v_mul_f64_e32 v[50:51], v[24:25], v[30:31]
	v_fmac_f64_e32 v[48:49], v[22:23], v[16:17]
	v_fma_f64 v[22:23], v[40:41], v[44:45], -v[46:47]
	v_add_f64_e32 v[54:55], v[34:35], v[32:33]
	ds_load_b128 v[32:35], v0 offset:1536
	ds_load_b128 v[36:39], v12 offset:96
	ds_load_b128 v[40:43], v12 offset:112
	ds_load_b128 v[44:47], v0 offset:1792
	v_mul_f64_e32 v[30:31], v[26:27], v[30:31]
	v_fma_f64 v[16:17], v[20:21], v[16:17], -v[18:19]
	v_add_f64_e32 v[4:5], v[4:5], v[52:53]
	s_wait_dscnt 0x2
	v_mul_f64_e32 v[52:53], v[36:37], v[34:35]
	v_fmac_f64_e32 v[50:51], v[26:27], v[28:29]
	v_mul_f64_e32 v[34:35], v[38:39], v[34:35]
	v_add_f64_e32 v[18:19], v[54:55], v[22:23]
	v_add_f64_e32 v[4:5], v[4:5], v[48:49]
	s_wait_dscnt 0x0
	v_mul_f64_e32 v[48:49], v[40:41], v[46:47]
	v_fmac_f64_e32 v[52:53], v[38:39], v[32:33]
	v_fma_f64 v[38:39], v[24:25], v[28:29], -v[30:31]
	v_add_f64_e32 v[54:55], v[18:19], v[16:17]
	ds_load_b128 v[16:19], v0 offset:2048
	ds_load_b128 v[20:23], v12 offset:128
	ds_load_b128 v[24:27], v12 offset:144
	ds_load_b128 v[28:31], v0 offset:2304
	v_mul_f64_e32 v[46:47], v[42:43], v[46:47]
	v_fma_f64 v[32:33], v[36:37], v[32:33], -v[34:35]
	v_add_f64_e32 v[4:5], v[4:5], v[50:51]
	s_wait_dscnt 0x2
	v_mul_f64_e32 v[50:51], v[20:21], v[18:19]
	v_fmac_f64_e32 v[48:49], v[42:43], v[44:45]
	v_mul_f64_e32 v[18:19], v[22:23], v[18:19]
	v_add_f64_e32 v[34:35], v[54:55], v[38:39]
	;; [unrolled: 18-line block ×4, first 2 shown]
	v_add_f64_e32 v[4:5], v[4:5], v[48:49]
	s_wait_dscnt 0x0
	v_mul_f64_e32 v[48:49], v[24:25], v[30:31]
	v_fmac_f64_e32 v[52:53], v[22:23], v[16:17]
	v_fma_f64 v[22:23], v[40:41], v[44:45], -v[46:47]
	v_add_f64_e32 v[54:55], v[34:35], v[32:33]
	ds_load_b128 v[32:35], v0 offset:3584
	ds_load_b128 v[36:39], v12 offset:224
	;; [unrolled: 1-line block ×4, first 2 shown]
	v_mul_f64_e32 v[30:31], v[26:27], v[30:31]
	v_fma_f64 v[16:17], v[20:21], v[16:17], -v[18:19]
	s_wait_dscnt 0x0
	v_mul_f64_e32 v[20:21], v[40:41], v[46:47]
	v_add_f64_e32 v[4:5], v[4:5], v[50:51]
	v_mul_f64_e32 v[50:51], v[36:37], v[34:35]
	v_fmac_f64_e32 v[48:49], v[26:27], v[28:29]
	v_add_f64_e32 v[18:19], v[54:55], v[22:23]
	v_mul_f64_e32 v[22:23], v[38:39], v[34:35]
	v_fma_f64 v[24:25], v[24:25], v[28:29], -v[30:31]
	v_fmac_f64_e32 v[20:21], v[42:43], v[44:45]
	v_add_f64_e32 v[4:5], v[4:5], v[52:53]
	v_fmac_f64_e32 v[50:51], v[38:39], v[32:33]
	v_add_f64_e32 v[16:17], v[18:19], v[16:17]
	v_mul_f64_e32 v[18:19], v[42:43], v[46:47]
	v_fma_f64 v[22:23], v[36:37], v[32:33], -v[22:23]
	v_add_f64_e32 v[4:5], v[4:5], v[48:49]
	s_delay_alu instid0(VALU_DEP_4) | instskip(NEXT) | instid1(VALU_DEP_4)
	v_add_f64_e32 v[16:17], v[16:17], v[24:25]
	v_fma_f64 v[18:19], v[40:41], v[44:45], -v[18:19]
	s_delay_alu instid0(VALU_DEP_3) | instskip(NEXT) | instid1(VALU_DEP_3)
	v_add_f64_e32 v[4:5], v[4:5], v[50:51]
	v_add_f64_e32 v[16:17], v[16:17], v[22:23]
	s_delay_alu instid0(VALU_DEP_2) | instskip(NEXT) | instid1(VALU_DEP_2)
	v_add_f64_e32 v[4:5], v[4:5], v[20:21]
	v_add_f64_e32 v[16:17], v[16:17], v[18:19]
	s_delay_alu instid0(VALU_DEP_2) | instskip(SKIP_1) | instid1(VALU_DEP_2)
	v_mul_f64_e32 v[18:19], s[24:25], v[4:5]
	v_mul_f64_e32 v[4:5], s[26:27], v[4:5]
	v_fmac_f64_e32 v[18:19], s[26:27], v[16:17]
	s_delay_alu instid0(VALU_DEP_2)
	v_fma_f64 v[16:17], s[24:25], v[16:17], -v[4:5]
	v_lshl_add_u64 v[4:5], s[10:11], 4, v[10:11]
	global_store_b128 v[4:5], v[16:19], off
	s_branch .LBB135_2
.LBB135_19:
	s_endpgm
	.section	.rodata,"a",@progbits
	.p2align	6, 0x0
	.amdhsa_kernel _ZL23rocblas_trmm_lTx_kernelILi16ELb0E19rocblas_complex_numIdES1_KS1_S1_Ev13rocblas_fill_17rocblas_diagonal_iiT2_lPT3_llS7_llPT4_lli
		.amdhsa_group_segment_fixed_size 8192
		.amdhsa_private_segment_fixed_size 0
		.amdhsa_kernarg_size 116
		.amdhsa_user_sgpr_count 2
		.amdhsa_user_sgpr_dispatch_ptr 0
		.amdhsa_user_sgpr_queue_ptr 0
		.amdhsa_user_sgpr_kernarg_segment_ptr 1
		.amdhsa_user_sgpr_dispatch_id 0
		.amdhsa_user_sgpr_kernarg_preload_length 0
		.amdhsa_user_sgpr_kernarg_preload_offset 0
		.amdhsa_user_sgpr_private_segment_size 0
		.amdhsa_wavefront_size32 1
		.amdhsa_uses_dynamic_stack 0
		.amdhsa_enable_private_segment 0
		.amdhsa_system_sgpr_workgroup_id_x 1
		.amdhsa_system_sgpr_workgroup_id_y 0
		.amdhsa_system_sgpr_workgroup_id_z 1
		.amdhsa_system_sgpr_workgroup_info 0
		.amdhsa_system_vgpr_workitem_id 1
		.amdhsa_next_free_vgpr 56
		.amdhsa_next_free_sgpr 37
		.amdhsa_named_barrier_count 0
		.amdhsa_reserve_vcc 1
		.amdhsa_float_round_mode_32 0
		.amdhsa_float_round_mode_16_64 0
		.amdhsa_float_denorm_mode_32 3
		.amdhsa_float_denorm_mode_16_64 3
		.amdhsa_fp16_overflow 0
		.amdhsa_memory_ordered 1
		.amdhsa_forward_progress 1
		.amdhsa_inst_pref_size 13
		.amdhsa_round_robin_scheduling 0
		.amdhsa_exception_fp_ieee_invalid_op 0
		.amdhsa_exception_fp_denorm_src 0
		.amdhsa_exception_fp_ieee_div_zero 0
		.amdhsa_exception_fp_ieee_overflow 0
		.amdhsa_exception_fp_ieee_underflow 0
		.amdhsa_exception_fp_ieee_inexact 0
		.amdhsa_exception_int_div_zero 0
	.end_amdhsa_kernel
	.section	.text._ZL23rocblas_trmm_lTx_kernelILi16ELb0E19rocblas_complex_numIdES1_KS1_S1_Ev13rocblas_fill_17rocblas_diagonal_iiT2_lPT3_llS7_llPT4_lli,"axG",@progbits,_ZL23rocblas_trmm_lTx_kernelILi16ELb0E19rocblas_complex_numIdES1_KS1_S1_Ev13rocblas_fill_17rocblas_diagonal_iiT2_lPT3_llS7_llPT4_lli,comdat
.Lfunc_end135:
	.size	_ZL23rocblas_trmm_lTx_kernelILi16ELb0E19rocblas_complex_numIdES1_KS1_S1_Ev13rocblas_fill_17rocblas_diagonal_iiT2_lPT3_llS7_llPT4_lli, .Lfunc_end135-_ZL23rocblas_trmm_lTx_kernelILi16ELb0E19rocblas_complex_numIdES1_KS1_S1_Ev13rocblas_fill_17rocblas_diagonal_iiT2_lPT3_llS7_llPT4_lli
                                        ; -- End function
	.set _ZL23rocblas_trmm_lTx_kernelILi16ELb0E19rocblas_complex_numIdES1_KS1_S1_Ev13rocblas_fill_17rocblas_diagonal_iiT2_lPT3_llS7_llPT4_lli.num_vgpr, 56
	.set _ZL23rocblas_trmm_lTx_kernelILi16ELb0E19rocblas_complex_numIdES1_KS1_S1_Ev13rocblas_fill_17rocblas_diagonal_iiT2_lPT3_llS7_llPT4_lli.num_agpr, 0
	.set _ZL23rocblas_trmm_lTx_kernelILi16ELb0E19rocblas_complex_numIdES1_KS1_S1_Ev13rocblas_fill_17rocblas_diagonal_iiT2_lPT3_llS7_llPT4_lli.numbered_sgpr, 37
	.set _ZL23rocblas_trmm_lTx_kernelILi16ELb0E19rocblas_complex_numIdES1_KS1_S1_Ev13rocblas_fill_17rocblas_diagonal_iiT2_lPT3_llS7_llPT4_lli.num_named_barrier, 0
	.set _ZL23rocblas_trmm_lTx_kernelILi16ELb0E19rocblas_complex_numIdES1_KS1_S1_Ev13rocblas_fill_17rocblas_diagonal_iiT2_lPT3_llS7_llPT4_lli.private_seg_size, 0
	.set _ZL23rocblas_trmm_lTx_kernelILi16ELb0E19rocblas_complex_numIdES1_KS1_S1_Ev13rocblas_fill_17rocblas_diagonal_iiT2_lPT3_llS7_llPT4_lli.uses_vcc, 1
	.set _ZL23rocblas_trmm_lTx_kernelILi16ELb0E19rocblas_complex_numIdES1_KS1_S1_Ev13rocblas_fill_17rocblas_diagonal_iiT2_lPT3_llS7_llPT4_lli.uses_flat_scratch, 0
	.set _ZL23rocblas_trmm_lTx_kernelILi16ELb0E19rocblas_complex_numIdES1_KS1_S1_Ev13rocblas_fill_17rocblas_diagonal_iiT2_lPT3_llS7_llPT4_lli.has_dyn_sized_stack, 0
	.set _ZL23rocblas_trmm_lTx_kernelILi16ELb0E19rocblas_complex_numIdES1_KS1_S1_Ev13rocblas_fill_17rocblas_diagonal_iiT2_lPT3_llS7_llPT4_lli.has_recursion, 0
	.set _ZL23rocblas_trmm_lTx_kernelILi16ELb0E19rocblas_complex_numIdES1_KS1_S1_Ev13rocblas_fill_17rocblas_diagonal_iiT2_lPT3_llS7_llPT4_lli.has_indirect_call, 0
	.section	.AMDGPU.csdata,"",@progbits
; Kernel info:
; codeLenInByte = 1648
; TotalNumSgprs: 39
; NumVgprs: 56
; ScratchSize: 0
; MemoryBound: 0
; FloatMode: 240
; IeeeMode: 1
; LDSByteSize: 8192 bytes/workgroup (compile time only)
; SGPRBlocks: 0
; VGPRBlocks: 3
; NumSGPRsForWavesPerEU: 39
; NumVGPRsForWavesPerEU: 56
; NamedBarCnt: 0
; Occupancy: 16
; WaveLimiterHint : 1
; COMPUTE_PGM_RSRC2:SCRATCH_EN: 0
; COMPUTE_PGM_RSRC2:USER_SGPR: 2
; COMPUTE_PGM_RSRC2:TRAP_HANDLER: 0
; COMPUTE_PGM_RSRC2:TGID_X_EN: 1
; COMPUTE_PGM_RSRC2:TGID_Y_EN: 0
; COMPUTE_PGM_RSRC2:TGID_Z_EN: 1
; COMPUTE_PGM_RSRC2:TIDIG_COMP_CNT: 1
	.section	.text._ZL23rocblas_trmm_lTx_kernelILi16ELb1E19rocblas_complex_numIdEPKS1_S2_S1_Ev13rocblas_fill_17rocblas_diagonal_iiT2_lPT3_llS8_llPT4_lli,"axG",@progbits,_ZL23rocblas_trmm_lTx_kernelILi16ELb1E19rocblas_complex_numIdEPKS1_S2_S1_Ev13rocblas_fill_17rocblas_diagonal_iiT2_lPT3_llS8_llPT4_lli,comdat
	.globl	_ZL23rocblas_trmm_lTx_kernelILi16ELb1E19rocblas_complex_numIdEPKS1_S2_S1_Ev13rocblas_fill_17rocblas_diagonal_iiT2_lPT3_llS8_llPT4_lli ; -- Begin function _ZL23rocblas_trmm_lTx_kernelILi16ELb1E19rocblas_complex_numIdEPKS1_S2_S1_Ev13rocblas_fill_17rocblas_diagonal_iiT2_lPT3_llS8_llPT4_lli
	.p2align	8
	.type	_ZL23rocblas_trmm_lTx_kernelILi16ELb1E19rocblas_complex_numIdEPKS1_S2_S1_Ev13rocblas_fill_17rocblas_diagonal_iiT2_lPT3_llS8_llPT4_lli,@function
_ZL23rocblas_trmm_lTx_kernelILi16ELb1E19rocblas_complex_numIdEPKS1_S2_S1_Ev13rocblas_fill_17rocblas_diagonal_iiT2_lPT3_llS8_llPT4_lli: ; @_ZL23rocblas_trmm_lTx_kernelILi16ELb1E19rocblas_complex_numIdEPKS1_S2_S1_Ev13rocblas_fill_17rocblas_diagonal_iiT2_lPT3_llS8_llPT4_lli
; %bb.0:
	s_load_b32 s33, s[0:1], 0x68
	s_bfe_u32 s2, ttmp6, 0x40014
	s_lshr_b32 s3, ttmp7, 16
	s_add_co_i32 s2, s2, 1
	s_bfe_u32 s5, ttmp6, 0x40008
	s_mul_i32 s4, s3, s2
	s_getreg_b32 s2, hwreg(HW_REG_IB_STS2, 6, 4)
	s_add_co_i32 s5, s5, s4
	s_cmp_eq_u32 s2, 0
	s_mov_b32 s29, 0
	s_cselect_b32 s28, s3, s5
	s_wait_kmcnt 0x0
	s_cmp_ge_u32 s28, s33
	s_cbranch_scc1 .LBB136_19
; %bb.1:
	s_clause 0x3
	s_load_b128 s[20:23], s[0:1], 0x0
	s_load_b512 s[4:19], s[0:1], 0x10
	s_load_b128 s[24:27], s[0:1], 0x50
	s_load_b64 s[30:31], s[0:1], 0x60
	v_bfe_u32 v2, v0, 10, 10
	v_and_b32_e32 v1, 0x3ff, v0
	v_mov_b32_e32 v0, 0
	s_wait_xcnt 0x0
	s_bfe_u32 s0, ttmp6, 0x4000c
	s_and_b32 s3, ttmp6, 15
	v_dual_lshlrev_b32 v19, 4, v2 :: v_dual_lshlrev_b32 v8, 4, v1
	v_mov_b32_e32 v3, v0
	s_add_co_i32 s0, s0, 1
	v_dual_mov_b32 v9, v0 :: v_dual_lshlrev_b32 v20, 8, v1
	s_mul_i32 s34, ttmp9, s0
	v_cmp_eq_u32_e32 vcc_lo, v2, v1
	s_add_co_i32 s3, s3, s34
	v_cmp_lt_u32_e64 s0, v1, v2
	v_cmp_gt_u32_e64 s1, v1, v2
	s_wait_kmcnt 0x0
	s_add_co_i32 s35, s23, -1
	v_mul_u64_e32 v[4:5], s[10:11], v[2:3]
	v_mul_u64_e32 v[6:7], s[16:17], v[2:3]
	v_mul_u64_e32 v[10:11], s[26:27], v[2:3]
	s_ashr_i32 s10, s35, 31
	v_lshl_add_u32 v16, v2, 8, 0x1000
	s_lshr_b32 s10, s10, 28
	v_add_lshl_u32 v17, v19, v1, 4
	s_add_co_i32 s35, s35, s10
	s_delay_alu instid0(SALU_CYCLE_1)
	s_and_b32 s10, s35, -16
	s_ashr_i32 s11, s35, 4
	s_sub_co_i32 s10, s23, s10
	s_cmp_eq_u32 s2, 0
	v_cmp_gt_i32_e64 s2, s22, v2
	s_cselect_b32 s23, ttmp9, s3
	v_cmp_gt_i32_e64 s3, s22, v1
	s_cmp_ge_i32 s23, s11
	v_add_nc_u32_e32 v18, 0x1000, v17
	s_cselect_b32 s11, s10, 16
	s_lshl_b32 s22, s23, 4
	s_and_b32 s10, s2, s3
	s_ashr_i32 s23, s22, 31
	v_cmp_gt_i32_e64 s2, s11, v2
	s_mul_u64 s[16:17], s[16:17], s[22:23]
	s_mul_u64 s[22:23], s[26:27], s[22:23]
	s_lshl_b64 s[16:17], s[16:17], 4
	s_lshl_b64 s[22:23], s[22:23], 4
	s_add_nc_u64 s[14:15], s[14:15], s[16:17]
	s_add_nc_u64 s[16:17], s[24:25], s[22:23]
	s_and_b32 s3, s3, s2
	s_cmp_eq_u32 s21, 0x84
	v_mov_b32_e32 v1, 0x3ff00000
	v_lshl_add_u64 v[2:3], v[4:5], 4, s[8:9]
	v_lshl_add_u64 v[4:5], v[6:7], 4, s[14:15]
	;; [unrolled: 1-line block ×3, first 2 shown]
	s_cselect_b32 s2, -1, 0
	s_delay_alu instid0(SALU_CYCLE_1)
	s_and_b32 s8, vcc_lo, s2
	v_add_nc_u64_e32 v[10:11], v[2:3], v[8:9]
	v_add_nc_u64_e32 v[12:13], v[4:5], v[8:9]
	;; [unrolled: 1-line block ×3, first 2 shown]
	v_add_nc_u32_e32 v9, v19, v20
	s_cmp_lg_u32 s20, 0x7a
	s_cselect_b32 s9, -1, 0
	s_branch .LBB136_4
.LBB136_2:                              ;   in Loop: Header=BB136_4 Depth=1
	s_wait_xcnt 0x0
	s_or_b32 exec_lo, exec_lo, s2
.LBB136_3:                              ;   in Loop: Header=BB136_4 Depth=1
	s_add_co_i32 s28, s28, 0x10000
	s_delay_alu instid0(SALU_CYCLE_1)
	s_cmp_lt_u32 s28, s33
	s_cbranch_scc0 .LBB136_19
.LBB136_4:                              ; =>This Inner Loop Header: Depth=1
	s_wait_xcnt 0x0
	s_mul_u64 s[14:15], s[6:7], s[28:29]
	s_delay_alu instid0(SALU_CYCLE_1) | instskip(NEXT) | instid1(SALU_CYCLE_1)
	s_lshl_b64 s[14:15], s[14:15], 4
	s_add_nc_u64 s[14:15], s[4:5], s[14:15]
	global_load_b128 v[4:7], v0, s[14:15]
	s_wait_loadcnt 0x0
	v_cmp_neq_f64_e32 vcc_lo, 0, v[4:5]
	v_cmp_neq_f64_e64 s2, 0, v[6:7]
	s_or_b32 s2, vcc_lo, s2
	s_delay_alu instid0(SALU_CYCLE_1)
	s_and_not1_b32 vcc_lo, exec_lo, s2
	s_cbranch_vccnz .LBB136_3
; %bb.5:                                ;   in Loop: Header=BB136_4 Depth=1
	s_mov_b32 s20, s29
	s_mov_b32 s21, s29
	;; [unrolled: 1-line block ×4, first 2 shown]
	v_mov_b64_e32 v[20:21], s[20:21]
	v_mov_b64_e32 v[22:23], s[22:23]
	ds_store_b128 v17, v[20:23]
	ds_store_b128 v18, v[20:23]
	s_wait_dscnt 0x0
	s_barrier_signal -1
	s_barrier_wait -1
	s_wait_xcnt 0x0
	s_and_saveexec_b32 s2, s10
	s_cbranch_execnz .LBB136_11
; %bb.6:                                ;   in Loop: Header=BB136_4 Depth=1
	s_or_b32 exec_lo, exec_lo, s2
	s_and_saveexec_b32 s2, s3
	s_cbranch_execnz .LBB136_12
.LBB136_7:                              ;   in Loop: Header=BB136_4 Depth=1
	s_or_b32 exec_lo, exec_lo, s2
	s_and_saveexec_b32 s2, s8
.LBB136_8:                              ;   in Loop: Header=BB136_4 Depth=1
	v_dual_mov_b32 v2, v0 :: v_dual_mov_b32 v3, v0
	ds_store_b128 v17, v[0:3]
.LBB136_9:                              ;   in Loop: Header=BB136_4 Depth=1
	s_or_b32 exec_lo, exec_lo, s2
	s_delay_alu instid0(SALU_CYCLE_1)
	s_and_b32 vcc_lo, exec_lo, s9
	s_wait_dscnt 0x0
	s_barrier_signal -1
	s_barrier_wait -1
	s_cbranch_vccz .LBB136_13
; %bb.10:                               ;   in Loop: Header=BB136_4 Depth=1
	s_and_b32 s2, s0, exec_lo
	s_cbranch_execz .LBB136_14
	s_branch .LBB136_15
.LBB136_11:                             ;   in Loop: Header=BB136_4 Depth=1
	s_mul_u64 s[14:15], s[12:13], s[28:29]
	s_delay_alu instid0(SALU_CYCLE_1)
	v_lshl_add_u64 v[2:3], s[14:15], 4, v[10:11]
	global_load_b128 v[20:23], v[2:3], off
	s_wait_loadcnt 0x0
	v_xor_b32_e32 v23, 0x80000000, v23
	ds_store_b128 v9, v[20:23]
	s_wait_xcnt 0x0
	s_or_b32 exec_lo, exec_lo, s2
	s_and_saveexec_b32 s2, s3
	s_cbranch_execz .LBB136_7
.LBB136_12:                             ;   in Loop: Header=BB136_4 Depth=1
	s_mul_u64 s[14:15], s[18:19], s[28:29]
	s_delay_alu instid0(SALU_CYCLE_1)
	v_lshl_add_u64 v[2:3], s[14:15], 4, v[12:13]
	global_load_b128 v[20:23], v[2:3], off
	s_wait_loadcnt 0x0
	ds_store_2addr_b64 v18, v[20:21], v[22:23] offset1:1
	s_wait_xcnt 0x0
	s_or_b32 exec_lo, exec_lo, s2
	s_and_saveexec_b32 s2, s8
	s_cbranch_execnz .LBB136_8
	s_branch .LBB136_9
.LBB136_13:                             ;   in Loop: Header=BB136_4 Depth=1
	s_mov_b32 s2, 0
.LBB136_14:                             ;   in Loop: Header=BB136_4 Depth=1
	s_delay_alu instid0(SALU_CYCLE_1) | instskip(SKIP_1) | instid1(SALU_CYCLE_1)
	s_and_not1_b32 s2, s2, exec_lo
	s_and_b32 s11, s1, exec_lo
	s_or_b32 s2, s2, s11
.LBB136_15:                             ;   in Loop: Header=BB136_4 Depth=1
	s_delay_alu instid0(SALU_CYCLE_1)
	s_and_saveexec_b32 s11, s2
; %bb.16:                               ;   in Loop: Header=BB136_4 Depth=1
	v_dual_mov_b32 v20, v0 :: v_dual_mov_b32 v21, v0
	v_dual_mov_b32 v22, v0 :: v_dual_mov_b32 v23, v0
	ds_store_b128 v17, v[20:23]
; %bb.17:                               ;   in Loop: Header=BB136_4 Depth=1
	s_or_b32 exec_lo, exec_lo, s11
	s_wait_dscnt 0x0
	s_barrier_signal -1
	s_barrier_wait -1
	s_and_saveexec_b32 s2, s3
	s_cbranch_execz .LBB136_2
; %bb.18:                               ;   in Loop: Header=BB136_4 Depth=1
	ds_load_b128 v[20:23], v8
	ds_load_b128 v[24:27], v16
	ds_load_b128 v[28:31], v16 offset:16
	ds_load_b128 v[32:35], v8 offset:256
	;; [unrolled: 1-line block ×6, first 2 shown]
	s_mul_u64 s[14:15], s[30:31], s[28:29]
	s_wait_dscnt 0x6
	v_mul_f64_e32 v[2:3], v[24:25], v[22:23]
	v_mul_f64_e32 v[22:23], v[26:27], v[22:23]
	s_wait_dscnt 0x4
	v_mul_f64_e32 v[52:53], v[28:29], v[34:35]
	s_wait_dscnt 0x2
	;; [unrolled: 2-line block ×3, first 2 shown]
	v_mul_f64_e32 v[56:57], v[44:45], v[50:51]
	v_mul_f64_e32 v[38:39], v[42:43], v[38:39]
	;; [unrolled: 1-line block ×3, first 2 shown]
	v_fmac_f64_e32 v[2:3], v[26:27], v[20:21]
	v_mul_f64_e32 v[26:27], v[30:31], v[34:35]
	v_fmac_f64_e32 v[52:53], v[30:31], v[32:33]
	v_fma_f64 v[20:21], v[24:25], v[20:21], -v[22:23]
	v_fmac_f64_e32 v[54:55], v[42:43], v[36:37]
	v_fmac_f64_e32 v[56:57], v[46:47], v[48:49]
	v_fma_f64 v[36:37], v[40:41], v[36:37], -v[38:39]
	v_add_f64_e32 v[2:3], 0, v[2:3]
	v_fma_f64 v[42:43], v[28:29], v[32:33], -v[26:27]
	v_add_f64_e32 v[58:59], 0, v[20:21]
	ds_load_b128 v[20:23], v8 offset:1024
	ds_load_b128 v[24:27], v16 offset:64
	;; [unrolled: 1-line block ×4, first 2 shown]
	v_add_f64_e32 v[2:3], v[2:3], v[52:53]
	s_wait_dscnt 0x2
	v_mul_f64_e32 v[52:53], v[24:25], v[22:23]
	v_mul_f64_e32 v[22:23], v[26:27], v[22:23]
	v_add_f64_e32 v[38:39], v[58:59], v[42:43]
	s_delay_alu instid0(VALU_DEP_4)
	v_add_f64_e32 v[2:3], v[2:3], v[54:55]
	s_wait_dscnt 0x0
	v_mul_f64_e32 v[54:55], v[28:29], v[34:35]
	v_fmac_f64_e32 v[52:53], v[26:27], v[20:21]
	v_fma_f64 v[26:27], v[44:45], v[48:49], -v[50:51]
	v_add_f64_e32 v[58:59], v[38:39], v[36:37]
	ds_load_b128 v[36:39], v8 offset:1536
	ds_load_b128 v[40:43], v16 offset:96
	ds_load_b128 v[44:47], v16 offset:112
	ds_load_b128 v[48:51], v8 offset:1792
	v_mul_f64_e32 v[34:35], v[30:31], v[34:35]
	v_fma_f64 v[20:21], v[24:25], v[20:21], -v[22:23]
	v_add_f64_e32 v[2:3], v[2:3], v[56:57]
	s_wait_dscnt 0x2
	v_mul_f64_e32 v[56:57], v[40:41], v[38:39]
	v_fmac_f64_e32 v[54:55], v[30:31], v[32:33]
	v_mul_f64_e32 v[38:39], v[42:43], v[38:39]
	v_add_f64_e32 v[22:23], v[58:59], v[26:27]
	v_add_f64_e32 v[2:3], v[2:3], v[52:53]
	s_wait_dscnt 0x0
	v_mul_f64_e32 v[52:53], v[44:45], v[50:51]
	v_fmac_f64_e32 v[56:57], v[42:43], v[36:37]
	v_fma_f64 v[42:43], v[28:29], v[32:33], -v[34:35]
	v_add_f64_e32 v[58:59], v[22:23], v[20:21]
	ds_load_b128 v[20:23], v8 offset:2048
	ds_load_b128 v[24:27], v16 offset:128
	ds_load_b128 v[28:31], v16 offset:144
	ds_load_b128 v[32:35], v8 offset:2304
	v_mul_f64_e32 v[50:51], v[46:47], v[50:51]
	v_fma_f64 v[36:37], v[40:41], v[36:37], -v[38:39]
	v_add_f64_e32 v[2:3], v[2:3], v[54:55]
	s_wait_dscnt 0x2
	v_mul_f64_e32 v[54:55], v[24:25], v[22:23]
	v_fmac_f64_e32 v[52:53], v[46:47], v[48:49]
	v_mul_f64_e32 v[22:23], v[26:27], v[22:23]
	v_add_f64_e32 v[38:39], v[58:59], v[42:43]
	;; [unrolled: 18-line block ×4, first 2 shown]
	v_add_f64_e32 v[2:3], v[2:3], v[52:53]
	s_wait_dscnt 0x0
	v_mul_f64_e32 v[52:53], v[28:29], v[34:35]
	v_fmac_f64_e32 v[56:57], v[26:27], v[20:21]
	v_fma_f64 v[26:27], v[44:45], v[48:49], -v[50:51]
	v_add_f64_e32 v[58:59], v[38:39], v[36:37]
	ds_load_b128 v[36:39], v8 offset:3584
	ds_load_b128 v[40:43], v16 offset:224
	;; [unrolled: 1-line block ×4, first 2 shown]
	v_mul_f64_e32 v[34:35], v[30:31], v[34:35]
	v_fma_f64 v[20:21], v[24:25], v[20:21], -v[22:23]
	s_wait_dscnt 0x0
	v_mul_f64_e32 v[24:25], v[44:45], v[50:51]
	v_add_f64_e32 v[2:3], v[2:3], v[54:55]
	v_mul_f64_e32 v[54:55], v[40:41], v[38:39]
	v_fmac_f64_e32 v[52:53], v[30:31], v[32:33]
	v_add_f64_e32 v[22:23], v[58:59], v[26:27]
	v_mul_f64_e32 v[26:27], v[42:43], v[38:39]
	v_fma_f64 v[28:29], v[28:29], v[32:33], -v[34:35]
	v_fmac_f64_e32 v[24:25], v[46:47], v[48:49]
	v_add_f64_e32 v[2:3], v[2:3], v[56:57]
	v_fmac_f64_e32 v[54:55], v[42:43], v[36:37]
	v_add_f64_e32 v[20:21], v[22:23], v[20:21]
	v_mul_f64_e32 v[22:23], v[46:47], v[50:51]
	v_fma_f64 v[26:27], v[40:41], v[36:37], -v[26:27]
	v_add_f64_e32 v[2:3], v[2:3], v[52:53]
	s_delay_alu instid0(VALU_DEP_4) | instskip(NEXT) | instid1(VALU_DEP_4)
	v_add_f64_e32 v[20:21], v[20:21], v[28:29]
	v_fma_f64 v[22:23], v[44:45], v[48:49], -v[22:23]
	s_delay_alu instid0(VALU_DEP_3) | instskip(NEXT) | instid1(VALU_DEP_3)
	v_add_f64_e32 v[2:3], v[2:3], v[54:55]
	v_add_f64_e32 v[20:21], v[20:21], v[26:27]
	s_delay_alu instid0(VALU_DEP_2) | instskip(NEXT) | instid1(VALU_DEP_2)
	v_add_f64_e32 v[2:3], v[2:3], v[24:25]
	v_add_f64_e32 v[20:21], v[20:21], v[22:23]
	s_delay_alu instid0(VALU_DEP_2) | instskip(SKIP_1) | instid1(VALU_DEP_2)
	v_mul_f64_e32 v[22:23], v[4:5], v[2:3]
	v_mul_f64_e32 v[2:3], v[6:7], v[2:3]
	v_fmac_f64_e32 v[22:23], v[6:7], v[20:21]
	s_delay_alu instid0(VALU_DEP_2)
	v_fma_f64 v[20:21], v[4:5], v[20:21], -v[2:3]
	v_lshl_add_u64 v[2:3], s[14:15], 4, v[14:15]
	global_store_b128 v[2:3], v[20:23], off
	s_branch .LBB136_2
.LBB136_19:
	s_endpgm
	.section	.rodata,"a",@progbits
	.p2align	6, 0x0
	.amdhsa_kernel _ZL23rocblas_trmm_lTx_kernelILi16ELb1E19rocblas_complex_numIdEPKS1_S2_S1_Ev13rocblas_fill_17rocblas_diagonal_iiT2_lPT3_llS8_llPT4_lli
		.amdhsa_group_segment_fixed_size 8192
		.amdhsa_private_segment_fixed_size 0
		.amdhsa_kernarg_size 108
		.amdhsa_user_sgpr_count 2
		.amdhsa_user_sgpr_dispatch_ptr 0
		.amdhsa_user_sgpr_queue_ptr 0
		.amdhsa_user_sgpr_kernarg_segment_ptr 1
		.amdhsa_user_sgpr_dispatch_id 0
		.amdhsa_user_sgpr_kernarg_preload_length 0
		.amdhsa_user_sgpr_kernarg_preload_offset 0
		.amdhsa_user_sgpr_private_segment_size 0
		.amdhsa_wavefront_size32 1
		.amdhsa_uses_dynamic_stack 0
		.amdhsa_enable_private_segment 0
		.amdhsa_system_sgpr_workgroup_id_x 1
		.amdhsa_system_sgpr_workgroup_id_y 0
		.amdhsa_system_sgpr_workgroup_id_z 1
		.amdhsa_system_sgpr_workgroup_info 0
		.amdhsa_system_vgpr_workitem_id 1
		.amdhsa_next_free_vgpr 60
		.amdhsa_next_free_sgpr 36
		.amdhsa_named_barrier_count 0
		.amdhsa_reserve_vcc 1
		.amdhsa_float_round_mode_32 0
		.amdhsa_float_round_mode_16_64 0
		.amdhsa_float_denorm_mode_32 3
		.amdhsa_float_denorm_mode_16_64 3
		.amdhsa_fp16_overflow 0
		.amdhsa_memory_ordered 1
		.amdhsa_forward_progress 1
		.amdhsa_inst_pref_size 14
		.amdhsa_round_robin_scheduling 0
		.amdhsa_exception_fp_ieee_invalid_op 0
		.amdhsa_exception_fp_denorm_src 0
		.amdhsa_exception_fp_ieee_div_zero 0
		.amdhsa_exception_fp_ieee_overflow 0
		.amdhsa_exception_fp_ieee_underflow 0
		.amdhsa_exception_fp_ieee_inexact 0
		.amdhsa_exception_int_div_zero 0
	.end_amdhsa_kernel
	.section	.text._ZL23rocblas_trmm_lTx_kernelILi16ELb1E19rocblas_complex_numIdEPKS1_S2_S1_Ev13rocblas_fill_17rocblas_diagonal_iiT2_lPT3_llS8_llPT4_lli,"axG",@progbits,_ZL23rocblas_trmm_lTx_kernelILi16ELb1E19rocblas_complex_numIdEPKS1_S2_S1_Ev13rocblas_fill_17rocblas_diagonal_iiT2_lPT3_llS8_llPT4_lli,comdat
.Lfunc_end136:
	.size	_ZL23rocblas_trmm_lTx_kernelILi16ELb1E19rocblas_complex_numIdEPKS1_S2_S1_Ev13rocblas_fill_17rocblas_diagonal_iiT2_lPT3_llS8_llPT4_lli, .Lfunc_end136-_ZL23rocblas_trmm_lTx_kernelILi16ELb1E19rocblas_complex_numIdEPKS1_S2_S1_Ev13rocblas_fill_17rocblas_diagonal_iiT2_lPT3_llS8_llPT4_lli
                                        ; -- End function
	.set _ZL23rocblas_trmm_lTx_kernelILi16ELb1E19rocblas_complex_numIdEPKS1_S2_S1_Ev13rocblas_fill_17rocblas_diagonal_iiT2_lPT3_llS8_llPT4_lli.num_vgpr, 60
	.set _ZL23rocblas_trmm_lTx_kernelILi16ELb1E19rocblas_complex_numIdEPKS1_S2_S1_Ev13rocblas_fill_17rocblas_diagonal_iiT2_lPT3_llS8_llPT4_lli.num_agpr, 0
	.set _ZL23rocblas_trmm_lTx_kernelILi16ELb1E19rocblas_complex_numIdEPKS1_S2_S1_Ev13rocblas_fill_17rocblas_diagonal_iiT2_lPT3_llS8_llPT4_lli.numbered_sgpr, 36
	.set _ZL23rocblas_trmm_lTx_kernelILi16ELb1E19rocblas_complex_numIdEPKS1_S2_S1_Ev13rocblas_fill_17rocblas_diagonal_iiT2_lPT3_llS8_llPT4_lli.num_named_barrier, 0
	.set _ZL23rocblas_trmm_lTx_kernelILi16ELb1E19rocblas_complex_numIdEPKS1_S2_S1_Ev13rocblas_fill_17rocblas_diagonal_iiT2_lPT3_llS8_llPT4_lli.private_seg_size, 0
	.set _ZL23rocblas_trmm_lTx_kernelILi16ELb1E19rocblas_complex_numIdEPKS1_S2_S1_Ev13rocblas_fill_17rocblas_diagonal_iiT2_lPT3_llS8_llPT4_lli.uses_vcc, 1
	.set _ZL23rocblas_trmm_lTx_kernelILi16ELb1E19rocblas_complex_numIdEPKS1_S2_S1_Ev13rocblas_fill_17rocblas_diagonal_iiT2_lPT3_llS8_llPT4_lli.uses_flat_scratch, 0
	.set _ZL23rocblas_trmm_lTx_kernelILi16ELb1E19rocblas_complex_numIdEPKS1_S2_S1_Ev13rocblas_fill_17rocblas_diagonal_iiT2_lPT3_llS8_llPT4_lli.has_dyn_sized_stack, 0
	.set _ZL23rocblas_trmm_lTx_kernelILi16ELb1E19rocblas_complex_numIdEPKS1_S2_S1_Ev13rocblas_fill_17rocblas_diagonal_iiT2_lPT3_llS8_llPT4_lli.has_recursion, 0
	.set _ZL23rocblas_trmm_lTx_kernelILi16ELb1E19rocblas_complex_numIdEPKS1_S2_S1_Ev13rocblas_fill_17rocblas_diagonal_iiT2_lPT3_llS8_llPT4_lli.has_indirect_call, 0
	.section	.AMDGPU.csdata,"",@progbits
; Kernel info:
; codeLenInByte = 1708
; TotalNumSgprs: 38
; NumVgprs: 60
; ScratchSize: 0
; MemoryBound: 0
; FloatMode: 240
; IeeeMode: 1
; LDSByteSize: 8192 bytes/workgroup (compile time only)
; SGPRBlocks: 0
; VGPRBlocks: 3
; NumSGPRsForWavesPerEU: 38
; NumVGPRsForWavesPerEU: 60
; NamedBarCnt: 0
; Occupancy: 16
; WaveLimiterHint : 0
; COMPUTE_PGM_RSRC2:SCRATCH_EN: 0
; COMPUTE_PGM_RSRC2:USER_SGPR: 2
; COMPUTE_PGM_RSRC2:TRAP_HANDLER: 0
; COMPUTE_PGM_RSRC2:TGID_X_EN: 1
; COMPUTE_PGM_RSRC2:TGID_Y_EN: 0
; COMPUTE_PGM_RSRC2:TGID_Z_EN: 1
; COMPUTE_PGM_RSRC2:TIDIG_COMP_CNT: 1
	.section	.text._ZL23rocblas_trmm_lTx_kernelILi16ELb1E19rocblas_complex_numIdES1_KS1_S1_Ev13rocblas_fill_17rocblas_diagonal_iiT2_lPT3_llS7_llPT4_lli,"axG",@progbits,_ZL23rocblas_trmm_lTx_kernelILi16ELb1E19rocblas_complex_numIdES1_KS1_S1_Ev13rocblas_fill_17rocblas_diagonal_iiT2_lPT3_llS7_llPT4_lli,comdat
	.globl	_ZL23rocblas_trmm_lTx_kernelILi16ELb1E19rocblas_complex_numIdES1_KS1_S1_Ev13rocblas_fill_17rocblas_diagonal_iiT2_lPT3_llS7_llPT4_lli ; -- Begin function _ZL23rocblas_trmm_lTx_kernelILi16ELb1E19rocblas_complex_numIdES1_KS1_S1_Ev13rocblas_fill_17rocblas_diagonal_iiT2_lPT3_llS7_llPT4_lli
	.p2align	8
	.type	_ZL23rocblas_trmm_lTx_kernelILi16ELb1E19rocblas_complex_numIdES1_KS1_S1_Ev13rocblas_fill_17rocblas_diagonal_iiT2_lPT3_llS7_llPT4_lli,@function
_ZL23rocblas_trmm_lTx_kernelILi16ELb1E19rocblas_complex_numIdES1_KS1_S1_Ev13rocblas_fill_17rocblas_diagonal_iiT2_lPT3_llS7_llPT4_lli: ; @_ZL23rocblas_trmm_lTx_kernelILi16ELb1E19rocblas_complex_numIdES1_KS1_S1_Ev13rocblas_fill_17rocblas_diagonal_iiT2_lPT3_llS7_llPT4_lli
; %bb.0:
	s_load_b32 s33, s[0:1], 0x70
	s_bfe_u32 s2, ttmp6, 0x40014
	s_lshr_b32 s3, ttmp7, 16
	s_add_co_i32 s2, s2, 1
	s_bfe_u32 s5, ttmp6, 0x40008
	s_mul_i32 s4, s3, s2
	s_getreg_b32 s2, hwreg(HW_REG_IB_STS2, 6, 4)
	s_add_co_i32 s5, s5, s4
	s_cmp_eq_u32 s2, 0
	s_mov_b32 s29, 0
	s_cselect_b32 s28, s3, s5
	s_wait_kmcnt 0x0
	s_cmp_ge_u32 s28, s33
	s_cbranch_scc1 .LBB137_19
; %bb.1:
	s_clause 0x1
	s_load_b256 s[20:27], s[0:1], 0x0
	s_load_b512 s[4:19], s[0:1], 0x28
	v_bfe_u32 v4, v0, 10, 10
	v_mov_b32_e32 v2, 0
	v_and_b32_e32 v3, 0x3ff, v0
	s_load_b64 s[30:31], s[0:1], 0x68
	s_wait_xcnt 0x0
	s_bfe_u32 s0, ttmp6, 0x4000c
	v_dual_lshlrev_b32 v15, 4, v4 :: v_dual_mov_b32 v5, v2
	v_lshlrev_b32_e32 v0, 4, v3
	s_add_co_i32 s0, s0, 1
	v_dual_mov_b32 v1, v2 :: v_dual_lshlrev_b32 v16, 8, v3
	v_cmp_eq_u32_e32 vcc_lo, v4, v3
	v_cmp_gt_u32_e64 s1, v3, v4
	v_lshl_add_u32 v13, v4, 8, 0x1000
	v_add_lshl_u32 v12, v15, v3, 4
	s_wait_kmcnt 0x0
	v_cmp_neq_f64_e64 s3, s[24:25], 0
	v_cmp_neq_f64_e64 s34, s[26:27], 0
	v_mul_u64_e32 v[6:7], s[6:7], v[4:5]
	v_mul_u64_e32 v[8:9], s[12:13], v[4:5]
	;; [unrolled: 1-line block ×3, first 2 shown]
	s_add_co_i32 s35, s23, -1
	s_and_b32 s6, ttmp6, 15
	s_ashr_i32 s36, s35, 31
	s_mul_i32 s7, ttmp9, s0
	s_lshr_b32 s36, s36, 28
	s_add_co_i32 s7, s6, s7
	s_add_co_i32 s35, s35, s36
	v_cmp_lt_u32_e64 s0, v3, v4
	s_and_b32 s6, s35, -16
	s_ashr_i32 s35, s35, 4
	s_sub_co_i32 s23, s23, s6
	v_add_nc_u32_e32 v14, 0x1000, v12
	s_or_b32 s6, s3, s34
	s_cmp_eq_u32 s2, 0
	v_cmp_gt_i32_e64 s2, s22, v4
	s_cselect_b32 s7, ttmp9, s7
	v_cmp_gt_i32_e64 s3, s22, v3
	s_cmp_ge_i32 s7, s35
	v_lshl_add_u64 v[6:7], v[6:7], 4, s[4:5]
	s_cselect_b32 s5, s23, 16
	s_lshl_b32 s22, s7, 4
	s_and_b32 s4, s2, s3
	s_ashr_i32 s23, s22, 31
	v_cmp_gt_i32_e64 s2, s5, v4
	s_mul_u64 s[12:13], s[12:13], s[22:23]
	s_mul_u64 s[18:19], s[18:19], s[22:23]
	s_lshl_b64 s[12:13], s[12:13], 4
	s_lshl_b64 s[18:19], s[18:19], 4
	s_add_nc_u64 s[10:11], s[10:11], s[12:13]
	s_add_nc_u64 s[12:13], s[16:17], s[18:19]
	v_lshl_add_u64 v[4:5], v[8:9], 4, s[10:11]
	v_lshl_add_u64 v[10:11], v[10:11], 4, s[12:13]
	s_and_b32 s2, s3, s2
	s_cmp_eq_u32 s21, 0x84
	v_add_nc_u64_e32 v[6:7], v[6:7], v[0:1]
	s_cselect_b32 s3, -1, 0
	v_add_nc_u64_e32 v[8:9], v[4:5], v[0:1]
	v_add_nc_u64_e32 v[10:11], v[10:11], v[0:1]
	s_and_b32 s3, vcc_lo, s3
	v_add_nc_u32_e32 v1, v15, v16
	v_mov_b32_e32 v3, 0x3ff00000
	s_cmp_lg_u32 s20, 0x7a
	s_cselect_b32 s5, -1, 0
	s_branch .LBB137_4
.LBB137_2:                              ;   in Loop: Header=BB137_4 Depth=1
	s_wait_xcnt 0x0
	s_or_b32 exec_lo, exec_lo, s7
.LBB137_3:                              ;   in Loop: Header=BB137_4 Depth=1
	s_add_co_i32 s28, s28, 0x10000
	s_delay_alu instid0(SALU_CYCLE_1)
	s_cmp_lt_u32 s28, s33
	s_cbranch_scc0 .LBB137_19
.LBB137_4:                              ; =>This Inner Loop Header: Depth=1
	s_and_not1_b32 vcc_lo, exec_lo, s6
	s_cbranch_vccnz .LBB137_3
; %bb.5:                                ;   in Loop: Header=BB137_4 Depth=1
	s_mov_b32 s16, s29
	s_mov_b32 s17, s29
	s_mov_b32 s18, s29
	s_mov_b32 s19, s29
	v_mov_b64_e32 v[16:17], s[16:17]
	v_mov_b64_e32 v[18:19], s[18:19]
	ds_store_b128 v12, v[16:19]
	ds_store_b128 v14, v[16:19]
	s_wait_dscnt 0x0
	s_barrier_signal -1
	s_barrier_wait -1
	s_and_saveexec_b32 s7, s4
	s_cbranch_execnz .LBB137_11
; %bb.6:                                ;   in Loop: Header=BB137_4 Depth=1
	s_or_b32 exec_lo, exec_lo, s7
	s_and_saveexec_b32 s7, s2
	s_cbranch_execnz .LBB137_12
.LBB137_7:                              ;   in Loop: Header=BB137_4 Depth=1
	s_or_b32 exec_lo, exec_lo, s7
	s_and_saveexec_b32 s7, s3
.LBB137_8:                              ;   in Loop: Header=BB137_4 Depth=1
	v_dual_mov_b32 v4, v2 :: v_dual_mov_b32 v5, v2
	ds_store_b128 v12, v[2:5]
.LBB137_9:                              ;   in Loop: Header=BB137_4 Depth=1
	s_or_b32 exec_lo, exec_lo, s7
	s_delay_alu instid0(SALU_CYCLE_1)
	s_and_b32 vcc_lo, exec_lo, s5
	s_wait_dscnt 0x0
	s_barrier_signal -1
	s_barrier_wait -1
	s_cbranch_vccz .LBB137_13
; %bb.10:                               ;   in Loop: Header=BB137_4 Depth=1
	s_and_b32 s7, s0, exec_lo
	s_cbranch_execz .LBB137_14
	s_branch .LBB137_15
.LBB137_11:                             ;   in Loop: Header=BB137_4 Depth=1
	s_mul_u64 s[10:11], s[8:9], s[28:29]
	s_delay_alu instid0(SALU_CYCLE_1)
	v_lshl_add_u64 v[4:5], s[10:11], 4, v[6:7]
	global_load_b128 v[16:19], v[4:5], off
	s_wait_loadcnt 0x0
	v_xor_b32_e32 v19, 0x80000000, v19
	ds_store_b128 v1, v[16:19]
	s_wait_xcnt 0x0
	s_or_b32 exec_lo, exec_lo, s7
	s_and_saveexec_b32 s7, s2
	s_cbranch_execz .LBB137_7
.LBB137_12:                             ;   in Loop: Header=BB137_4 Depth=1
	s_mul_u64 s[10:11], s[14:15], s[28:29]
	s_delay_alu instid0(SALU_CYCLE_1)
	v_lshl_add_u64 v[4:5], s[10:11], 4, v[8:9]
	global_load_b128 v[16:19], v[4:5], off
	s_wait_loadcnt 0x0
	ds_store_2addr_b64 v14, v[16:17], v[18:19] offset1:1
	s_wait_xcnt 0x0
	s_or_b32 exec_lo, exec_lo, s7
	s_and_saveexec_b32 s7, s3
	s_cbranch_execnz .LBB137_8
	s_branch .LBB137_9
.LBB137_13:                             ;   in Loop: Header=BB137_4 Depth=1
	s_mov_b32 s7, 0
.LBB137_14:                             ;   in Loop: Header=BB137_4 Depth=1
	s_delay_alu instid0(SALU_CYCLE_1) | instskip(SKIP_1) | instid1(SALU_CYCLE_1)
	s_and_not1_b32 s7, s7, exec_lo
	s_and_b32 s10, s1, exec_lo
	s_or_b32 s7, s7, s10
.LBB137_15:                             ;   in Loop: Header=BB137_4 Depth=1
	s_delay_alu instid0(SALU_CYCLE_1)
	s_and_saveexec_b32 s10, s7
; %bb.16:                               ;   in Loop: Header=BB137_4 Depth=1
	v_dual_mov_b32 v16, v2 :: v_dual_mov_b32 v17, v2
	v_dual_mov_b32 v18, v2 :: v_dual_mov_b32 v19, v2
	ds_store_b128 v12, v[16:19]
; %bb.17:                               ;   in Loop: Header=BB137_4 Depth=1
	s_or_b32 exec_lo, exec_lo, s10
	s_wait_dscnt 0x0
	s_barrier_signal -1
	s_barrier_wait -1
	s_and_saveexec_b32 s7, s2
	s_cbranch_execz .LBB137_2
; %bb.18:                               ;   in Loop: Header=BB137_4 Depth=1
	ds_load_b128 v[16:19], v0
	ds_load_b128 v[20:23], v13
	ds_load_b128 v[24:27], v13 offset:16
	ds_load_b128 v[28:31], v0 offset:256
	;; [unrolled: 1-line block ×6, first 2 shown]
	s_mul_u64 s[10:11], s[30:31], s[28:29]
	s_wait_dscnt 0x6
	v_mul_f64_e32 v[4:5], v[20:21], v[18:19]
	v_mul_f64_e32 v[18:19], v[22:23], v[18:19]
	s_wait_dscnt 0x4
	v_mul_f64_e32 v[48:49], v[24:25], v[30:31]
	s_wait_dscnt 0x2
	;; [unrolled: 2-line block ×3, first 2 shown]
	v_mul_f64_e32 v[52:53], v[40:41], v[46:47]
	v_mul_f64_e32 v[34:35], v[38:39], v[34:35]
	;; [unrolled: 1-line block ×3, first 2 shown]
	v_fmac_f64_e32 v[4:5], v[22:23], v[16:17]
	v_mul_f64_e32 v[22:23], v[26:27], v[30:31]
	v_fmac_f64_e32 v[48:49], v[26:27], v[28:29]
	v_fma_f64 v[16:17], v[20:21], v[16:17], -v[18:19]
	v_fmac_f64_e32 v[50:51], v[38:39], v[32:33]
	v_fmac_f64_e32 v[52:53], v[42:43], v[44:45]
	v_fma_f64 v[32:33], v[36:37], v[32:33], -v[34:35]
	v_add_f64_e32 v[4:5], 0, v[4:5]
	v_fma_f64 v[38:39], v[24:25], v[28:29], -v[22:23]
	v_add_f64_e32 v[54:55], 0, v[16:17]
	ds_load_b128 v[16:19], v0 offset:1024
	ds_load_b128 v[20:23], v13 offset:64
	;; [unrolled: 1-line block ×4, first 2 shown]
	v_add_f64_e32 v[4:5], v[4:5], v[48:49]
	s_wait_dscnt 0x2
	v_mul_f64_e32 v[48:49], v[20:21], v[18:19]
	v_mul_f64_e32 v[18:19], v[22:23], v[18:19]
	v_add_f64_e32 v[34:35], v[54:55], v[38:39]
	s_delay_alu instid0(VALU_DEP_4)
	v_add_f64_e32 v[4:5], v[4:5], v[50:51]
	s_wait_dscnt 0x0
	v_mul_f64_e32 v[50:51], v[24:25], v[30:31]
	v_fmac_f64_e32 v[48:49], v[22:23], v[16:17]
	v_fma_f64 v[22:23], v[40:41], v[44:45], -v[46:47]
	v_add_f64_e32 v[54:55], v[34:35], v[32:33]
	ds_load_b128 v[32:35], v0 offset:1536
	ds_load_b128 v[36:39], v13 offset:96
	ds_load_b128 v[40:43], v13 offset:112
	ds_load_b128 v[44:47], v0 offset:1792
	v_mul_f64_e32 v[30:31], v[26:27], v[30:31]
	v_fma_f64 v[16:17], v[20:21], v[16:17], -v[18:19]
	v_add_f64_e32 v[4:5], v[4:5], v[52:53]
	s_wait_dscnt 0x2
	v_mul_f64_e32 v[52:53], v[36:37], v[34:35]
	v_fmac_f64_e32 v[50:51], v[26:27], v[28:29]
	v_mul_f64_e32 v[34:35], v[38:39], v[34:35]
	v_add_f64_e32 v[18:19], v[54:55], v[22:23]
	v_add_f64_e32 v[4:5], v[4:5], v[48:49]
	s_wait_dscnt 0x0
	v_mul_f64_e32 v[48:49], v[40:41], v[46:47]
	v_fmac_f64_e32 v[52:53], v[38:39], v[32:33]
	v_fma_f64 v[38:39], v[24:25], v[28:29], -v[30:31]
	v_add_f64_e32 v[54:55], v[18:19], v[16:17]
	ds_load_b128 v[16:19], v0 offset:2048
	ds_load_b128 v[20:23], v13 offset:128
	ds_load_b128 v[24:27], v13 offset:144
	ds_load_b128 v[28:31], v0 offset:2304
	v_mul_f64_e32 v[46:47], v[42:43], v[46:47]
	v_fma_f64 v[32:33], v[36:37], v[32:33], -v[34:35]
	v_add_f64_e32 v[4:5], v[4:5], v[50:51]
	s_wait_dscnt 0x2
	v_mul_f64_e32 v[50:51], v[20:21], v[18:19]
	v_fmac_f64_e32 v[48:49], v[42:43], v[44:45]
	v_mul_f64_e32 v[18:19], v[22:23], v[18:19]
	v_add_f64_e32 v[34:35], v[54:55], v[38:39]
	;; [unrolled: 18-line block ×4, first 2 shown]
	v_add_f64_e32 v[4:5], v[4:5], v[48:49]
	s_wait_dscnt 0x0
	v_mul_f64_e32 v[48:49], v[24:25], v[30:31]
	v_fmac_f64_e32 v[52:53], v[22:23], v[16:17]
	v_fma_f64 v[22:23], v[40:41], v[44:45], -v[46:47]
	v_add_f64_e32 v[54:55], v[34:35], v[32:33]
	ds_load_b128 v[32:35], v0 offset:3584
	ds_load_b128 v[36:39], v13 offset:224
	;; [unrolled: 1-line block ×4, first 2 shown]
	v_mul_f64_e32 v[30:31], v[26:27], v[30:31]
	v_fma_f64 v[16:17], v[20:21], v[16:17], -v[18:19]
	s_wait_dscnt 0x0
	v_mul_f64_e32 v[20:21], v[40:41], v[46:47]
	v_add_f64_e32 v[4:5], v[4:5], v[50:51]
	v_mul_f64_e32 v[50:51], v[36:37], v[34:35]
	v_fmac_f64_e32 v[48:49], v[26:27], v[28:29]
	v_add_f64_e32 v[18:19], v[54:55], v[22:23]
	v_mul_f64_e32 v[22:23], v[38:39], v[34:35]
	v_fma_f64 v[24:25], v[24:25], v[28:29], -v[30:31]
	v_fmac_f64_e32 v[20:21], v[42:43], v[44:45]
	v_add_f64_e32 v[4:5], v[4:5], v[52:53]
	v_fmac_f64_e32 v[50:51], v[38:39], v[32:33]
	v_add_f64_e32 v[16:17], v[18:19], v[16:17]
	v_mul_f64_e32 v[18:19], v[42:43], v[46:47]
	v_fma_f64 v[22:23], v[36:37], v[32:33], -v[22:23]
	v_add_f64_e32 v[4:5], v[4:5], v[48:49]
	s_delay_alu instid0(VALU_DEP_4) | instskip(NEXT) | instid1(VALU_DEP_4)
	v_add_f64_e32 v[16:17], v[16:17], v[24:25]
	v_fma_f64 v[18:19], v[40:41], v[44:45], -v[18:19]
	s_delay_alu instid0(VALU_DEP_3) | instskip(NEXT) | instid1(VALU_DEP_3)
	v_add_f64_e32 v[4:5], v[4:5], v[50:51]
	v_add_f64_e32 v[16:17], v[16:17], v[22:23]
	s_delay_alu instid0(VALU_DEP_2) | instskip(NEXT) | instid1(VALU_DEP_2)
	v_add_f64_e32 v[4:5], v[4:5], v[20:21]
	v_add_f64_e32 v[16:17], v[16:17], v[18:19]
	s_delay_alu instid0(VALU_DEP_2) | instskip(SKIP_1) | instid1(VALU_DEP_2)
	v_mul_f64_e32 v[18:19], s[24:25], v[4:5]
	v_mul_f64_e32 v[4:5], s[26:27], v[4:5]
	v_fmac_f64_e32 v[18:19], s[26:27], v[16:17]
	s_delay_alu instid0(VALU_DEP_2)
	v_fma_f64 v[16:17], s[24:25], v[16:17], -v[4:5]
	v_lshl_add_u64 v[4:5], s[10:11], 4, v[10:11]
	global_store_b128 v[4:5], v[16:19], off
	s_branch .LBB137_2
.LBB137_19:
	s_endpgm
	.section	.rodata,"a",@progbits
	.p2align	6, 0x0
	.amdhsa_kernel _ZL23rocblas_trmm_lTx_kernelILi16ELb1E19rocblas_complex_numIdES1_KS1_S1_Ev13rocblas_fill_17rocblas_diagonal_iiT2_lPT3_llS7_llPT4_lli
		.amdhsa_group_segment_fixed_size 8192
		.amdhsa_private_segment_fixed_size 0
		.amdhsa_kernarg_size 116
		.amdhsa_user_sgpr_count 2
		.amdhsa_user_sgpr_dispatch_ptr 0
		.amdhsa_user_sgpr_queue_ptr 0
		.amdhsa_user_sgpr_kernarg_segment_ptr 1
		.amdhsa_user_sgpr_dispatch_id 0
		.amdhsa_user_sgpr_kernarg_preload_length 0
		.amdhsa_user_sgpr_kernarg_preload_offset 0
		.amdhsa_user_sgpr_private_segment_size 0
		.amdhsa_wavefront_size32 1
		.amdhsa_uses_dynamic_stack 0
		.amdhsa_enable_private_segment 0
		.amdhsa_system_sgpr_workgroup_id_x 1
		.amdhsa_system_sgpr_workgroup_id_y 0
		.amdhsa_system_sgpr_workgroup_id_z 1
		.amdhsa_system_sgpr_workgroup_info 0
		.amdhsa_system_vgpr_workitem_id 1
		.amdhsa_next_free_vgpr 56
		.amdhsa_next_free_sgpr 37
		.amdhsa_named_barrier_count 0
		.amdhsa_reserve_vcc 1
		.amdhsa_float_round_mode_32 0
		.amdhsa_float_round_mode_16_64 0
		.amdhsa_float_denorm_mode_32 3
		.amdhsa_float_denorm_mode_16_64 3
		.amdhsa_fp16_overflow 0
		.amdhsa_memory_ordered 1
		.amdhsa_forward_progress 1
		.amdhsa_inst_pref_size 13
		.amdhsa_round_robin_scheduling 0
		.amdhsa_exception_fp_ieee_invalid_op 0
		.amdhsa_exception_fp_denorm_src 0
		.amdhsa_exception_fp_ieee_div_zero 0
		.amdhsa_exception_fp_ieee_overflow 0
		.amdhsa_exception_fp_ieee_underflow 0
		.amdhsa_exception_fp_ieee_inexact 0
		.amdhsa_exception_int_div_zero 0
	.end_amdhsa_kernel
	.section	.text._ZL23rocblas_trmm_lTx_kernelILi16ELb1E19rocblas_complex_numIdES1_KS1_S1_Ev13rocblas_fill_17rocblas_diagonal_iiT2_lPT3_llS7_llPT4_lli,"axG",@progbits,_ZL23rocblas_trmm_lTx_kernelILi16ELb1E19rocblas_complex_numIdES1_KS1_S1_Ev13rocblas_fill_17rocblas_diagonal_iiT2_lPT3_llS7_llPT4_lli,comdat
.Lfunc_end137:
	.size	_ZL23rocblas_trmm_lTx_kernelILi16ELb1E19rocblas_complex_numIdES1_KS1_S1_Ev13rocblas_fill_17rocblas_diagonal_iiT2_lPT3_llS7_llPT4_lli, .Lfunc_end137-_ZL23rocblas_trmm_lTx_kernelILi16ELb1E19rocblas_complex_numIdES1_KS1_S1_Ev13rocblas_fill_17rocblas_diagonal_iiT2_lPT3_llS7_llPT4_lli
                                        ; -- End function
	.set _ZL23rocblas_trmm_lTx_kernelILi16ELb1E19rocblas_complex_numIdES1_KS1_S1_Ev13rocblas_fill_17rocblas_diagonal_iiT2_lPT3_llS7_llPT4_lli.num_vgpr, 56
	.set _ZL23rocblas_trmm_lTx_kernelILi16ELb1E19rocblas_complex_numIdES1_KS1_S1_Ev13rocblas_fill_17rocblas_diagonal_iiT2_lPT3_llS7_llPT4_lli.num_agpr, 0
	.set _ZL23rocblas_trmm_lTx_kernelILi16ELb1E19rocblas_complex_numIdES1_KS1_S1_Ev13rocblas_fill_17rocblas_diagonal_iiT2_lPT3_llS7_llPT4_lli.numbered_sgpr, 37
	.set _ZL23rocblas_trmm_lTx_kernelILi16ELb1E19rocblas_complex_numIdES1_KS1_S1_Ev13rocblas_fill_17rocblas_diagonal_iiT2_lPT3_llS7_llPT4_lli.num_named_barrier, 0
	.set _ZL23rocblas_trmm_lTx_kernelILi16ELb1E19rocblas_complex_numIdES1_KS1_S1_Ev13rocblas_fill_17rocblas_diagonal_iiT2_lPT3_llS7_llPT4_lli.private_seg_size, 0
	.set _ZL23rocblas_trmm_lTx_kernelILi16ELb1E19rocblas_complex_numIdES1_KS1_S1_Ev13rocblas_fill_17rocblas_diagonal_iiT2_lPT3_llS7_llPT4_lli.uses_vcc, 1
	.set _ZL23rocblas_trmm_lTx_kernelILi16ELb1E19rocblas_complex_numIdES1_KS1_S1_Ev13rocblas_fill_17rocblas_diagonal_iiT2_lPT3_llS7_llPT4_lli.uses_flat_scratch, 0
	.set _ZL23rocblas_trmm_lTx_kernelILi16ELb1E19rocblas_complex_numIdES1_KS1_S1_Ev13rocblas_fill_17rocblas_diagonal_iiT2_lPT3_llS7_llPT4_lli.has_dyn_sized_stack, 0
	.set _ZL23rocblas_trmm_lTx_kernelILi16ELb1E19rocblas_complex_numIdES1_KS1_S1_Ev13rocblas_fill_17rocblas_diagonal_iiT2_lPT3_llS7_llPT4_lli.has_recursion, 0
	.set _ZL23rocblas_trmm_lTx_kernelILi16ELb1E19rocblas_complex_numIdES1_KS1_S1_Ev13rocblas_fill_17rocblas_diagonal_iiT2_lPT3_llS7_llPT4_lli.has_indirect_call, 0
	.section	.AMDGPU.csdata,"",@progbits
; Kernel info:
; codeLenInByte = 1652
; TotalNumSgprs: 39
; NumVgprs: 56
; ScratchSize: 0
; MemoryBound: 0
; FloatMode: 240
; IeeeMode: 1
; LDSByteSize: 8192 bytes/workgroup (compile time only)
; SGPRBlocks: 0
; VGPRBlocks: 3
; NumSGPRsForWavesPerEU: 39
; NumVGPRsForWavesPerEU: 56
; NamedBarCnt: 0
; Occupancy: 16
; WaveLimiterHint : 1
; COMPUTE_PGM_RSRC2:SCRATCH_EN: 0
; COMPUTE_PGM_RSRC2:USER_SGPR: 2
; COMPUTE_PGM_RSRC2:TRAP_HANDLER: 0
; COMPUTE_PGM_RSRC2:TGID_X_EN: 1
; COMPUTE_PGM_RSRC2:TGID_Y_EN: 0
; COMPUTE_PGM_RSRC2:TGID_Z_EN: 1
; COMPUTE_PGM_RSRC2:TIDIG_COMP_CNT: 1
	.section	.text._ZL23rocblas_trmm_rNx_kernelILi16E19rocblas_complex_numIdEPKS1_S2_S1_Ev13rocblas_fill_17rocblas_diagonal_iiT1_lPT2_llS8_llPT3_lli,"axG",@progbits,_ZL23rocblas_trmm_rNx_kernelILi16E19rocblas_complex_numIdEPKS1_S2_S1_Ev13rocblas_fill_17rocblas_diagonal_iiT1_lPT2_llS8_llPT3_lli,comdat
	.globl	_ZL23rocblas_trmm_rNx_kernelILi16E19rocblas_complex_numIdEPKS1_S2_S1_Ev13rocblas_fill_17rocblas_diagonal_iiT1_lPT2_llS8_llPT3_lli ; -- Begin function _ZL23rocblas_trmm_rNx_kernelILi16E19rocblas_complex_numIdEPKS1_S2_S1_Ev13rocblas_fill_17rocblas_diagonal_iiT1_lPT2_llS8_llPT3_lli
	.p2align	8
	.type	_ZL23rocblas_trmm_rNx_kernelILi16E19rocblas_complex_numIdEPKS1_S2_S1_Ev13rocblas_fill_17rocblas_diagonal_iiT1_lPT2_llS8_llPT3_lli,@function
_ZL23rocblas_trmm_rNx_kernelILi16E19rocblas_complex_numIdEPKS1_S2_S1_Ev13rocblas_fill_17rocblas_diagonal_iiT1_lPT2_llS8_llPT3_lli: ; @_ZL23rocblas_trmm_rNx_kernelILi16E19rocblas_complex_numIdEPKS1_S2_S1_Ev13rocblas_fill_17rocblas_diagonal_iiT1_lPT2_llS8_llPT3_lli
; %bb.0:
	s_load_b32 s5, s[0:1], 0x68
	s_bfe_u32 s2, ttmp6, 0x40014
	s_lshr_b32 s3, ttmp7, 16
	s_add_co_i32 s2, s2, 1
	s_bfe_u32 s6, ttmp6, 0x40008
	s_mul_i32 s4, s3, s2
	s_getreg_b32 s2, hwreg(HW_REG_IB_STS2, 6, 4)
	s_add_co_i32 s6, s6, s4
	s_cmp_eq_u32 s2, 0
	s_mov_b32 s7, 0
	s_cselect_b32 s6, s3, s6
	s_wait_kmcnt 0x0
	s_cmp_ge_u32 s6, s5
	s_cbranch_scc1 .LBB138_19
; %bb.1:
	s_clause 0x3
	s_load_b128 s[24:27], s[0:1], 0x0
	s_load_b512 s[8:23], s[0:1], 0x10
	s_load_b128 s[28:31], s[0:1], 0x50
	s_load_b64 s[34:35], s[0:1], 0x60
	v_bfe_u32 v4, v0, 10, 10
	v_mov_b32_e32 v2, 0
	s_wait_xcnt 0x0
	s_bfe_u32 s0, ttmp6, 0x4000c
	s_and_b32 s3, ttmp6, 15
	s_add_co_i32 s0, s0, 1
	v_dual_lshlrev_b32 v3, 4, v4 :: v_dual_mov_b32 v5, v2
	v_mov_b32_e32 v1, v2
	s_mul_i32 s4, ttmp9, s0
	v_and_b32_e32 v0, 0x3ff, v0
	s_add_co_i32 s3, s3, s4
	v_lshlrev_b32_e32 v17, 8, v4
	s_delay_alu instid0(VALU_DEP_2)
	v_lshlrev_b64_e32 v[12:13], 4, v[0:1]
	v_cmp_eq_u32_e32 vcc_lo, v4, v0
	s_wait_kmcnt 0x0
	s_add_co_i32 s33, s26, -1
	v_mul_u64_e32 v[6:7], s[14:15], v[4:5]
	v_mul_u64_e32 v[8:9], s[20:21], v[4:5]
	v_mul_u64_e32 v[10:11], s[30:31], v[4:5]
	s_ashr_i32 s1, s33, 31
	v_cmp_lt_u32_e64 s0, v0, v4
	s_lshr_b32 s14, s1, 28
	v_cmp_gt_u32_e64 s1, v0, v4
	s_add_co_i32 s33, s33, s14
	v_lshl_add_u32 v14, v0, 4, 0x1000
	s_and_b32 s4, s33, -16
	s_ashr_i32 s14, s33, 4
	s_sub_co_i32 s4, s26, s4
	s_cmp_eq_u32 s2, 0
	v_cmp_gt_i32_e64 s2, s27, v4
	s_cselect_b32 s3, ttmp9, s3
	v_add_lshl_u32 v15, v3, v0, 4
	s_cmp_ge_i32 s3, s14
	v_mov_b32_e32 v3, 0x3ff00000
	s_cselect_b32 s4, s4, 16
	s_lshl_b32 s14, s3, 4
	v_cmp_gt_i32_e64 s3, s27, v0
	s_ashr_i32 s15, s14, 31
	v_cmp_gt_i32_e64 s4, s4, v0
	s_lshl_b64 s[14:15], s[14:15], 4
	v_add_nc_u32_e32 v16, 0x1000, v15
	s_add_nc_u64 s[18:19], s[18:19], s[14:15]
	s_add_nc_u64 s[14:15], s[28:29], s[14:15]
	s_and_b32 s3, s2, s3
	s_and_b32 s4, s2, s4
	s_cmp_eq_u32 s25, 0x84
	s_cselect_b32 s2, -1, 0
	v_lshl_add_u64 v[0:1], v[6:7], 4, s[12:13]
	v_lshl_add_u64 v[6:7], v[8:9], 4, s[18:19]
	;; [unrolled: 1-line block ×3, first 2 shown]
	s_and_b32 s12, vcc_lo, s2
	s_cmp_lg_u32 s24, 0x79
	v_add_nc_u64_e32 v[0:1], v[0:1], v[12:13]
	v_add_nc_u64_e32 v[10:11], v[6:7], v[12:13]
	v_add_nc_u64_e32 v[12:13], v[8:9], v[12:13]
	s_cselect_b32 s13, -1, 0
	s_branch .LBB138_4
.LBB138_2:                              ;   in Loop: Header=BB138_4 Depth=1
	s_wait_xcnt 0x0
	s_or_b32 exec_lo, exec_lo, s2
.LBB138_3:                              ;   in Loop: Header=BB138_4 Depth=1
	s_add_co_i32 s6, s6, 0x10000
	s_delay_alu instid0(SALU_CYCLE_1)
	s_cmp_lt_u32 s6, s5
	s_cbranch_scc0 .LBB138_19
.LBB138_4:                              ; =>This Inner Loop Header: Depth=1
	s_wait_xcnt 0x0
	s_mul_u64 s[14:15], s[10:11], s[6:7]
	s_delay_alu instid0(SALU_CYCLE_1) | instskip(NEXT) | instid1(SALU_CYCLE_1)
	s_lshl_b64 s[14:15], s[14:15], 4
	s_add_nc_u64 s[14:15], s[8:9], s[14:15]
	global_load_b128 v[6:9], v2, s[14:15]
	s_wait_loadcnt 0x0
	v_cmp_neq_f64_e32 vcc_lo, 0, v[6:7]
	v_cmp_neq_f64_e64 s2, 0, v[8:9]
	s_or_b32 s2, vcc_lo, s2
	s_delay_alu instid0(SALU_CYCLE_1)
	s_and_not1_b32 vcc_lo, exec_lo, s2
	s_cbranch_vccnz .LBB138_3
; %bb.5:                                ;   in Loop: Header=BB138_4 Depth=1
	s_mov_b32 s24, s7
	s_mov_b32 s25, s7
	;; [unrolled: 1-line block ×4, first 2 shown]
	v_mov_b64_e32 v[18:19], s[24:25]
	v_mov_b64_e32 v[20:21], s[26:27]
	ds_store_b128 v15, v[18:21]
	ds_store_b128 v16, v[18:21]
	s_wait_xcnt 0x0
	s_and_saveexec_b32 s2, s3
	s_cbranch_execnz .LBB138_10
; %bb.6:                                ;   in Loop: Header=BB138_4 Depth=1
	s_or_b32 exec_lo, exec_lo, s2
	s_and_saveexec_b32 s2, s4
	s_cbranch_execnz .LBB138_11
.LBB138_7:                              ;   in Loop: Header=BB138_4 Depth=1
	s_or_b32 exec_lo, exec_lo, s2
	s_and_saveexec_b32 s2, s12
	s_cbranch_execnz .LBB138_12
.LBB138_8:                              ;   in Loop: Header=BB138_4 Depth=1
	s_or_b32 exec_lo, exec_lo, s2
	s_delay_alu instid0(SALU_CYCLE_1)
	s_and_b32 vcc_lo, exec_lo, s13
	s_cbranch_vccz .LBB138_13
.LBB138_9:                              ;   in Loop: Header=BB138_4 Depth=1
	s_and_b32 s2, s0, exec_lo
	s_cbranch_execz .LBB138_14
	s_branch .LBB138_15
.LBB138_10:                             ;   in Loop: Header=BB138_4 Depth=1
	s_mul_u64 s[14:15], s[16:17], s[6:7]
	s_delay_alu instid0(SALU_CYCLE_1)
	v_lshl_add_u64 v[4:5], s[14:15], 4, v[0:1]
	global_load_b128 v[18:21], v[4:5], off
	s_wait_loadcnt 0x0
	ds_store_2addr_b64 v15, v[18:19], v[20:21] offset1:1
	s_wait_xcnt 0x0
	s_or_b32 exec_lo, exec_lo, s2
	s_and_saveexec_b32 s2, s4
	s_cbranch_execz .LBB138_7
.LBB138_11:                             ;   in Loop: Header=BB138_4 Depth=1
	s_mul_u64 s[14:15], s[22:23], s[6:7]
	s_delay_alu instid0(SALU_CYCLE_1)
	v_lshl_add_u64 v[4:5], s[14:15], 4, v[10:11]
	global_load_b128 v[18:21], v[4:5], off
	s_wait_loadcnt 0x0
	ds_store_2addr_b64 v16, v[18:19], v[20:21] offset1:1
	s_wait_xcnt 0x0
	s_or_b32 exec_lo, exec_lo, s2
	s_and_saveexec_b32 s2, s12
	s_cbranch_execz .LBB138_8
.LBB138_12:                             ;   in Loop: Header=BB138_4 Depth=1
	v_dual_mov_b32 v4, v2 :: v_dual_mov_b32 v5, v2
	ds_store_b128 v15, v[2:5]
	s_or_b32 exec_lo, exec_lo, s2
	s_delay_alu instid0(SALU_CYCLE_1)
	s_and_b32 vcc_lo, exec_lo, s13
	s_cbranch_vccnz .LBB138_9
.LBB138_13:                             ;   in Loop: Header=BB138_4 Depth=1
	s_mov_b32 s2, 0
.LBB138_14:                             ;   in Loop: Header=BB138_4 Depth=1
	s_delay_alu instid0(SALU_CYCLE_1) | instskip(SKIP_1) | instid1(SALU_CYCLE_1)
	s_and_not1_b32 s2, s2, exec_lo
	s_and_b32 s14, s1, exec_lo
	s_or_b32 s2, s2, s14
.LBB138_15:                             ;   in Loop: Header=BB138_4 Depth=1
	s_delay_alu instid0(SALU_CYCLE_1)
	s_and_saveexec_b32 s14, s2
; %bb.16:                               ;   in Loop: Header=BB138_4 Depth=1
	v_dual_mov_b32 v18, v2 :: v_dual_mov_b32 v19, v2
	v_dual_mov_b32 v20, v2 :: v_dual_mov_b32 v21, v2
	ds_store_b128 v15, v[18:21]
; %bb.17:                               ;   in Loop: Header=BB138_4 Depth=1
	s_or_b32 exec_lo, exec_lo, s14
	s_wait_dscnt 0x0
	s_barrier_signal -1
	s_barrier_wait -1
	s_and_saveexec_b32 s2, s4
	s_cbranch_execz .LBB138_2
; %bb.18:                               ;   in Loop: Header=BB138_4 Depth=1
	ds_load_b128 v[18:21], v14
	ds_load_b128 v[22:25], v17
	ds_load_b128 v[26:29], v17 offset:16
	ds_load_b128 v[30:33], v14 offset:256
	;; [unrolled: 1-line block ×6, first 2 shown]
	s_mul_u64 s[14:15], s[34:35], s[6:7]
	s_wait_dscnt 0x6
	v_mul_f64_e32 v[4:5], v[22:23], v[20:21]
	v_mul_f64_e32 v[20:21], v[24:25], v[20:21]
	s_wait_dscnt 0x4
	v_mul_f64_e32 v[50:51], v[26:27], v[32:33]
	s_wait_dscnt 0x2
	;; [unrolled: 2-line block ×3, first 2 shown]
	v_mul_f64_e32 v[54:55], v[42:43], v[48:49]
	v_mul_f64_e32 v[36:37], v[40:41], v[36:37]
	;; [unrolled: 1-line block ×3, first 2 shown]
	v_fmac_f64_e32 v[4:5], v[24:25], v[18:19]
	v_mul_f64_e32 v[24:25], v[28:29], v[32:33]
	v_fmac_f64_e32 v[50:51], v[28:29], v[30:31]
	v_fma_f64 v[18:19], v[22:23], v[18:19], -v[20:21]
	v_fmac_f64_e32 v[52:53], v[40:41], v[34:35]
	v_fmac_f64_e32 v[54:55], v[44:45], v[46:47]
	v_fma_f64 v[34:35], v[38:39], v[34:35], -v[36:37]
	v_add_f64_e32 v[4:5], 0, v[4:5]
	v_fma_f64 v[40:41], v[26:27], v[30:31], -v[24:25]
	v_add_f64_e32 v[56:57], 0, v[18:19]
	ds_load_b128 v[18:21], v14 offset:1024
	ds_load_b128 v[22:25], v17 offset:64
	;; [unrolled: 1-line block ×4, first 2 shown]
	v_add_f64_e32 v[4:5], v[4:5], v[50:51]
	s_wait_dscnt 0x2
	v_mul_f64_e32 v[50:51], v[22:23], v[20:21]
	v_mul_f64_e32 v[20:21], v[24:25], v[20:21]
	v_add_f64_e32 v[36:37], v[56:57], v[40:41]
	s_delay_alu instid0(VALU_DEP_4)
	v_add_f64_e32 v[4:5], v[4:5], v[52:53]
	s_wait_dscnt 0x0
	v_mul_f64_e32 v[52:53], v[26:27], v[32:33]
	v_fmac_f64_e32 v[50:51], v[24:25], v[18:19]
	v_fma_f64 v[24:25], v[42:43], v[46:47], -v[48:49]
	v_add_f64_e32 v[56:57], v[36:37], v[34:35]
	ds_load_b128 v[34:37], v14 offset:1536
	ds_load_b128 v[38:41], v17 offset:96
	ds_load_b128 v[42:45], v17 offset:112
	ds_load_b128 v[46:49], v14 offset:1792
	v_mul_f64_e32 v[32:33], v[28:29], v[32:33]
	v_fma_f64 v[18:19], v[22:23], v[18:19], -v[20:21]
	v_add_f64_e32 v[4:5], v[4:5], v[54:55]
	s_wait_dscnt 0x2
	v_mul_f64_e32 v[54:55], v[38:39], v[36:37]
	v_fmac_f64_e32 v[52:53], v[28:29], v[30:31]
	v_mul_f64_e32 v[36:37], v[40:41], v[36:37]
	v_add_f64_e32 v[20:21], v[56:57], v[24:25]
	v_add_f64_e32 v[4:5], v[4:5], v[50:51]
	s_wait_dscnt 0x0
	v_mul_f64_e32 v[50:51], v[42:43], v[48:49]
	v_fmac_f64_e32 v[54:55], v[40:41], v[34:35]
	v_fma_f64 v[40:41], v[26:27], v[30:31], -v[32:33]
	v_add_f64_e32 v[56:57], v[20:21], v[18:19]
	ds_load_b128 v[18:21], v14 offset:2048
	ds_load_b128 v[22:25], v17 offset:128
	ds_load_b128 v[26:29], v17 offset:144
	ds_load_b128 v[30:33], v14 offset:2304
	v_mul_f64_e32 v[48:49], v[44:45], v[48:49]
	v_fma_f64 v[34:35], v[38:39], v[34:35], -v[36:37]
	v_add_f64_e32 v[4:5], v[4:5], v[52:53]
	s_wait_dscnt 0x2
	v_mul_f64_e32 v[52:53], v[22:23], v[20:21]
	v_fmac_f64_e32 v[50:51], v[44:45], v[46:47]
	v_mul_f64_e32 v[20:21], v[24:25], v[20:21]
	v_add_f64_e32 v[36:37], v[56:57], v[40:41]
	;; [unrolled: 18-line block ×4, first 2 shown]
	v_add_f64_e32 v[4:5], v[4:5], v[50:51]
	s_wait_dscnt 0x0
	v_mul_f64_e32 v[50:51], v[26:27], v[32:33]
	v_fmac_f64_e32 v[54:55], v[24:25], v[18:19]
	v_fma_f64 v[24:25], v[42:43], v[46:47], -v[48:49]
	v_add_f64_e32 v[56:57], v[36:37], v[34:35]
	ds_load_b128 v[34:37], v14 offset:3584
	ds_load_b128 v[38:41], v17 offset:224
	;; [unrolled: 1-line block ×4, first 2 shown]
	v_mul_f64_e32 v[32:33], v[28:29], v[32:33]
	v_fma_f64 v[18:19], v[22:23], v[18:19], -v[20:21]
	s_wait_dscnt 0x0
	v_mul_f64_e32 v[22:23], v[42:43], v[48:49]
	v_add_f64_e32 v[4:5], v[4:5], v[52:53]
	v_mul_f64_e32 v[52:53], v[38:39], v[36:37]
	v_fmac_f64_e32 v[50:51], v[28:29], v[30:31]
	v_add_f64_e32 v[20:21], v[56:57], v[24:25]
	v_mul_f64_e32 v[24:25], v[40:41], v[36:37]
	v_fma_f64 v[26:27], v[26:27], v[30:31], -v[32:33]
	v_fmac_f64_e32 v[22:23], v[44:45], v[46:47]
	v_add_f64_e32 v[4:5], v[4:5], v[54:55]
	v_fmac_f64_e32 v[52:53], v[40:41], v[34:35]
	v_add_f64_e32 v[18:19], v[20:21], v[18:19]
	v_mul_f64_e32 v[20:21], v[44:45], v[48:49]
	v_fma_f64 v[24:25], v[38:39], v[34:35], -v[24:25]
	v_add_f64_e32 v[4:5], v[4:5], v[50:51]
	s_delay_alu instid0(VALU_DEP_4) | instskip(NEXT) | instid1(VALU_DEP_4)
	v_add_f64_e32 v[18:19], v[18:19], v[26:27]
	v_fma_f64 v[20:21], v[42:43], v[46:47], -v[20:21]
	s_delay_alu instid0(VALU_DEP_3) | instskip(NEXT) | instid1(VALU_DEP_3)
	v_add_f64_e32 v[4:5], v[4:5], v[52:53]
	v_add_f64_e32 v[18:19], v[18:19], v[24:25]
	s_delay_alu instid0(VALU_DEP_2) | instskip(NEXT) | instid1(VALU_DEP_2)
	v_add_f64_e32 v[4:5], v[4:5], v[22:23]
	v_add_f64_e32 v[18:19], v[18:19], v[20:21]
	s_delay_alu instid0(VALU_DEP_2) | instskip(SKIP_1) | instid1(VALU_DEP_2)
	v_mul_f64_e32 v[20:21], v[6:7], v[4:5]
	v_mul_f64_e32 v[4:5], v[8:9], v[4:5]
	v_fmac_f64_e32 v[20:21], v[8:9], v[18:19]
	s_delay_alu instid0(VALU_DEP_2)
	v_fma_f64 v[18:19], v[6:7], v[18:19], -v[4:5]
	v_lshl_add_u64 v[4:5], s[14:15], 4, v[12:13]
	global_store_b128 v[4:5], v[18:21], off
	s_branch .LBB138_2
.LBB138_19:
	s_endpgm
	.section	.rodata,"a",@progbits
	.p2align	6, 0x0
	.amdhsa_kernel _ZL23rocblas_trmm_rNx_kernelILi16E19rocblas_complex_numIdEPKS1_S2_S1_Ev13rocblas_fill_17rocblas_diagonal_iiT1_lPT2_llS8_llPT3_lli
		.amdhsa_group_segment_fixed_size 8192
		.amdhsa_private_segment_fixed_size 0
		.amdhsa_kernarg_size 108
		.amdhsa_user_sgpr_count 2
		.amdhsa_user_sgpr_dispatch_ptr 0
		.amdhsa_user_sgpr_queue_ptr 0
		.amdhsa_user_sgpr_kernarg_segment_ptr 1
		.amdhsa_user_sgpr_dispatch_id 0
		.amdhsa_user_sgpr_kernarg_preload_length 0
		.amdhsa_user_sgpr_kernarg_preload_offset 0
		.amdhsa_user_sgpr_private_segment_size 0
		.amdhsa_wavefront_size32 1
		.amdhsa_uses_dynamic_stack 0
		.amdhsa_enable_private_segment 0
		.amdhsa_system_sgpr_workgroup_id_x 1
		.amdhsa_system_sgpr_workgroup_id_y 0
		.amdhsa_system_sgpr_workgroup_id_z 1
		.amdhsa_system_sgpr_workgroup_info 0
		.amdhsa_system_vgpr_workitem_id 1
		.amdhsa_next_free_vgpr 58
		.amdhsa_next_free_sgpr 36
		.amdhsa_named_barrier_count 0
		.amdhsa_reserve_vcc 1
		.amdhsa_float_round_mode_32 0
		.amdhsa_float_round_mode_16_64 0
		.amdhsa_float_denorm_mode_32 3
		.amdhsa_float_denorm_mode_16_64 3
		.amdhsa_fp16_overflow 0
		.amdhsa_memory_ordered 1
		.amdhsa_forward_progress 1
		.amdhsa_inst_pref_size 14
		.amdhsa_round_robin_scheduling 0
		.amdhsa_exception_fp_ieee_invalid_op 0
		.amdhsa_exception_fp_denorm_src 0
		.amdhsa_exception_fp_ieee_div_zero 0
		.amdhsa_exception_fp_ieee_overflow 0
		.amdhsa_exception_fp_ieee_underflow 0
		.amdhsa_exception_fp_ieee_inexact 0
		.amdhsa_exception_int_div_zero 0
	.end_amdhsa_kernel
	.section	.text._ZL23rocblas_trmm_rNx_kernelILi16E19rocblas_complex_numIdEPKS1_S2_S1_Ev13rocblas_fill_17rocblas_diagonal_iiT1_lPT2_llS8_llPT3_lli,"axG",@progbits,_ZL23rocblas_trmm_rNx_kernelILi16E19rocblas_complex_numIdEPKS1_S2_S1_Ev13rocblas_fill_17rocblas_diagonal_iiT1_lPT2_llS8_llPT3_lli,comdat
.Lfunc_end138:
	.size	_ZL23rocblas_trmm_rNx_kernelILi16E19rocblas_complex_numIdEPKS1_S2_S1_Ev13rocblas_fill_17rocblas_diagonal_iiT1_lPT2_llS8_llPT3_lli, .Lfunc_end138-_ZL23rocblas_trmm_rNx_kernelILi16E19rocblas_complex_numIdEPKS1_S2_S1_Ev13rocblas_fill_17rocblas_diagonal_iiT1_lPT2_llS8_llPT3_lli
                                        ; -- End function
	.set _ZL23rocblas_trmm_rNx_kernelILi16E19rocblas_complex_numIdEPKS1_S2_S1_Ev13rocblas_fill_17rocblas_diagonal_iiT1_lPT2_llS8_llPT3_lli.num_vgpr, 58
	.set _ZL23rocblas_trmm_rNx_kernelILi16E19rocblas_complex_numIdEPKS1_S2_S1_Ev13rocblas_fill_17rocblas_diagonal_iiT1_lPT2_llS8_llPT3_lli.num_agpr, 0
	.set _ZL23rocblas_trmm_rNx_kernelILi16E19rocblas_complex_numIdEPKS1_S2_S1_Ev13rocblas_fill_17rocblas_diagonal_iiT1_lPT2_llS8_llPT3_lli.numbered_sgpr, 36
	.set _ZL23rocblas_trmm_rNx_kernelILi16E19rocblas_complex_numIdEPKS1_S2_S1_Ev13rocblas_fill_17rocblas_diagonal_iiT1_lPT2_llS8_llPT3_lli.num_named_barrier, 0
	.set _ZL23rocblas_trmm_rNx_kernelILi16E19rocblas_complex_numIdEPKS1_S2_S1_Ev13rocblas_fill_17rocblas_diagonal_iiT1_lPT2_llS8_llPT3_lli.private_seg_size, 0
	.set _ZL23rocblas_trmm_rNx_kernelILi16E19rocblas_complex_numIdEPKS1_S2_S1_Ev13rocblas_fill_17rocblas_diagonal_iiT1_lPT2_llS8_llPT3_lli.uses_vcc, 1
	.set _ZL23rocblas_trmm_rNx_kernelILi16E19rocblas_complex_numIdEPKS1_S2_S1_Ev13rocblas_fill_17rocblas_diagonal_iiT1_lPT2_llS8_llPT3_lli.uses_flat_scratch, 0
	.set _ZL23rocblas_trmm_rNx_kernelILi16E19rocblas_complex_numIdEPKS1_S2_S1_Ev13rocblas_fill_17rocblas_diagonal_iiT1_lPT2_llS8_llPT3_lli.has_dyn_sized_stack, 0
	.set _ZL23rocblas_trmm_rNx_kernelILi16E19rocblas_complex_numIdEPKS1_S2_S1_Ev13rocblas_fill_17rocblas_diagonal_iiT1_lPT2_llS8_llPT3_lli.has_recursion, 0
	.set _ZL23rocblas_trmm_rNx_kernelILi16E19rocblas_complex_numIdEPKS1_S2_S1_Ev13rocblas_fill_17rocblas_diagonal_iiT1_lPT2_llS8_llPT3_lli.has_indirect_call, 0
	.section	.AMDGPU.csdata,"",@progbits
; Kernel info:
; codeLenInByte = 1672
; TotalNumSgprs: 38
; NumVgprs: 58
; ScratchSize: 0
; MemoryBound: 0
; FloatMode: 240
; IeeeMode: 1
; LDSByteSize: 8192 bytes/workgroup (compile time only)
; SGPRBlocks: 0
; VGPRBlocks: 3
; NumSGPRsForWavesPerEU: 38
; NumVGPRsForWavesPerEU: 58
; NamedBarCnt: 0
; Occupancy: 16
; WaveLimiterHint : 0
; COMPUTE_PGM_RSRC2:SCRATCH_EN: 0
; COMPUTE_PGM_RSRC2:USER_SGPR: 2
; COMPUTE_PGM_RSRC2:TRAP_HANDLER: 0
; COMPUTE_PGM_RSRC2:TGID_X_EN: 1
; COMPUTE_PGM_RSRC2:TGID_Y_EN: 0
; COMPUTE_PGM_RSRC2:TGID_Z_EN: 1
; COMPUTE_PGM_RSRC2:TIDIG_COMP_CNT: 1
	.section	.text._ZL23rocblas_trmm_rNx_kernelILi16E19rocblas_complex_numIdES1_KS1_S1_Ev13rocblas_fill_17rocblas_diagonal_iiT1_lPT2_llS7_llPT3_lli,"axG",@progbits,_ZL23rocblas_trmm_rNx_kernelILi16E19rocblas_complex_numIdES1_KS1_S1_Ev13rocblas_fill_17rocblas_diagonal_iiT1_lPT2_llS7_llPT3_lli,comdat
	.globl	_ZL23rocblas_trmm_rNx_kernelILi16E19rocblas_complex_numIdES1_KS1_S1_Ev13rocblas_fill_17rocblas_diagonal_iiT1_lPT2_llS7_llPT3_lli ; -- Begin function _ZL23rocblas_trmm_rNx_kernelILi16E19rocblas_complex_numIdES1_KS1_S1_Ev13rocblas_fill_17rocblas_diagonal_iiT1_lPT2_llS7_llPT3_lli
	.p2align	8
	.type	_ZL23rocblas_trmm_rNx_kernelILi16E19rocblas_complex_numIdES1_KS1_S1_Ev13rocblas_fill_17rocblas_diagonal_iiT1_lPT2_llS7_llPT3_lli,@function
_ZL23rocblas_trmm_rNx_kernelILi16E19rocblas_complex_numIdES1_KS1_S1_Ev13rocblas_fill_17rocblas_diagonal_iiT1_lPT2_llS7_llPT3_lli: ; @_ZL23rocblas_trmm_rNx_kernelILi16E19rocblas_complex_numIdES1_KS1_S1_Ev13rocblas_fill_17rocblas_diagonal_iiT1_lPT2_llS7_llPT3_lli
; %bb.0:
	s_load_b32 s33, s[0:1], 0x70
	s_bfe_u32 s2, ttmp6, 0x40014
	s_lshr_b32 s3, ttmp7, 16
	s_add_co_i32 s2, s2, 1
	s_bfe_u32 s5, ttmp6, 0x40008
	s_mul_i32 s4, s3, s2
	s_getreg_b32 s2, hwreg(HW_REG_IB_STS2, 6, 4)
	s_add_co_i32 s5, s5, s4
	s_cmp_eq_u32 s2, 0
	s_mov_b32 s29, 0
	s_cselect_b32 s28, s3, s5
	s_wait_kmcnt 0x0
	s_cmp_ge_u32 s28, s33
	s_cbranch_scc1 .LBB139_19
; %bb.1:
	s_clause 0x1
	s_load_b256 s[20:27], s[0:1], 0x0
	s_load_b512 s[4:19], s[0:1], 0x28
	v_bfe_u32 v4, v0, 10, 10
	v_mov_b32_e32 v2, 0
	s_load_b64 s[30:31], s[0:1], 0x68
	s_wait_xcnt 0x0
	s_bfe_u32 s0, ttmp6, 0x4000c
	v_and_b32_e32 v0, 0x3ff, v0
	v_dual_lshlrev_b32 v3, 4, v4 :: v_dual_mov_b32 v5, v2
	v_mov_b32_e32 v1, v2
	s_add_co_i32 s0, s0, 1
	s_delay_alu instid0(VALU_DEP_3)
	v_cmp_eq_u32_e32 vcc_lo, v4, v0
	v_cmp_gt_u32_e64 s1, v0, v4
	v_lshlrev_b32_e32 v11, 8, v4
	v_lshlrev_b64_e32 v[16:17], 4, v[0:1]
	v_add_lshl_u32 v12, v3, v0, 4
	v_lshl_add_u32 v10, v0, 4, 0x1000
	v_mov_b32_e32 v3, 0x3ff00000
	s_delay_alu instid0(VALU_DEP_3)
	v_add_nc_u32_e32 v13, 0x1000, v12
	s_wait_kmcnt 0x0
	v_cmp_neq_f64_e64 s3, s[24:25], 0
	v_cmp_neq_f64_e64 s34, s[26:27], 0
	v_mul_u64_e32 v[6:7], s[6:7], v[4:5]
	v_mul_u64_e32 v[8:9], s[12:13], v[4:5]
	;; [unrolled: 1-line block ×3, first 2 shown]
	s_add_co_i32 s12, s22, -1
	s_and_b32 s6, ttmp6, 15
	s_mul_i32 s7, ttmp9, s0
	s_ashr_i32 s13, s12, 31
	s_add_co_i32 s7, s6, s7
	s_lshr_b32 s6, s13, 28
	v_cmp_lt_u32_e64 s0, v0, v4
	s_add_co_i32 s12, s12, s6
	s_delay_alu instid0(SALU_CYCLE_1)
	s_and_b32 s6, s12, -16
	s_ashr_i32 s12, s12, 4
	s_sub_co_i32 s13, s22, s6
	s_or_b32 s6, s3, s34
	s_cmp_eq_u32 s2, 0
	v_cmp_gt_i32_e64 s2, s23, v4
	s_cselect_b32 s7, ttmp9, s7
	v_cmp_gt_i32_e64 s3, s23, v0
	s_cmp_ge_i32 s7, s12
	v_lshl_add_u64 v[4:5], v[6:7], 4, s[4:5]
	s_cselect_b32 s18, s13, 16
	s_lshl_b32 s12, s7, 4
	v_cmp_gt_i32_e64 s4, s18, v0
	s_ashr_i32 s13, s12, 31
	s_and_b32 s3, s2, s3
	s_lshl_b64 s[12:13], s[12:13], 4
	v_add_nc_u64_e32 v[0:1], v[4:5], v[16:17]
	s_add_nc_u64 s[10:11], s[10:11], s[12:13]
	s_add_nc_u64 s[12:13], s[16:17], s[12:13]
	v_lshl_add_u64 v[6:7], v[8:9], 4, s[10:11]
	v_lshl_add_u64 v[8:9], v[14:15], 4, s[12:13]
	s_and_b32 s2, s2, s4
	s_cmp_eq_u32 s21, 0x84
	s_cselect_b32 s4, -1, 0
	v_add_nc_u64_e32 v[6:7], v[6:7], v[16:17]
	v_add_nc_u64_e32 v[8:9], v[8:9], v[16:17]
	s_and_b32 s4, vcc_lo, s4
	s_cmp_lg_u32 s20, 0x79
	s_cselect_b32 s5, -1, 0
	s_branch .LBB139_4
.LBB139_2:                              ;   in Loop: Header=BB139_4 Depth=1
	s_wait_xcnt 0x0
	s_or_b32 exec_lo, exec_lo, s7
.LBB139_3:                              ;   in Loop: Header=BB139_4 Depth=1
	s_add_co_i32 s28, s28, 0x10000
	s_delay_alu instid0(SALU_CYCLE_1)
	s_cmp_lt_u32 s28, s33
	s_cbranch_scc0 .LBB139_19
.LBB139_4:                              ; =>This Inner Loop Header: Depth=1
	s_and_not1_b32 vcc_lo, exec_lo, s6
	s_cbranch_vccnz .LBB139_3
; %bb.5:                                ;   in Loop: Header=BB139_4 Depth=1
	s_mov_b32 s16, s29
	s_mov_b32 s17, s29
	s_mov_b32 s18, s29
	s_mov_b32 s19, s29
	v_mov_b64_e32 v[14:15], s[16:17]
	v_mov_b64_e32 v[16:17], s[18:19]
	ds_store_b128 v12, v[14:17]
	ds_store_b128 v13, v[14:17]
	s_and_saveexec_b32 s7, s3
	s_cbranch_execnz .LBB139_10
; %bb.6:                                ;   in Loop: Header=BB139_4 Depth=1
	s_or_b32 exec_lo, exec_lo, s7
	s_and_saveexec_b32 s7, s2
	s_cbranch_execnz .LBB139_11
.LBB139_7:                              ;   in Loop: Header=BB139_4 Depth=1
	s_or_b32 exec_lo, exec_lo, s7
	s_and_saveexec_b32 s7, s4
	s_cbranch_execnz .LBB139_12
.LBB139_8:                              ;   in Loop: Header=BB139_4 Depth=1
	s_or_b32 exec_lo, exec_lo, s7
	s_delay_alu instid0(SALU_CYCLE_1)
	s_and_b32 vcc_lo, exec_lo, s5
	s_cbranch_vccz .LBB139_13
.LBB139_9:                              ;   in Loop: Header=BB139_4 Depth=1
	s_and_b32 s7, s0, exec_lo
	s_cbranch_execz .LBB139_14
	s_branch .LBB139_15
.LBB139_10:                             ;   in Loop: Header=BB139_4 Depth=1
	s_mul_u64 s[10:11], s[8:9], s[28:29]
	s_delay_alu instid0(SALU_CYCLE_1)
	v_lshl_add_u64 v[4:5], s[10:11], 4, v[0:1]
	global_load_b128 v[14:17], v[4:5], off
	s_wait_loadcnt 0x0
	ds_store_2addr_b64 v12, v[14:15], v[16:17] offset1:1
	s_wait_xcnt 0x0
	s_or_b32 exec_lo, exec_lo, s7
	s_and_saveexec_b32 s7, s2
	s_cbranch_execz .LBB139_7
.LBB139_11:                             ;   in Loop: Header=BB139_4 Depth=1
	s_mul_u64 s[10:11], s[14:15], s[28:29]
	s_delay_alu instid0(SALU_CYCLE_1)
	v_lshl_add_u64 v[4:5], s[10:11], 4, v[6:7]
	global_load_b128 v[14:17], v[4:5], off
	s_wait_loadcnt 0x0
	ds_store_2addr_b64 v13, v[14:15], v[16:17] offset1:1
	s_wait_xcnt 0x0
	s_or_b32 exec_lo, exec_lo, s7
	s_and_saveexec_b32 s7, s4
	s_cbranch_execz .LBB139_8
.LBB139_12:                             ;   in Loop: Header=BB139_4 Depth=1
	v_dual_mov_b32 v4, v2 :: v_dual_mov_b32 v5, v2
	ds_store_b128 v12, v[2:5]
	s_or_b32 exec_lo, exec_lo, s7
	s_delay_alu instid0(SALU_CYCLE_1)
	s_and_b32 vcc_lo, exec_lo, s5
	s_cbranch_vccnz .LBB139_9
.LBB139_13:                             ;   in Loop: Header=BB139_4 Depth=1
	s_mov_b32 s7, 0
.LBB139_14:                             ;   in Loop: Header=BB139_4 Depth=1
	s_delay_alu instid0(SALU_CYCLE_1) | instskip(SKIP_1) | instid1(SALU_CYCLE_1)
	s_and_not1_b32 s7, s7, exec_lo
	s_and_b32 s10, s1, exec_lo
	s_or_b32 s7, s7, s10
.LBB139_15:                             ;   in Loop: Header=BB139_4 Depth=1
	s_delay_alu instid0(SALU_CYCLE_1)
	s_and_saveexec_b32 s10, s7
; %bb.16:                               ;   in Loop: Header=BB139_4 Depth=1
	v_dual_mov_b32 v14, v2 :: v_dual_mov_b32 v15, v2
	v_dual_mov_b32 v16, v2 :: v_dual_mov_b32 v17, v2
	ds_store_b128 v12, v[14:17]
; %bb.17:                               ;   in Loop: Header=BB139_4 Depth=1
	s_or_b32 exec_lo, exec_lo, s10
	s_wait_dscnt 0x0
	s_barrier_signal -1
	s_barrier_wait -1
	s_and_saveexec_b32 s7, s2
	s_cbranch_execz .LBB139_2
; %bb.18:                               ;   in Loop: Header=BB139_4 Depth=1
	ds_load_b128 v[14:17], v10
	ds_load_b128 v[18:21], v11
	ds_load_b128 v[22:25], v11 offset:16
	ds_load_b128 v[26:29], v10 offset:256
	;; [unrolled: 1-line block ×6, first 2 shown]
	s_mul_u64 s[10:11], s[30:31], s[28:29]
	s_wait_dscnt 0x6
	v_mul_f64_e32 v[4:5], v[18:19], v[16:17]
	v_mul_f64_e32 v[16:17], v[20:21], v[16:17]
	s_wait_dscnt 0x4
	v_mul_f64_e32 v[46:47], v[22:23], v[28:29]
	s_wait_dscnt 0x2
	;; [unrolled: 2-line block ×3, first 2 shown]
	v_mul_f64_e32 v[50:51], v[38:39], v[44:45]
	v_mul_f64_e32 v[32:33], v[36:37], v[32:33]
	;; [unrolled: 1-line block ×3, first 2 shown]
	v_fmac_f64_e32 v[4:5], v[20:21], v[14:15]
	v_mul_f64_e32 v[20:21], v[24:25], v[28:29]
	v_fmac_f64_e32 v[46:47], v[24:25], v[26:27]
	v_fma_f64 v[14:15], v[18:19], v[14:15], -v[16:17]
	v_fmac_f64_e32 v[48:49], v[36:37], v[30:31]
	v_fmac_f64_e32 v[50:51], v[40:41], v[42:43]
	v_fma_f64 v[30:31], v[34:35], v[30:31], -v[32:33]
	v_add_f64_e32 v[4:5], 0, v[4:5]
	v_fma_f64 v[36:37], v[22:23], v[26:27], -v[20:21]
	v_add_f64_e32 v[52:53], 0, v[14:15]
	ds_load_b128 v[14:17], v10 offset:1024
	ds_load_b128 v[18:21], v11 offset:64
	;; [unrolled: 1-line block ×4, first 2 shown]
	v_add_f64_e32 v[4:5], v[4:5], v[46:47]
	s_wait_dscnt 0x2
	v_mul_f64_e32 v[46:47], v[18:19], v[16:17]
	v_mul_f64_e32 v[16:17], v[20:21], v[16:17]
	v_add_f64_e32 v[32:33], v[52:53], v[36:37]
	s_delay_alu instid0(VALU_DEP_4)
	v_add_f64_e32 v[4:5], v[4:5], v[48:49]
	s_wait_dscnt 0x0
	v_mul_f64_e32 v[48:49], v[22:23], v[28:29]
	v_fmac_f64_e32 v[46:47], v[20:21], v[14:15]
	v_fma_f64 v[20:21], v[38:39], v[42:43], -v[44:45]
	v_add_f64_e32 v[52:53], v[32:33], v[30:31]
	ds_load_b128 v[30:33], v10 offset:1536
	ds_load_b128 v[34:37], v11 offset:96
	ds_load_b128 v[38:41], v11 offset:112
	ds_load_b128 v[42:45], v10 offset:1792
	v_mul_f64_e32 v[28:29], v[24:25], v[28:29]
	v_fma_f64 v[14:15], v[18:19], v[14:15], -v[16:17]
	v_add_f64_e32 v[4:5], v[4:5], v[50:51]
	s_wait_dscnt 0x2
	v_mul_f64_e32 v[50:51], v[34:35], v[32:33]
	v_fmac_f64_e32 v[48:49], v[24:25], v[26:27]
	v_mul_f64_e32 v[32:33], v[36:37], v[32:33]
	v_add_f64_e32 v[16:17], v[52:53], v[20:21]
	v_add_f64_e32 v[4:5], v[4:5], v[46:47]
	s_wait_dscnt 0x0
	v_mul_f64_e32 v[46:47], v[38:39], v[44:45]
	v_fmac_f64_e32 v[50:51], v[36:37], v[30:31]
	v_fma_f64 v[36:37], v[22:23], v[26:27], -v[28:29]
	v_add_f64_e32 v[52:53], v[16:17], v[14:15]
	ds_load_b128 v[14:17], v10 offset:2048
	ds_load_b128 v[18:21], v11 offset:128
	ds_load_b128 v[22:25], v11 offset:144
	ds_load_b128 v[26:29], v10 offset:2304
	v_mul_f64_e32 v[44:45], v[40:41], v[44:45]
	v_fma_f64 v[30:31], v[34:35], v[30:31], -v[32:33]
	v_add_f64_e32 v[4:5], v[4:5], v[48:49]
	s_wait_dscnt 0x2
	v_mul_f64_e32 v[48:49], v[18:19], v[16:17]
	v_fmac_f64_e32 v[46:47], v[40:41], v[42:43]
	v_mul_f64_e32 v[16:17], v[20:21], v[16:17]
	v_add_f64_e32 v[32:33], v[52:53], v[36:37]
	;; [unrolled: 18-line block ×4, first 2 shown]
	v_add_f64_e32 v[4:5], v[4:5], v[46:47]
	s_wait_dscnt 0x0
	v_mul_f64_e32 v[46:47], v[22:23], v[28:29]
	v_fmac_f64_e32 v[50:51], v[20:21], v[14:15]
	v_fma_f64 v[20:21], v[38:39], v[42:43], -v[44:45]
	v_add_f64_e32 v[52:53], v[32:33], v[30:31]
	ds_load_b128 v[30:33], v10 offset:3584
	ds_load_b128 v[34:37], v11 offset:224
	;; [unrolled: 1-line block ×4, first 2 shown]
	v_mul_f64_e32 v[28:29], v[24:25], v[28:29]
	v_fma_f64 v[14:15], v[18:19], v[14:15], -v[16:17]
	s_wait_dscnt 0x0
	v_mul_f64_e32 v[18:19], v[38:39], v[44:45]
	v_add_f64_e32 v[4:5], v[4:5], v[48:49]
	v_mul_f64_e32 v[48:49], v[34:35], v[32:33]
	v_fmac_f64_e32 v[46:47], v[24:25], v[26:27]
	v_add_f64_e32 v[16:17], v[52:53], v[20:21]
	v_mul_f64_e32 v[20:21], v[36:37], v[32:33]
	v_fma_f64 v[22:23], v[22:23], v[26:27], -v[28:29]
	v_fmac_f64_e32 v[18:19], v[40:41], v[42:43]
	v_add_f64_e32 v[4:5], v[4:5], v[50:51]
	v_fmac_f64_e32 v[48:49], v[36:37], v[30:31]
	v_add_f64_e32 v[14:15], v[16:17], v[14:15]
	v_mul_f64_e32 v[16:17], v[40:41], v[44:45]
	v_fma_f64 v[20:21], v[34:35], v[30:31], -v[20:21]
	v_add_f64_e32 v[4:5], v[4:5], v[46:47]
	s_delay_alu instid0(VALU_DEP_4) | instskip(NEXT) | instid1(VALU_DEP_4)
	v_add_f64_e32 v[14:15], v[14:15], v[22:23]
	v_fma_f64 v[16:17], v[38:39], v[42:43], -v[16:17]
	s_delay_alu instid0(VALU_DEP_3) | instskip(NEXT) | instid1(VALU_DEP_3)
	v_add_f64_e32 v[4:5], v[4:5], v[48:49]
	v_add_f64_e32 v[14:15], v[14:15], v[20:21]
	s_delay_alu instid0(VALU_DEP_2) | instskip(NEXT) | instid1(VALU_DEP_2)
	v_add_f64_e32 v[4:5], v[4:5], v[18:19]
	v_add_f64_e32 v[14:15], v[14:15], v[16:17]
	s_delay_alu instid0(VALU_DEP_2) | instskip(SKIP_1) | instid1(VALU_DEP_2)
	v_mul_f64_e32 v[16:17], s[24:25], v[4:5]
	v_mul_f64_e32 v[4:5], s[26:27], v[4:5]
	v_fmac_f64_e32 v[16:17], s[26:27], v[14:15]
	s_delay_alu instid0(VALU_DEP_2)
	v_fma_f64 v[14:15], s[24:25], v[14:15], -v[4:5]
	v_lshl_add_u64 v[4:5], s[10:11], 4, v[8:9]
	global_store_b128 v[4:5], v[14:17], off
	s_branch .LBB139_2
.LBB139_19:
	s_endpgm
	.section	.rodata,"a",@progbits
	.p2align	6, 0x0
	.amdhsa_kernel _ZL23rocblas_trmm_rNx_kernelILi16E19rocblas_complex_numIdES1_KS1_S1_Ev13rocblas_fill_17rocblas_diagonal_iiT1_lPT2_llS7_llPT3_lli
		.amdhsa_group_segment_fixed_size 8192
		.amdhsa_private_segment_fixed_size 0
		.amdhsa_kernarg_size 116
		.amdhsa_user_sgpr_count 2
		.amdhsa_user_sgpr_dispatch_ptr 0
		.amdhsa_user_sgpr_queue_ptr 0
		.amdhsa_user_sgpr_kernarg_segment_ptr 1
		.amdhsa_user_sgpr_dispatch_id 0
		.amdhsa_user_sgpr_kernarg_preload_length 0
		.amdhsa_user_sgpr_kernarg_preload_offset 0
		.amdhsa_user_sgpr_private_segment_size 0
		.amdhsa_wavefront_size32 1
		.amdhsa_uses_dynamic_stack 0
		.amdhsa_enable_private_segment 0
		.amdhsa_system_sgpr_workgroup_id_x 1
		.amdhsa_system_sgpr_workgroup_id_y 0
		.amdhsa_system_sgpr_workgroup_id_z 1
		.amdhsa_system_sgpr_workgroup_info 0
		.amdhsa_system_vgpr_workitem_id 1
		.amdhsa_next_free_vgpr 54
		.amdhsa_next_free_sgpr 35
		.amdhsa_named_barrier_count 0
		.amdhsa_reserve_vcc 1
		.amdhsa_float_round_mode_32 0
		.amdhsa_float_round_mode_16_64 0
		.amdhsa_float_denorm_mode_32 3
		.amdhsa_float_denorm_mode_16_64 3
		.amdhsa_fp16_overflow 0
		.amdhsa_memory_ordered 1
		.amdhsa_forward_progress 1
		.amdhsa_inst_pref_size 13
		.amdhsa_round_robin_scheduling 0
		.amdhsa_exception_fp_ieee_invalid_op 0
		.amdhsa_exception_fp_denorm_src 0
		.amdhsa_exception_fp_ieee_div_zero 0
		.amdhsa_exception_fp_ieee_overflow 0
		.amdhsa_exception_fp_ieee_underflow 0
		.amdhsa_exception_fp_ieee_inexact 0
		.amdhsa_exception_int_div_zero 0
	.end_amdhsa_kernel
	.section	.text._ZL23rocblas_trmm_rNx_kernelILi16E19rocblas_complex_numIdES1_KS1_S1_Ev13rocblas_fill_17rocblas_diagonal_iiT1_lPT2_llS7_llPT3_lli,"axG",@progbits,_ZL23rocblas_trmm_rNx_kernelILi16E19rocblas_complex_numIdES1_KS1_S1_Ev13rocblas_fill_17rocblas_diagonal_iiT1_lPT2_llS7_llPT3_lli,comdat
.Lfunc_end139:
	.size	_ZL23rocblas_trmm_rNx_kernelILi16E19rocblas_complex_numIdES1_KS1_S1_Ev13rocblas_fill_17rocblas_diagonal_iiT1_lPT2_llS7_llPT3_lli, .Lfunc_end139-_ZL23rocblas_trmm_rNx_kernelILi16E19rocblas_complex_numIdES1_KS1_S1_Ev13rocblas_fill_17rocblas_diagonal_iiT1_lPT2_llS7_llPT3_lli
                                        ; -- End function
	.set _ZL23rocblas_trmm_rNx_kernelILi16E19rocblas_complex_numIdES1_KS1_S1_Ev13rocblas_fill_17rocblas_diagonal_iiT1_lPT2_llS7_llPT3_lli.num_vgpr, 54
	.set _ZL23rocblas_trmm_rNx_kernelILi16E19rocblas_complex_numIdES1_KS1_S1_Ev13rocblas_fill_17rocblas_diagonal_iiT1_lPT2_llS7_llPT3_lli.num_agpr, 0
	.set _ZL23rocblas_trmm_rNx_kernelILi16E19rocblas_complex_numIdES1_KS1_S1_Ev13rocblas_fill_17rocblas_diagonal_iiT1_lPT2_llS7_llPT3_lli.numbered_sgpr, 35
	.set _ZL23rocblas_trmm_rNx_kernelILi16E19rocblas_complex_numIdES1_KS1_S1_Ev13rocblas_fill_17rocblas_diagonal_iiT1_lPT2_llS7_llPT3_lli.num_named_barrier, 0
	.set _ZL23rocblas_trmm_rNx_kernelILi16E19rocblas_complex_numIdES1_KS1_S1_Ev13rocblas_fill_17rocblas_diagonal_iiT1_lPT2_llS7_llPT3_lli.private_seg_size, 0
	.set _ZL23rocblas_trmm_rNx_kernelILi16E19rocblas_complex_numIdES1_KS1_S1_Ev13rocblas_fill_17rocblas_diagonal_iiT1_lPT2_llS7_llPT3_lli.uses_vcc, 1
	.set _ZL23rocblas_trmm_rNx_kernelILi16E19rocblas_complex_numIdES1_KS1_S1_Ev13rocblas_fill_17rocblas_diagonal_iiT1_lPT2_llS7_llPT3_lli.uses_flat_scratch, 0
	.set _ZL23rocblas_trmm_rNx_kernelILi16E19rocblas_complex_numIdES1_KS1_S1_Ev13rocblas_fill_17rocblas_diagonal_iiT1_lPT2_llS7_llPT3_lli.has_dyn_sized_stack, 0
	.set _ZL23rocblas_trmm_rNx_kernelILi16E19rocblas_complex_numIdES1_KS1_S1_Ev13rocblas_fill_17rocblas_diagonal_iiT1_lPT2_llS7_llPT3_lli.has_recursion, 0
	.set _ZL23rocblas_trmm_rNx_kernelILi16E19rocblas_complex_numIdES1_KS1_S1_Ev13rocblas_fill_17rocblas_diagonal_iiT1_lPT2_llS7_llPT3_lli.has_indirect_call, 0
	.section	.AMDGPU.csdata,"",@progbits
; Kernel info:
; codeLenInByte = 1632
; TotalNumSgprs: 37
; NumVgprs: 54
; ScratchSize: 0
; MemoryBound: 0
; FloatMode: 240
; IeeeMode: 1
; LDSByteSize: 8192 bytes/workgroup (compile time only)
; SGPRBlocks: 0
; VGPRBlocks: 3
; NumSGPRsForWavesPerEU: 37
; NumVGPRsForWavesPerEU: 54
; NamedBarCnt: 0
; Occupancy: 16
; WaveLimiterHint : 1
; COMPUTE_PGM_RSRC2:SCRATCH_EN: 0
; COMPUTE_PGM_RSRC2:USER_SGPR: 2
; COMPUTE_PGM_RSRC2:TRAP_HANDLER: 0
; COMPUTE_PGM_RSRC2:TGID_X_EN: 1
; COMPUTE_PGM_RSRC2:TGID_Y_EN: 0
; COMPUTE_PGM_RSRC2:TGID_Z_EN: 1
; COMPUTE_PGM_RSRC2:TIDIG_COMP_CNT: 1
	.section	.text._ZL23rocblas_trmm_rTx_kernelILi16ELb0E19rocblas_complex_numIdEPKS1_S2_S1_Ev13rocblas_fill_17rocblas_diagonal_iiT2_lPT3_llS8_llPT4_lli,"axG",@progbits,_ZL23rocblas_trmm_rTx_kernelILi16ELb0E19rocblas_complex_numIdEPKS1_S2_S1_Ev13rocblas_fill_17rocblas_diagonal_iiT2_lPT3_llS8_llPT4_lli,comdat
	.globl	_ZL23rocblas_trmm_rTx_kernelILi16ELb0E19rocblas_complex_numIdEPKS1_S2_S1_Ev13rocblas_fill_17rocblas_diagonal_iiT2_lPT3_llS8_llPT4_lli ; -- Begin function _ZL23rocblas_trmm_rTx_kernelILi16ELb0E19rocblas_complex_numIdEPKS1_S2_S1_Ev13rocblas_fill_17rocblas_diagonal_iiT2_lPT3_llS8_llPT4_lli
	.p2align	8
	.type	_ZL23rocblas_trmm_rTx_kernelILi16ELb0E19rocblas_complex_numIdEPKS1_S2_S1_Ev13rocblas_fill_17rocblas_diagonal_iiT2_lPT3_llS8_llPT4_lli,@function
_ZL23rocblas_trmm_rTx_kernelILi16ELb0E19rocblas_complex_numIdEPKS1_S2_S1_Ev13rocblas_fill_17rocblas_diagonal_iiT2_lPT3_llS8_llPT4_lli: ; @_ZL23rocblas_trmm_rTx_kernelILi16ELb0E19rocblas_complex_numIdEPKS1_S2_S1_Ev13rocblas_fill_17rocblas_diagonal_iiT2_lPT3_llS8_llPT4_lli
; %bb.0:
	s_load_b32 s5, s[0:1], 0x68
	s_bfe_u32 s2, ttmp6, 0x40014
	s_lshr_b32 s3, ttmp7, 16
	s_add_co_i32 s2, s2, 1
	s_bfe_u32 s6, ttmp6, 0x40008
	s_mul_i32 s4, s3, s2
	s_getreg_b32 s2, hwreg(HW_REG_IB_STS2, 6, 4)
	s_add_co_i32 s6, s6, s4
	s_cmp_eq_u32 s2, 0
	s_mov_b32 s7, 0
	s_cselect_b32 s6, s3, s6
	s_wait_kmcnt 0x0
	s_cmp_ge_u32 s6, s5
	s_cbranch_scc1 .LBB140_19
; %bb.1:
	s_clause 0x3
	s_load_b128 s[24:27], s[0:1], 0x0
	s_load_b512 s[8:23], s[0:1], 0x10
	s_load_b128 s[28:31], s[0:1], 0x50
	s_load_b64 s[34:35], s[0:1], 0x60
	v_bfe_u32 v4, v0, 10, 10
	v_mov_b32_e32 v2, 0
	v_and_b32_e32 v6, 0x3ff, v0
	s_wait_xcnt 0x0
	s_bfe_u32 s0, ttmp6, 0x4000c
	s_and_b32 s1, ttmp6, 15
	v_dual_mov_b32 v5, v2 :: v_dual_lshlrev_b32 v14, 4, v4
	v_mov_b32_e32 v7, v2
	s_add_co_i32 s0, s0, 1
	v_cmp_eq_u32_e32 vcc_lo, v4, v6
	s_mul_i32 s3, ttmp9, s0
	v_add_lshl_u32 v15, v14, v6, 4
	s_add_co_i32 s3, s1, s3
	v_lshl_add_u32 v17, v6, 4, 0x1000
	v_mov_b32_e32 v3, 0x3ff00000
	s_delay_alu instid0(VALU_DEP_3)
	v_add_nc_u32_e32 v16, 0x1000, v15
	s_wait_kmcnt 0x0
	v_mul_u64_e32 v[0:1], s[14:15], v[4:5]
	v_mul_u64_e32 v[8:9], s[20:21], v[4:5]
	;; [unrolled: 1-line block ×3, first 2 shown]
	s_add_co_i32 s4, s26, -1
	s_delay_alu instid0(SALU_CYCLE_1) | instskip(NEXT) | instid1(SALU_CYCLE_1)
	s_ashr_i32 s0, s4, 31
	s_lshr_b32 s14, s0, 28
	v_cmp_lt_u32_e64 s0, v6, v4
	s_add_co_i32 s4, s4, s14
	s_delay_alu instid0(SALU_CYCLE_1)
	s_and_b32 s1, s4, -16
	s_ashr_i32 s4, s4, 4
	s_sub_co_i32 s14, s26, s1
	s_cmp_eq_u32 s2, 0
	v_cmp_gt_i32_e64 s2, s27, v4
	s_cselect_b32 s3, ttmp9, s3
	v_cmp_gt_u32_e64 s1, v6, v4
	s_cmp_ge_i32 s3, s4
	v_lshlrev_b64_e32 v[4:5], 4, v[6:7]
	s_cselect_b32 s4, s14, 16
	s_lshl_b32 s14, s3, 4
	v_cmp_gt_i32_e64 s3, s27, v6
	s_ashr_i32 s15, s14, 31
	v_cmp_gt_i32_e64 s4, s4, v6
	s_lshl_b64 s[14:15], s[14:15], 4
	s_delay_alu instid0(SALU_CYCLE_1)
	s_add_nc_u64 s[18:19], s[18:19], s[14:15]
	s_add_nc_u64 s[14:15], s[28:29], s[14:15]
	s_and_b32 s3, s2, s3
	s_and_b32 s4, s2, s4
	s_cmp_eq_u32 s25, 0x84
	v_lshl_add_u64 v[0:1], v[0:1], 4, s[12:13]
	v_lshl_add_u64 v[8:9], v[8:9], 4, s[18:19]
	;; [unrolled: 1-line block ×3, first 2 shown]
	s_cselect_b32 s2, -1, 0
	s_delay_alu instid0(SALU_CYCLE_1)
	s_and_b32 s12, vcc_lo, s2
	v_add_nc_u64_e32 v[0:1], v[0:1], v[4:5]
	v_add_nc_u64_e32 v[10:11], v[8:9], v[4:5]
	;; [unrolled: 1-line block ×3, first 2 shown]
	s_cmp_lg_u32 s24, 0x79
	s_cselect_b32 s13, -1, 0
	s_branch .LBB140_4
.LBB140_2:                              ;   in Loop: Header=BB140_4 Depth=1
	s_wait_xcnt 0x0
	s_or_b32 exec_lo, exec_lo, s2
.LBB140_3:                              ;   in Loop: Header=BB140_4 Depth=1
	s_add_co_i32 s6, s6, 0x10000
	s_delay_alu instid0(SALU_CYCLE_1)
	s_cmp_lt_u32 s6, s5
	s_cbranch_scc0 .LBB140_19
.LBB140_4:                              ; =>This Inner Loop Header: Depth=1
	s_wait_xcnt 0x0
	s_mul_u64 s[14:15], s[10:11], s[6:7]
	s_delay_alu instid0(SALU_CYCLE_1) | instskip(NEXT) | instid1(SALU_CYCLE_1)
	s_lshl_b64 s[14:15], s[14:15], 4
	s_add_nc_u64 s[14:15], s[8:9], s[14:15]
	global_load_b128 v[6:9], v2, s[14:15]
	s_wait_loadcnt 0x0
	v_cmp_neq_f64_e32 vcc_lo, 0, v[6:7]
	v_cmp_neq_f64_e64 s2, 0, v[8:9]
	s_or_b32 s2, vcc_lo, s2
	s_delay_alu instid0(SALU_CYCLE_1)
	s_and_not1_b32 vcc_lo, exec_lo, s2
	s_cbranch_vccnz .LBB140_3
; %bb.5:                                ;   in Loop: Header=BB140_4 Depth=1
	s_mov_b32 s24, s7
	s_mov_b32 s25, s7
	s_mov_b32 s26, s7
	s_mov_b32 s27, s7
	v_mov_b64_e32 v[18:19], s[24:25]
	v_mov_b64_e32 v[20:21], s[26:27]
	ds_store_b128 v15, v[18:21]
	ds_store_b128 v16, v[18:21]
	s_wait_xcnt 0x0
	s_and_saveexec_b32 s2, s3
	s_cbranch_execnz .LBB140_10
; %bb.6:                                ;   in Loop: Header=BB140_4 Depth=1
	s_or_b32 exec_lo, exec_lo, s2
	s_and_saveexec_b32 s2, s4
	s_cbranch_execnz .LBB140_11
.LBB140_7:                              ;   in Loop: Header=BB140_4 Depth=1
	s_or_b32 exec_lo, exec_lo, s2
	s_and_saveexec_b32 s2, s12
	s_cbranch_execnz .LBB140_12
.LBB140_8:                              ;   in Loop: Header=BB140_4 Depth=1
	s_or_b32 exec_lo, exec_lo, s2
	s_delay_alu instid0(SALU_CYCLE_1)
	s_and_b32 vcc_lo, exec_lo, s13
	s_cbranch_vccz .LBB140_13
.LBB140_9:                              ;   in Loop: Header=BB140_4 Depth=1
	s_and_b32 s2, s0, exec_lo
	s_cbranch_execz .LBB140_14
	s_branch .LBB140_15
.LBB140_10:                             ;   in Loop: Header=BB140_4 Depth=1
	s_mul_u64 s[14:15], s[16:17], s[6:7]
	s_delay_alu instid0(SALU_CYCLE_1)
	v_lshl_add_u64 v[4:5], s[14:15], 4, v[0:1]
	global_load_b128 v[18:21], v[4:5], off
	s_wait_loadcnt 0x0
	ds_store_2addr_b64 v15, v[18:19], v[20:21] offset1:1
	s_wait_xcnt 0x0
	s_or_b32 exec_lo, exec_lo, s2
	s_and_saveexec_b32 s2, s4
	s_cbranch_execz .LBB140_7
.LBB140_11:                             ;   in Loop: Header=BB140_4 Depth=1
	s_mul_u64 s[14:15], s[22:23], s[6:7]
	s_delay_alu instid0(SALU_CYCLE_1)
	v_lshl_add_u64 v[4:5], s[14:15], 4, v[10:11]
	global_load_b128 v[18:21], v[4:5], off
	s_wait_loadcnt 0x0
	ds_store_2addr_b64 v16, v[18:19], v[20:21] offset1:1
	s_wait_xcnt 0x0
	s_or_b32 exec_lo, exec_lo, s2
	s_and_saveexec_b32 s2, s12
	s_cbranch_execz .LBB140_8
.LBB140_12:                             ;   in Loop: Header=BB140_4 Depth=1
	v_dual_mov_b32 v4, v2 :: v_dual_mov_b32 v5, v2
	ds_store_b128 v15, v[2:5]
	s_or_b32 exec_lo, exec_lo, s2
	s_delay_alu instid0(SALU_CYCLE_1)
	s_and_b32 vcc_lo, exec_lo, s13
	s_cbranch_vccnz .LBB140_9
.LBB140_13:                             ;   in Loop: Header=BB140_4 Depth=1
	s_mov_b32 s2, 0
.LBB140_14:                             ;   in Loop: Header=BB140_4 Depth=1
	s_delay_alu instid0(SALU_CYCLE_1) | instskip(SKIP_1) | instid1(SALU_CYCLE_1)
	s_and_not1_b32 s2, s2, exec_lo
	s_and_b32 s14, s1, exec_lo
	s_or_b32 s2, s2, s14
.LBB140_15:                             ;   in Loop: Header=BB140_4 Depth=1
	s_delay_alu instid0(SALU_CYCLE_1)
	s_and_saveexec_b32 s14, s2
; %bb.16:                               ;   in Loop: Header=BB140_4 Depth=1
	v_dual_mov_b32 v18, v2 :: v_dual_mov_b32 v19, v2
	v_dual_mov_b32 v20, v2 :: v_dual_mov_b32 v21, v2
	ds_store_b128 v15, v[18:21]
; %bb.17:                               ;   in Loop: Header=BB140_4 Depth=1
	s_or_b32 exec_lo, exec_lo, s14
	s_wait_dscnt 0x0
	s_barrier_signal -1
	s_barrier_wait -1
	s_and_saveexec_b32 s2, s4
	s_cbranch_execz .LBB140_2
; %bb.18:                               ;   in Loop: Header=BB140_4 Depth=1
	ds_load_b128 v[18:21], v17
	ds_load_b128 v[22:25], v14
	ds_load_b128 v[26:29], v14 offset:256
	ds_load_b128 v[30:33], v17 offset:256
	;; [unrolled: 1-line block ×6, first 2 shown]
	s_mul_u64 s[14:15], s[34:35], s[6:7]
	s_wait_dscnt 0x6
	v_mul_f64_e32 v[4:5], v[22:23], v[20:21]
	v_mul_f64_e32 v[20:21], v[24:25], v[20:21]
	s_wait_dscnt 0x4
	v_mul_f64_e32 v[50:51], v[26:27], v[32:33]
	s_wait_dscnt 0x2
	;; [unrolled: 2-line block ×3, first 2 shown]
	v_mul_f64_e32 v[54:55], v[42:43], v[48:49]
	v_mul_f64_e32 v[36:37], v[40:41], v[36:37]
	;; [unrolled: 1-line block ×3, first 2 shown]
	v_fmac_f64_e32 v[4:5], v[24:25], v[18:19]
	v_mul_f64_e32 v[24:25], v[28:29], v[32:33]
	v_fmac_f64_e32 v[50:51], v[28:29], v[30:31]
	v_fma_f64 v[18:19], v[22:23], v[18:19], -v[20:21]
	v_fmac_f64_e32 v[52:53], v[40:41], v[34:35]
	v_fmac_f64_e32 v[54:55], v[44:45], v[46:47]
	v_fma_f64 v[34:35], v[38:39], v[34:35], -v[36:37]
	v_add_f64_e32 v[4:5], 0, v[4:5]
	v_fma_f64 v[40:41], v[26:27], v[30:31], -v[24:25]
	v_add_f64_e32 v[56:57], 0, v[18:19]
	ds_load_b128 v[18:21], v17 offset:1024
	ds_load_b128 v[22:25], v14 offset:1024
	;; [unrolled: 1-line block ×4, first 2 shown]
	v_add_f64_e32 v[4:5], v[4:5], v[50:51]
	s_wait_dscnt 0x2
	v_mul_f64_e32 v[50:51], v[22:23], v[20:21]
	v_mul_f64_e32 v[20:21], v[24:25], v[20:21]
	v_add_f64_e32 v[36:37], v[56:57], v[40:41]
	s_delay_alu instid0(VALU_DEP_4)
	v_add_f64_e32 v[4:5], v[4:5], v[52:53]
	s_wait_dscnt 0x0
	v_mul_f64_e32 v[52:53], v[26:27], v[32:33]
	v_fmac_f64_e32 v[50:51], v[24:25], v[18:19]
	v_fma_f64 v[24:25], v[42:43], v[46:47], -v[48:49]
	v_add_f64_e32 v[56:57], v[36:37], v[34:35]
	ds_load_b128 v[34:37], v17 offset:1536
	ds_load_b128 v[38:41], v14 offset:1536
	ds_load_b128 v[42:45], v14 offset:1792
	ds_load_b128 v[46:49], v17 offset:1792
	v_mul_f64_e32 v[32:33], v[28:29], v[32:33]
	v_fma_f64 v[18:19], v[22:23], v[18:19], -v[20:21]
	v_add_f64_e32 v[4:5], v[4:5], v[54:55]
	s_wait_dscnt 0x2
	v_mul_f64_e32 v[54:55], v[38:39], v[36:37]
	v_fmac_f64_e32 v[52:53], v[28:29], v[30:31]
	v_mul_f64_e32 v[36:37], v[40:41], v[36:37]
	v_add_f64_e32 v[20:21], v[56:57], v[24:25]
	v_add_f64_e32 v[4:5], v[4:5], v[50:51]
	s_wait_dscnt 0x0
	v_mul_f64_e32 v[50:51], v[42:43], v[48:49]
	v_fmac_f64_e32 v[54:55], v[40:41], v[34:35]
	v_fma_f64 v[40:41], v[26:27], v[30:31], -v[32:33]
	v_add_f64_e32 v[56:57], v[20:21], v[18:19]
	ds_load_b128 v[18:21], v17 offset:2048
	ds_load_b128 v[22:25], v14 offset:2048
	ds_load_b128 v[26:29], v14 offset:2304
	ds_load_b128 v[30:33], v17 offset:2304
	v_mul_f64_e32 v[48:49], v[44:45], v[48:49]
	v_fma_f64 v[34:35], v[38:39], v[34:35], -v[36:37]
	v_add_f64_e32 v[4:5], v[4:5], v[52:53]
	s_wait_dscnt 0x2
	v_mul_f64_e32 v[52:53], v[22:23], v[20:21]
	v_fmac_f64_e32 v[50:51], v[44:45], v[46:47]
	v_mul_f64_e32 v[20:21], v[24:25], v[20:21]
	v_add_f64_e32 v[36:37], v[56:57], v[40:41]
	;; [unrolled: 18-line block ×4, first 2 shown]
	v_add_f64_e32 v[4:5], v[4:5], v[50:51]
	s_wait_dscnt 0x0
	v_mul_f64_e32 v[50:51], v[26:27], v[32:33]
	v_fmac_f64_e32 v[54:55], v[24:25], v[18:19]
	v_fma_f64 v[24:25], v[42:43], v[46:47], -v[48:49]
	v_add_f64_e32 v[56:57], v[36:37], v[34:35]
	ds_load_b128 v[34:37], v17 offset:3584
	ds_load_b128 v[38:41], v14 offset:3584
	;; [unrolled: 1-line block ×4, first 2 shown]
	v_mul_f64_e32 v[32:33], v[28:29], v[32:33]
	v_fma_f64 v[18:19], v[22:23], v[18:19], -v[20:21]
	s_wait_dscnt 0x0
	v_mul_f64_e32 v[22:23], v[42:43], v[48:49]
	v_add_f64_e32 v[4:5], v[4:5], v[52:53]
	v_mul_f64_e32 v[52:53], v[38:39], v[36:37]
	v_fmac_f64_e32 v[50:51], v[28:29], v[30:31]
	v_add_f64_e32 v[20:21], v[56:57], v[24:25]
	v_mul_f64_e32 v[24:25], v[40:41], v[36:37]
	v_fma_f64 v[26:27], v[26:27], v[30:31], -v[32:33]
	v_fmac_f64_e32 v[22:23], v[44:45], v[46:47]
	v_add_f64_e32 v[4:5], v[4:5], v[54:55]
	v_fmac_f64_e32 v[52:53], v[40:41], v[34:35]
	v_add_f64_e32 v[18:19], v[20:21], v[18:19]
	v_mul_f64_e32 v[20:21], v[44:45], v[48:49]
	v_fma_f64 v[24:25], v[38:39], v[34:35], -v[24:25]
	v_add_f64_e32 v[4:5], v[4:5], v[50:51]
	s_delay_alu instid0(VALU_DEP_4) | instskip(NEXT) | instid1(VALU_DEP_4)
	v_add_f64_e32 v[18:19], v[18:19], v[26:27]
	v_fma_f64 v[20:21], v[42:43], v[46:47], -v[20:21]
	s_delay_alu instid0(VALU_DEP_3) | instskip(NEXT) | instid1(VALU_DEP_3)
	v_add_f64_e32 v[4:5], v[4:5], v[52:53]
	v_add_f64_e32 v[18:19], v[18:19], v[24:25]
	s_delay_alu instid0(VALU_DEP_2) | instskip(NEXT) | instid1(VALU_DEP_2)
	v_add_f64_e32 v[4:5], v[4:5], v[22:23]
	v_add_f64_e32 v[18:19], v[18:19], v[20:21]
	s_delay_alu instid0(VALU_DEP_2) | instskip(SKIP_1) | instid1(VALU_DEP_2)
	v_mul_f64_e32 v[20:21], v[6:7], v[4:5]
	v_mul_f64_e32 v[4:5], v[8:9], v[4:5]
	v_fmac_f64_e32 v[20:21], v[8:9], v[18:19]
	s_delay_alu instid0(VALU_DEP_2)
	v_fma_f64 v[18:19], v[6:7], v[18:19], -v[4:5]
	v_lshl_add_u64 v[4:5], s[14:15], 4, v[12:13]
	global_store_b128 v[4:5], v[18:21], off
	s_branch .LBB140_2
.LBB140_19:
	s_endpgm
	.section	.rodata,"a",@progbits
	.p2align	6, 0x0
	.amdhsa_kernel _ZL23rocblas_trmm_rTx_kernelILi16ELb0E19rocblas_complex_numIdEPKS1_S2_S1_Ev13rocblas_fill_17rocblas_diagonal_iiT2_lPT3_llS8_llPT4_lli
		.amdhsa_group_segment_fixed_size 8192
		.amdhsa_private_segment_fixed_size 0
		.amdhsa_kernarg_size 108
		.amdhsa_user_sgpr_count 2
		.amdhsa_user_sgpr_dispatch_ptr 0
		.amdhsa_user_sgpr_queue_ptr 0
		.amdhsa_user_sgpr_kernarg_segment_ptr 1
		.amdhsa_user_sgpr_dispatch_id 0
		.amdhsa_user_sgpr_kernarg_preload_length 0
		.amdhsa_user_sgpr_kernarg_preload_offset 0
		.amdhsa_user_sgpr_private_segment_size 0
		.amdhsa_wavefront_size32 1
		.amdhsa_uses_dynamic_stack 0
		.amdhsa_enable_private_segment 0
		.amdhsa_system_sgpr_workgroup_id_x 1
		.amdhsa_system_sgpr_workgroup_id_y 0
		.amdhsa_system_sgpr_workgroup_id_z 1
		.amdhsa_system_sgpr_workgroup_info 0
		.amdhsa_system_vgpr_workitem_id 1
		.amdhsa_next_free_vgpr 58
		.amdhsa_next_free_sgpr 36
		.amdhsa_named_barrier_count 0
		.amdhsa_reserve_vcc 1
		.amdhsa_float_round_mode_32 0
		.amdhsa_float_round_mode_16_64 0
		.amdhsa_float_denorm_mode_32 3
		.amdhsa_float_denorm_mode_16_64 3
		.amdhsa_fp16_overflow 0
		.amdhsa_memory_ordered 1
		.amdhsa_forward_progress 1
		.amdhsa_inst_pref_size 14
		.amdhsa_round_robin_scheduling 0
		.amdhsa_exception_fp_ieee_invalid_op 0
		.amdhsa_exception_fp_denorm_src 0
		.amdhsa_exception_fp_ieee_div_zero 0
		.amdhsa_exception_fp_ieee_overflow 0
		.amdhsa_exception_fp_ieee_underflow 0
		.amdhsa_exception_fp_ieee_inexact 0
		.amdhsa_exception_int_div_zero 0
	.end_amdhsa_kernel
	.section	.text._ZL23rocblas_trmm_rTx_kernelILi16ELb0E19rocblas_complex_numIdEPKS1_S2_S1_Ev13rocblas_fill_17rocblas_diagonal_iiT2_lPT3_llS8_llPT4_lli,"axG",@progbits,_ZL23rocblas_trmm_rTx_kernelILi16ELb0E19rocblas_complex_numIdEPKS1_S2_S1_Ev13rocblas_fill_17rocblas_diagonal_iiT2_lPT3_llS8_llPT4_lli,comdat
.Lfunc_end140:
	.size	_ZL23rocblas_trmm_rTx_kernelILi16ELb0E19rocblas_complex_numIdEPKS1_S2_S1_Ev13rocblas_fill_17rocblas_diagonal_iiT2_lPT3_llS8_llPT4_lli, .Lfunc_end140-_ZL23rocblas_trmm_rTx_kernelILi16ELb0E19rocblas_complex_numIdEPKS1_S2_S1_Ev13rocblas_fill_17rocblas_diagonal_iiT2_lPT3_llS8_llPT4_lli
                                        ; -- End function
	.set _ZL23rocblas_trmm_rTx_kernelILi16ELb0E19rocblas_complex_numIdEPKS1_S2_S1_Ev13rocblas_fill_17rocblas_diagonal_iiT2_lPT3_llS8_llPT4_lli.num_vgpr, 58
	.set _ZL23rocblas_trmm_rTx_kernelILi16ELb0E19rocblas_complex_numIdEPKS1_S2_S1_Ev13rocblas_fill_17rocblas_diagonal_iiT2_lPT3_llS8_llPT4_lli.num_agpr, 0
	.set _ZL23rocblas_trmm_rTx_kernelILi16ELb0E19rocblas_complex_numIdEPKS1_S2_S1_Ev13rocblas_fill_17rocblas_diagonal_iiT2_lPT3_llS8_llPT4_lli.numbered_sgpr, 36
	.set _ZL23rocblas_trmm_rTx_kernelILi16ELb0E19rocblas_complex_numIdEPKS1_S2_S1_Ev13rocblas_fill_17rocblas_diagonal_iiT2_lPT3_llS8_llPT4_lli.num_named_barrier, 0
	.set _ZL23rocblas_trmm_rTx_kernelILi16ELb0E19rocblas_complex_numIdEPKS1_S2_S1_Ev13rocblas_fill_17rocblas_diagonal_iiT2_lPT3_llS8_llPT4_lli.private_seg_size, 0
	.set _ZL23rocblas_trmm_rTx_kernelILi16ELb0E19rocblas_complex_numIdEPKS1_S2_S1_Ev13rocblas_fill_17rocblas_diagonal_iiT2_lPT3_llS8_llPT4_lli.uses_vcc, 1
	.set _ZL23rocblas_trmm_rTx_kernelILi16ELb0E19rocblas_complex_numIdEPKS1_S2_S1_Ev13rocblas_fill_17rocblas_diagonal_iiT2_lPT3_llS8_llPT4_lli.uses_flat_scratch, 0
	.set _ZL23rocblas_trmm_rTx_kernelILi16ELb0E19rocblas_complex_numIdEPKS1_S2_S1_Ev13rocblas_fill_17rocblas_diagonal_iiT2_lPT3_llS8_llPT4_lli.has_dyn_sized_stack, 0
	.set _ZL23rocblas_trmm_rTx_kernelILi16ELb0E19rocblas_complex_numIdEPKS1_S2_S1_Ev13rocblas_fill_17rocblas_diagonal_iiT2_lPT3_llS8_llPT4_lli.has_recursion, 0
	.set _ZL23rocblas_trmm_rTx_kernelILi16ELb0E19rocblas_complex_numIdEPKS1_S2_S1_Ev13rocblas_fill_17rocblas_diagonal_iiT2_lPT3_llS8_llPT4_lli.has_indirect_call, 0
	.section	.AMDGPU.csdata,"",@progbits
; Kernel info:
; codeLenInByte = 1680
; TotalNumSgprs: 38
; NumVgprs: 58
; ScratchSize: 0
; MemoryBound: 0
; FloatMode: 240
; IeeeMode: 1
; LDSByteSize: 8192 bytes/workgroup (compile time only)
; SGPRBlocks: 0
; VGPRBlocks: 3
; NumSGPRsForWavesPerEU: 38
; NumVGPRsForWavesPerEU: 58
; NamedBarCnt: 0
; Occupancy: 16
; WaveLimiterHint : 0
; COMPUTE_PGM_RSRC2:SCRATCH_EN: 0
; COMPUTE_PGM_RSRC2:USER_SGPR: 2
; COMPUTE_PGM_RSRC2:TRAP_HANDLER: 0
; COMPUTE_PGM_RSRC2:TGID_X_EN: 1
; COMPUTE_PGM_RSRC2:TGID_Y_EN: 0
; COMPUTE_PGM_RSRC2:TGID_Z_EN: 1
; COMPUTE_PGM_RSRC2:TIDIG_COMP_CNT: 1
	.section	.text._ZL23rocblas_trmm_rTx_kernelILi16ELb0E19rocblas_complex_numIdES1_KS1_S1_Ev13rocblas_fill_17rocblas_diagonal_iiT2_lPT3_llS7_llPT4_lli,"axG",@progbits,_ZL23rocblas_trmm_rTx_kernelILi16ELb0E19rocblas_complex_numIdES1_KS1_S1_Ev13rocblas_fill_17rocblas_diagonal_iiT2_lPT3_llS7_llPT4_lli,comdat
	.globl	_ZL23rocblas_trmm_rTx_kernelILi16ELb0E19rocblas_complex_numIdES1_KS1_S1_Ev13rocblas_fill_17rocblas_diagonal_iiT2_lPT3_llS7_llPT4_lli ; -- Begin function _ZL23rocblas_trmm_rTx_kernelILi16ELb0E19rocblas_complex_numIdES1_KS1_S1_Ev13rocblas_fill_17rocblas_diagonal_iiT2_lPT3_llS7_llPT4_lli
	.p2align	8
	.type	_ZL23rocblas_trmm_rTx_kernelILi16ELb0E19rocblas_complex_numIdES1_KS1_S1_Ev13rocblas_fill_17rocblas_diagonal_iiT2_lPT3_llS7_llPT4_lli,@function
_ZL23rocblas_trmm_rTx_kernelILi16ELb0E19rocblas_complex_numIdES1_KS1_S1_Ev13rocblas_fill_17rocblas_diagonal_iiT2_lPT3_llS7_llPT4_lli: ; @_ZL23rocblas_trmm_rTx_kernelILi16ELb0E19rocblas_complex_numIdES1_KS1_S1_Ev13rocblas_fill_17rocblas_diagonal_iiT2_lPT3_llS7_llPT4_lli
; %bb.0:
	s_load_b32 s33, s[0:1], 0x70
	s_bfe_u32 s2, ttmp6, 0x40014
	s_lshr_b32 s3, ttmp7, 16
	s_add_co_i32 s2, s2, 1
	s_bfe_u32 s5, ttmp6, 0x40008
	s_mul_i32 s4, s3, s2
	s_getreg_b32 s2, hwreg(HW_REG_IB_STS2, 6, 4)
	s_add_co_i32 s5, s5, s4
	s_cmp_eq_u32 s2, 0
	s_mov_b32 s29, 0
	s_cselect_b32 s28, s3, s5
	s_wait_kmcnt 0x0
	s_cmp_ge_u32 s28, s33
	s_cbranch_scc1 .LBB141_19
; %bb.1:
	s_clause 0x1
	s_load_b256 s[20:27], s[0:1], 0x0
	s_load_b512 s[4:19], s[0:1], 0x28
	v_bfe_u32 v4, v0, 10, 10
	v_mov_b32_e32 v2, 0
	s_load_b64 s[30:31], s[0:1], 0x68
	s_wait_xcnt 0x0
	s_bfe_u32 s0, ttmp6, 0x4000c
	v_and_b32_e32 v0, 0x3ff, v0
	v_dual_mov_b32 v5, v2 :: v_dual_lshlrev_b32 v10, 4, v4
	v_mov_b32_e32 v1, v2
	s_add_co_i32 s0, s0, 1
	s_delay_alu instid0(VALU_DEP_3)
	v_cmp_eq_u32_e32 vcc_lo, v4, v0
	v_cmp_gt_u32_e64 s1, v0, v4
	v_add_lshl_u32 v12, v10, v0, 4
	v_lshlrev_b64_e32 v[16:17], 4, v[0:1]
	v_lshl_add_u32 v11, v0, 4, 0x1000
	v_mov_b32_e32 v3, 0x3ff00000
	s_delay_alu instid0(VALU_DEP_4)
	v_add_nc_u32_e32 v13, 0x1000, v12
	s_wait_kmcnt 0x0
	v_cmp_neq_f64_e64 s3, s[24:25], 0
	v_cmp_neq_f64_e64 s34, s[26:27], 0
	v_mul_u64_e32 v[6:7], s[6:7], v[4:5]
	v_mul_u64_e32 v[8:9], s[12:13], v[4:5]
	;; [unrolled: 1-line block ×3, first 2 shown]
	s_add_co_i32 s12, s22, -1
	s_and_b32 s6, ttmp6, 15
	s_mul_i32 s7, ttmp9, s0
	s_ashr_i32 s13, s12, 31
	s_add_co_i32 s7, s6, s7
	s_lshr_b32 s6, s13, 28
	v_cmp_lt_u32_e64 s0, v0, v4
	s_add_co_i32 s12, s12, s6
	s_delay_alu instid0(SALU_CYCLE_1)
	s_and_b32 s6, s12, -16
	s_ashr_i32 s12, s12, 4
	s_sub_co_i32 s13, s22, s6
	s_or_b32 s6, s3, s34
	s_cmp_eq_u32 s2, 0
	v_cmp_gt_i32_e64 s2, s23, v4
	s_cselect_b32 s7, ttmp9, s7
	v_cmp_gt_i32_e64 s3, s23, v0
	s_cmp_ge_i32 s7, s12
	v_lshl_add_u64 v[4:5], v[6:7], 4, s[4:5]
	s_cselect_b32 s18, s13, 16
	s_lshl_b32 s12, s7, 4
	v_cmp_gt_i32_e64 s4, s18, v0
	s_ashr_i32 s13, s12, 31
	s_and_b32 s3, s2, s3
	s_lshl_b64 s[12:13], s[12:13], 4
	v_add_nc_u64_e32 v[0:1], v[4:5], v[16:17]
	s_add_nc_u64 s[10:11], s[10:11], s[12:13]
	s_add_nc_u64 s[12:13], s[16:17], s[12:13]
	v_lshl_add_u64 v[6:7], v[8:9], 4, s[10:11]
	v_lshl_add_u64 v[8:9], v[14:15], 4, s[12:13]
	s_and_b32 s2, s2, s4
	s_cmp_eq_u32 s21, 0x84
	s_cselect_b32 s4, -1, 0
	v_add_nc_u64_e32 v[6:7], v[6:7], v[16:17]
	v_add_nc_u64_e32 v[8:9], v[8:9], v[16:17]
	s_and_b32 s4, vcc_lo, s4
	s_cmp_lg_u32 s20, 0x79
	s_cselect_b32 s5, -1, 0
	s_branch .LBB141_4
.LBB141_2:                              ;   in Loop: Header=BB141_4 Depth=1
	s_wait_xcnt 0x0
	s_or_b32 exec_lo, exec_lo, s7
.LBB141_3:                              ;   in Loop: Header=BB141_4 Depth=1
	s_add_co_i32 s28, s28, 0x10000
	s_delay_alu instid0(SALU_CYCLE_1)
	s_cmp_lt_u32 s28, s33
	s_cbranch_scc0 .LBB141_19
.LBB141_4:                              ; =>This Inner Loop Header: Depth=1
	s_and_not1_b32 vcc_lo, exec_lo, s6
	s_cbranch_vccnz .LBB141_3
; %bb.5:                                ;   in Loop: Header=BB141_4 Depth=1
	s_mov_b32 s16, s29
	s_mov_b32 s17, s29
	;; [unrolled: 1-line block ×4, first 2 shown]
	v_mov_b64_e32 v[14:15], s[16:17]
	v_mov_b64_e32 v[16:17], s[18:19]
	ds_store_b128 v12, v[14:17]
	ds_store_b128 v13, v[14:17]
	s_and_saveexec_b32 s7, s3
	s_cbranch_execnz .LBB141_10
; %bb.6:                                ;   in Loop: Header=BB141_4 Depth=1
	s_or_b32 exec_lo, exec_lo, s7
	s_and_saveexec_b32 s7, s2
	s_cbranch_execnz .LBB141_11
.LBB141_7:                              ;   in Loop: Header=BB141_4 Depth=1
	s_or_b32 exec_lo, exec_lo, s7
	s_and_saveexec_b32 s7, s4
	s_cbranch_execnz .LBB141_12
.LBB141_8:                              ;   in Loop: Header=BB141_4 Depth=1
	s_or_b32 exec_lo, exec_lo, s7
	s_delay_alu instid0(SALU_CYCLE_1)
	s_and_b32 vcc_lo, exec_lo, s5
	s_cbranch_vccz .LBB141_13
.LBB141_9:                              ;   in Loop: Header=BB141_4 Depth=1
	s_and_b32 s7, s0, exec_lo
	s_cbranch_execz .LBB141_14
	s_branch .LBB141_15
.LBB141_10:                             ;   in Loop: Header=BB141_4 Depth=1
	s_mul_u64 s[10:11], s[8:9], s[28:29]
	s_delay_alu instid0(SALU_CYCLE_1)
	v_lshl_add_u64 v[4:5], s[10:11], 4, v[0:1]
	global_load_b128 v[14:17], v[4:5], off
	s_wait_loadcnt 0x0
	ds_store_2addr_b64 v12, v[14:15], v[16:17] offset1:1
	s_wait_xcnt 0x0
	s_or_b32 exec_lo, exec_lo, s7
	s_and_saveexec_b32 s7, s2
	s_cbranch_execz .LBB141_7
.LBB141_11:                             ;   in Loop: Header=BB141_4 Depth=1
	s_mul_u64 s[10:11], s[14:15], s[28:29]
	s_delay_alu instid0(SALU_CYCLE_1)
	v_lshl_add_u64 v[4:5], s[10:11], 4, v[6:7]
	global_load_b128 v[14:17], v[4:5], off
	s_wait_loadcnt 0x0
	ds_store_2addr_b64 v13, v[14:15], v[16:17] offset1:1
	s_wait_xcnt 0x0
	s_or_b32 exec_lo, exec_lo, s7
	s_and_saveexec_b32 s7, s4
	s_cbranch_execz .LBB141_8
.LBB141_12:                             ;   in Loop: Header=BB141_4 Depth=1
	v_dual_mov_b32 v4, v2 :: v_dual_mov_b32 v5, v2
	ds_store_b128 v12, v[2:5]
	s_or_b32 exec_lo, exec_lo, s7
	s_delay_alu instid0(SALU_CYCLE_1)
	s_and_b32 vcc_lo, exec_lo, s5
	s_cbranch_vccnz .LBB141_9
.LBB141_13:                             ;   in Loop: Header=BB141_4 Depth=1
	s_mov_b32 s7, 0
.LBB141_14:                             ;   in Loop: Header=BB141_4 Depth=1
	s_delay_alu instid0(SALU_CYCLE_1) | instskip(SKIP_1) | instid1(SALU_CYCLE_1)
	s_and_not1_b32 s7, s7, exec_lo
	s_and_b32 s10, s1, exec_lo
	s_or_b32 s7, s7, s10
.LBB141_15:                             ;   in Loop: Header=BB141_4 Depth=1
	s_delay_alu instid0(SALU_CYCLE_1)
	s_and_saveexec_b32 s10, s7
; %bb.16:                               ;   in Loop: Header=BB141_4 Depth=1
	v_dual_mov_b32 v14, v2 :: v_dual_mov_b32 v15, v2
	v_dual_mov_b32 v16, v2 :: v_dual_mov_b32 v17, v2
	ds_store_b128 v12, v[14:17]
; %bb.17:                               ;   in Loop: Header=BB141_4 Depth=1
	s_or_b32 exec_lo, exec_lo, s10
	s_wait_dscnt 0x0
	s_barrier_signal -1
	s_barrier_wait -1
	s_and_saveexec_b32 s7, s2
	s_cbranch_execz .LBB141_2
; %bb.18:                               ;   in Loop: Header=BB141_4 Depth=1
	ds_load_b128 v[14:17], v11
	ds_load_b128 v[18:21], v10
	ds_load_b128 v[22:25], v10 offset:256
	ds_load_b128 v[26:29], v11 offset:256
	;; [unrolled: 1-line block ×6, first 2 shown]
	s_mul_u64 s[10:11], s[30:31], s[28:29]
	s_wait_dscnt 0x6
	v_mul_f64_e32 v[4:5], v[18:19], v[16:17]
	v_mul_f64_e32 v[16:17], v[20:21], v[16:17]
	s_wait_dscnt 0x4
	v_mul_f64_e32 v[46:47], v[22:23], v[28:29]
	s_wait_dscnt 0x2
	;; [unrolled: 2-line block ×3, first 2 shown]
	v_mul_f64_e32 v[50:51], v[38:39], v[44:45]
	v_mul_f64_e32 v[32:33], v[36:37], v[32:33]
	;; [unrolled: 1-line block ×3, first 2 shown]
	v_fmac_f64_e32 v[4:5], v[20:21], v[14:15]
	v_mul_f64_e32 v[20:21], v[24:25], v[28:29]
	v_fmac_f64_e32 v[46:47], v[24:25], v[26:27]
	v_fma_f64 v[14:15], v[18:19], v[14:15], -v[16:17]
	v_fmac_f64_e32 v[48:49], v[36:37], v[30:31]
	v_fmac_f64_e32 v[50:51], v[40:41], v[42:43]
	v_fma_f64 v[30:31], v[34:35], v[30:31], -v[32:33]
	v_add_f64_e32 v[4:5], 0, v[4:5]
	v_fma_f64 v[36:37], v[22:23], v[26:27], -v[20:21]
	v_add_f64_e32 v[52:53], 0, v[14:15]
	ds_load_b128 v[14:17], v11 offset:1024
	ds_load_b128 v[18:21], v10 offset:1024
	;; [unrolled: 1-line block ×4, first 2 shown]
	v_add_f64_e32 v[4:5], v[4:5], v[46:47]
	s_wait_dscnt 0x2
	v_mul_f64_e32 v[46:47], v[18:19], v[16:17]
	v_mul_f64_e32 v[16:17], v[20:21], v[16:17]
	v_add_f64_e32 v[32:33], v[52:53], v[36:37]
	s_delay_alu instid0(VALU_DEP_4)
	v_add_f64_e32 v[4:5], v[4:5], v[48:49]
	s_wait_dscnt 0x0
	v_mul_f64_e32 v[48:49], v[22:23], v[28:29]
	v_fmac_f64_e32 v[46:47], v[20:21], v[14:15]
	v_fma_f64 v[20:21], v[38:39], v[42:43], -v[44:45]
	v_add_f64_e32 v[52:53], v[32:33], v[30:31]
	ds_load_b128 v[30:33], v11 offset:1536
	ds_load_b128 v[34:37], v10 offset:1536
	ds_load_b128 v[38:41], v10 offset:1792
	ds_load_b128 v[42:45], v11 offset:1792
	v_mul_f64_e32 v[28:29], v[24:25], v[28:29]
	v_fma_f64 v[14:15], v[18:19], v[14:15], -v[16:17]
	v_add_f64_e32 v[4:5], v[4:5], v[50:51]
	s_wait_dscnt 0x2
	v_mul_f64_e32 v[50:51], v[34:35], v[32:33]
	v_fmac_f64_e32 v[48:49], v[24:25], v[26:27]
	v_mul_f64_e32 v[32:33], v[36:37], v[32:33]
	v_add_f64_e32 v[16:17], v[52:53], v[20:21]
	v_add_f64_e32 v[4:5], v[4:5], v[46:47]
	s_wait_dscnt 0x0
	v_mul_f64_e32 v[46:47], v[38:39], v[44:45]
	v_fmac_f64_e32 v[50:51], v[36:37], v[30:31]
	v_fma_f64 v[36:37], v[22:23], v[26:27], -v[28:29]
	v_add_f64_e32 v[52:53], v[16:17], v[14:15]
	ds_load_b128 v[14:17], v11 offset:2048
	ds_load_b128 v[18:21], v10 offset:2048
	ds_load_b128 v[22:25], v10 offset:2304
	ds_load_b128 v[26:29], v11 offset:2304
	v_mul_f64_e32 v[44:45], v[40:41], v[44:45]
	v_fma_f64 v[30:31], v[34:35], v[30:31], -v[32:33]
	v_add_f64_e32 v[4:5], v[4:5], v[48:49]
	s_wait_dscnt 0x2
	v_mul_f64_e32 v[48:49], v[18:19], v[16:17]
	v_fmac_f64_e32 v[46:47], v[40:41], v[42:43]
	v_mul_f64_e32 v[16:17], v[20:21], v[16:17]
	v_add_f64_e32 v[32:33], v[52:53], v[36:37]
	;; [unrolled: 18-line block ×4, first 2 shown]
	v_add_f64_e32 v[4:5], v[4:5], v[46:47]
	s_wait_dscnt 0x0
	v_mul_f64_e32 v[46:47], v[22:23], v[28:29]
	v_fmac_f64_e32 v[50:51], v[20:21], v[14:15]
	v_fma_f64 v[20:21], v[38:39], v[42:43], -v[44:45]
	v_add_f64_e32 v[52:53], v[32:33], v[30:31]
	ds_load_b128 v[30:33], v11 offset:3584
	ds_load_b128 v[34:37], v10 offset:3584
	;; [unrolled: 1-line block ×4, first 2 shown]
	v_mul_f64_e32 v[28:29], v[24:25], v[28:29]
	v_fma_f64 v[14:15], v[18:19], v[14:15], -v[16:17]
	s_wait_dscnt 0x0
	v_mul_f64_e32 v[18:19], v[38:39], v[44:45]
	v_add_f64_e32 v[4:5], v[4:5], v[48:49]
	v_mul_f64_e32 v[48:49], v[34:35], v[32:33]
	v_fmac_f64_e32 v[46:47], v[24:25], v[26:27]
	v_add_f64_e32 v[16:17], v[52:53], v[20:21]
	v_mul_f64_e32 v[20:21], v[36:37], v[32:33]
	v_fma_f64 v[22:23], v[22:23], v[26:27], -v[28:29]
	v_fmac_f64_e32 v[18:19], v[40:41], v[42:43]
	v_add_f64_e32 v[4:5], v[4:5], v[50:51]
	v_fmac_f64_e32 v[48:49], v[36:37], v[30:31]
	v_add_f64_e32 v[14:15], v[16:17], v[14:15]
	v_mul_f64_e32 v[16:17], v[40:41], v[44:45]
	v_fma_f64 v[20:21], v[34:35], v[30:31], -v[20:21]
	v_add_f64_e32 v[4:5], v[4:5], v[46:47]
	s_delay_alu instid0(VALU_DEP_4) | instskip(NEXT) | instid1(VALU_DEP_4)
	v_add_f64_e32 v[14:15], v[14:15], v[22:23]
	v_fma_f64 v[16:17], v[38:39], v[42:43], -v[16:17]
	s_delay_alu instid0(VALU_DEP_3) | instskip(NEXT) | instid1(VALU_DEP_3)
	v_add_f64_e32 v[4:5], v[4:5], v[48:49]
	v_add_f64_e32 v[14:15], v[14:15], v[20:21]
	s_delay_alu instid0(VALU_DEP_2) | instskip(NEXT) | instid1(VALU_DEP_2)
	v_add_f64_e32 v[4:5], v[4:5], v[18:19]
	v_add_f64_e32 v[14:15], v[14:15], v[16:17]
	s_delay_alu instid0(VALU_DEP_2) | instskip(SKIP_1) | instid1(VALU_DEP_2)
	v_mul_f64_e32 v[16:17], s[24:25], v[4:5]
	v_mul_f64_e32 v[4:5], s[26:27], v[4:5]
	v_fmac_f64_e32 v[16:17], s[26:27], v[14:15]
	s_delay_alu instid0(VALU_DEP_2)
	v_fma_f64 v[14:15], s[24:25], v[14:15], -v[4:5]
	v_lshl_add_u64 v[4:5], s[10:11], 4, v[8:9]
	global_store_b128 v[4:5], v[14:17], off
	s_branch .LBB141_2
.LBB141_19:
	s_endpgm
	.section	.rodata,"a",@progbits
	.p2align	6, 0x0
	.amdhsa_kernel _ZL23rocblas_trmm_rTx_kernelILi16ELb0E19rocblas_complex_numIdES1_KS1_S1_Ev13rocblas_fill_17rocblas_diagonal_iiT2_lPT3_llS7_llPT4_lli
		.amdhsa_group_segment_fixed_size 8192
		.amdhsa_private_segment_fixed_size 0
		.amdhsa_kernarg_size 116
		.amdhsa_user_sgpr_count 2
		.amdhsa_user_sgpr_dispatch_ptr 0
		.amdhsa_user_sgpr_queue_ptr 0
		.amdhsa_user_sgpr_kernarg_segment_ptr 1
		.amdhsa_user_sgpr_dispatch_id 0
		.amdhsa_user_sgpr_kernarg_preload_length 0
		.amdhsa_user_sgpr_kernarg_preload_offset 0
		.amdhsa_user_sgpr_private_segment_size 0
		.amdhsa_wavefront_size32 1
		.amdhsa_uses_dynamic_stack 0
		.amdhsa_enable_private_segment 0
		.amdhsa_system_sgpr_workgroup_id_x 1
		.amdhsa_system_sgpr_workgroup_id_y 0
		.amdhsa_system_sgpr_workgroup_id_z 1
		.amdhsa_system_sgpr_workgroup_info 0
		.amdhsa_system_vgpr_workitem_id 1
		.amdhsa_next_free_vgpr 54
		.amdhsa_next_free_sgpr 35
		.amdhsa_named_barrier_count 0
		.amdhsa_reserve_vcc 1
		.amdhsa_float_round_mode_32 0
		.amdhsa_float_round_mode_16_64 0
		.amdhsa_float_denorm_mode_32 3
		.amdhsa_float_denorm_mode_16_64 3
		.amdhsa_fp16_overflow 0
		.amdhsa_memory_ordered 1
		.amdhsa_forward_progress 1
		.amdhsa_inst_pref_size 13
		.amdhsa_round_robin_scheduling 0
		.amdhsa_exception_fp_ieee_invalid_op 0
		.amdhsa_exception_fp_denorm_src 0
		.amdhsa_exception_fp_ieee_div_zero 0
		.amdhsa_exception_fp_ieee_overflow 0
		.amdhsa_exception_fp_ieee_underflow 0
		.amdhsa_exception_fp_ieee_inexact 0
		.amdhsa_exception_int_div_zero 0
	.end_amdhsa_kernel
	.section	.text._ZL23rocblas_trmm_rTx_kernelILi16ELb0E19rocblas_complex_numIdES1_KS1_S1_Ev13rocblas_fill_17rocblas_diagonal_iiT2_lPT3_llS7_llPT4_lli,"axG",@progbits,_ZL23rocblas_trmm_rTx_kernelILi16ELb0E19rocblas_complex_numIdES1_KS1_S1_Ev13rocblas_fill_17rocblas_diagonal_iiT2_lPT3_llS7_llPT4_lli,comdat
.Lfunc_end141:
	.size	_ZL23rocblas_trmm_rTx_kernelILi16ELb0E19rocblas_complex_numIdES1_KS1_S1_Ev13rocblas_fill_17rocblas_diagonal_iiT2_lPT3_llS7_llPT4_lli, .Lfunc_end141-_ZL23rocblas_trmm_rTx_kernelILi16ELb0E19rocblas_complex_numIdES1_KS1_S1_Ev13rocblas_fill_17rocblas_diagonal_iiT2_lPT3_llS7_llPT4_lli
                                        ; -- End function
	.set _ZL23rocblas_trmm_rTx_kernelILi16ELb0E19rocblas_complex_numIdES1_KS1_S1_Ev13rocblas_fill_17rocblas_diagonal_iiT2_lPT3_llS7_llPT4_lli.num_vgpr, 54
	.set _ZL23rocblas_trmm_rTx_kernelILi16ELb0E19rocblas_complex_numIdES1_KS1_S1_Ev13rocblas_fill_17rocblas_diagonal_iiT2_lPT3_llS7_llPT4_lli.num_agpr, 0
	.set _ZL23rocblas_trmm_rTx_kernelILi16ELb0E19rocblas_complex_numIdES1_KS1_S1_Ev13rocblas_fill_17rocblas_diagonal_iiT2_lPT3_llS7_llPT4_lli.numbered_sgpr, 35
	.set _ZL23rocblas_trmm_rTx_kernelILi16ELb0E19rocblas_complex_numIdES1_KS1_S1_Ev13rocblas_fill_17rocblas_diagonal_iiT2_lPT3_llS7_llPT4_lli.num_named_barrier, 0
	.set _ZL23rocblas_trmm_rTx_kernelILi16ELb0E19rocblas_complex_numIdES1_KS1_S1_Ev13rocblas_fill_17rocblas_diagonal_iiT2_lPT3_llS7_llPT4_lli.private_seg_size, 0
	.set _ZL23rocblas_trmm_rTx_kernelILi16ELb0E19rocblas_complex_numIdES1_KS1_S1_Ev13rocblas_fill_17rocblas_diagonal_iiT2_lPT3_llS7_llPT4_lli.uses_vcc, 1
	.set _ZL23rocblas_trmm_rTx_kernelILi16ELb0E19rocblas_complex_numIdES1_KS1_S1_Ev13rocblas_fill_17rocblas_diagonal_iiT2_lPT3_llS7_llPT4_lli.uses_flat_scratch, 0
	.set _ZL23rocblas_trmm_rTx_kernelILi16ELb0E19rocblas_complex_numIdES1_KS1_S1_Ev13rocblas_fill_17rocblas_diagonal_iiT2_lPT3_llS7_llPT4_lli.has_dyn_sized_stack, 0
	.set _ZL23rocblas_trmm_rTx_kernelILi16ELb0E19rocblas_complex_numIdES1_KS1_S1_Ev13rocblas_fill_17rocblas_diagonal_iiT2_lPT3_llS7_llPT4_lli.has_recursion, 0
	.set _ZL23rocblas_trmm_rTx_kernelILi16ELb0E19rocblas_complex_numIdES1_KS1_S1_Ev13rocblas_fill_17rocblas_diagonal_iiT2_lPT3_llS7_llPT4_lli.has_indirect_call, 0
	.section	.AMDGPU.csdata,"",@progbits
; Kernel info:
; codeLenInByte = 1624
; TotalNumSgprs: 37
; NumVgprs: 54
; ScratchSize: 0
; MemoryBound: 0
; FloatMode: 240
; IeeeMode: 1
; LDSByteSize: 8192 bytes/workgroup (compile time only)
; SGPRBlocks: 0
; VGPRBlocks: 3
; NumSGPRsForWavesPerEU: 37
; NumVGPRsForWavesPerEU: 54
; NamedBarCnt: 0
; Occupancy: 16
; WaveLimiterHint : 1
; COMPUTE_PGM_RSRC2:SCRATCH_EN: 0
; COMPUTE_PGM_RSRC2:USER_SGPR: 2
; COMPUTE_PGM_RSRC2:TRAP_HANDLER: 0
; COMPUTE_PGM_RSRC2:TGID_X_EN: 1
; COMPUTE_PGM_RSRC2:TGID_Y_EN: 0
; COMPUTE_PGM_RSRC2:TGID_Z_EN: 1
; COMPUTE_PGM_RSRC2:TIDIG_COMP_CNT: 1
	.section	.text._ZL23rocblas_trmm_rTx_kernelILi16ELb1E19rocblas_complex_numIdEPKS1_S2_S1_Ev13rocblas_fill_17rocblas_diagonal_iiT2_lPT3_llS8_llPT4_lli,"axG",@progbits,_ZL23rocblas_trmm_rTx_kernelILi16ELb1E19rocblas_complex_numIdEPKS1_S2_S1_Ev13rocblas_fill_17rocblas_diagonal_iiT2_lPT3_llS8_llPT4_lli,comdat
	.globl	_ZL23rocblas_trmm_rTx_kernelILi16ELb1E19rocblas_complex_numIdEPKS1_S2_S1_Ev13rocblas_fill_17rocblas_diagonal_iiT2_lPT3_llS8_llPT4_lli ; -- Begin function _ZL23rocblas_trmm_rTx_kernelILi16ELb1E19rocblas_complex_numIdEPKS1_S2_S1_Ev13rocblas_fill_17rocblas_diagonal_iiT2_lPT3_llS8_llPT4_lli
	.p2align	8
	.type	_ZL23rocblas_trmm_rTx_kernelILi16ELb1E19rocblas_complex_numIdEPKS1_S2_S1_Ev13rocblas_fill_17rocblas_diagonal_iiT2_lPT3_llS8_llPT4_lli,@function
_ZL23rocblas_trmm_rTx_kernelILi16ELb1E19rocblas_complex_numIdEPKS1_S2_S1_Ev13rocblas_fill_17rocblas_diagonal_iiT2_lPT3_llS8_llPT4_lli: ; @_ZL23rocblas_trmm_rTx_kernelILi16ELb1E19rocblas_complex_numIdEPKS1_S2_S1_Ev13rocblas_fill_17rocblas_diagonal_iiT2_lPT3_llS8_llPT4_lli
; %bb.0:
	s_load_b32 s5, s[0:1], 0x68
	s_bfe_u32 s2, ttmp6, 0x40014
	s_lshr_b32 s3, ttmp7, 16
	s_add_co_i32 s2, s2, 1
	s_bfe_u32 s6, ttmp6, 0x40008
	s_mul_i32 s4, s3, s2
	s_getreg_b32 s2, hwreg(HW_REG_IB_STS2, 6, 4)
	s_add_co_i32 s6, s6, s4
	s_cmp_eq_u32 s2, 0
	s_mov_b32 s7, 0
	s_cselect_b32 s6, s3, s6
	s_wait_kmcnt 0x0
	s_cmp_ge_u32 s6, s5
	s_cbranch_scc1 .LBB142_19
; %bb.1:
	s_clause 0x3
	s_load_b128 s[24:27], s[0:1], 0x0
	s_load_b512 s[8:23], s[0:1], 0x10
	s_load_b128 s[28:31], s[0:1], 0x50
	s_load_b64 s[34:35], s[0:1], 0x60
	v_bfe_u32 v4, v0, 10, 10
	v_mov_b32_e32 v2, 0
	v_and_b32_e32 v6, 0x3ff, v0
	s_wait_xcnt 0x0
	s_bfe_u32 s0, ttmp6, 0x4000c
	s_and_b32 s1, ttmp6, 15
	v_dual_mov_b32 v5, v2 :: v_dual_lshlrev_b32 v14, 4, v4
	v_mov_b32_e32 v7, v2
	s_add_co_i32 s0, s0, 1
	v_cmp_eq_u32_e32 vcc_lo, v4, v6
	s_mul_i32 s3, ttmp9, s0
	v_add_lshl_u32 v15, v14, v6, 4
	s_add_co_i32 s3, s1, s3
	v_lshl_add_u32 v17, v6, 4, 0x1000
	v_mov_b32_e32 v3, 0x3ff00000
	s_delay_alu instid0(VALU_DEP_3)
	v_add_nc_u32_e32 v16, 0x1000, v15
	s_wait_kmcnt 0x0
	v_mul_u64_e32 v[0:1], s[14:15], v[4:5]
	v_mul_u64_e32 v[8:9], s[20:21], v[4:5]
	;; [unrolled: 1-line block ×3, first 2 shown]
	s_add_co_i32 s4, s26, -1
	s_delay_alu instid0(SALU_CYCLE_1) | instskip(NEXT) | instid1(SALU_CYCLE_1)
	s_ashr_i32 s0, s4, 31
	s_lshr_b32 s14, s0, 28
	v_cmp_lt_u32_e64 s0, v6, v4
	s_add_co_i32 s4, s4, s14
	s_delay_alu instid0(SALU_CYCLE_1)
	s_and_b32 s1, s4, -16
	s_ashr_i32 s4, s4, 4
	s_sub_co_i32 s14, s26, s1
	s_cmp_eq_u32 s2, 0
	v_cmp_gt_i32_e64 s2, s27, v4
	s_cselect_b32 s3, ttmp9, s3
	v_cmp_gt_u32_e64 s1, v6, v4
	s_cmp_ge_i32 s3, s4
	v_lshlrev_b64_e32 v[4:5], 4, v[6:7]
	s_cselect_b32 s4, s14, 16
	s_lshl_b32 s14, s3, 4
	v_cmp_gt_i32_e64 s3, s27, v6
	s_ashr_i32 s15, s14, 31
	v_cmp_gt_i32_e64 s4, s4, v6
	s_lshl_b64 s[14:15], s[14:15], 4
	s_delay_alu instid0(SALU_CYCLE_1)
	s_add_nc_u64 s[18:19], s[18:19], s[14:15]
	s_add_nc_u64 s[14:15], s[28:29], s[14:15]
	s_and_b32 s3, s2, s3
	s_and_b32 s4, s2, s4
	s_cmp_eq_u32 s25, 0x84
	v_lshl_add_u64 v[0:1], v[0:1], 4, s[12:13]
	v_lshl_add_u64 v[8:9], v[8:9], 4, s[18:19]
	;; [unrolled: 1-line block ×3, first 2 shown]
	s_cselect_b32 s2, -1, 0
	s_delay_alu instid0(SALU_CYCLE_1)
	s_and_b32 s12, vcc_lo, s2
	v_add_nc_u64_e32 v[0:1], v[0:1], v[4:5]
	v_add_nc_u64_e32 v[10:11], v[8:9], v[4:5]
	;; [unrolled: 1-line block ×3, first 2 shown]
	s_cmp_lg_u32 s24, 0x79
	s_cselect_b32 s13, -1, 0
	s_branch .LBB142_4
.LBB142_2:                              ;   in Loop: Header=BB142_4 Depth=1
	s_wait_xcnt 0x0
	s_or_b32 exec_lo, exec_lo, s2
.LBB142_3:                              ;   in Loop: Header=BB142_4 Depth=1
	s_add_co_i32 s6, s6, 0x10000
	s_delay_alu instid0(SALU_CYCLE_1)
	s_cmp_lt_u32 s6, s5
	s_cbranch_scc0 .LBB142_19
.LBB142_4:                              ; =>This Inner Loop Header: Depth=1
	s_wait_xcnt 0x0
	s_mul_u64 s[14:15], s[10:11], s[6:7]
	s_delay_alu instid0(SALU_CYCLE_1) | instskip(NEXT) | instid1(SALU_CYCLE_1)
	s_lshl_b64 s[14:15], s[14:15], 4
	s_add_nc_u64 s[14:15], s[8:9], s[14:15]
	global_load_b128 v[6:9], v2, s[14:15]
	s_wait_loadcnt 0x0
	v_cmp_neq_f64_e32 vcc_lo, 0, v[6:7]
	v_cmp_neq_f64_e64 s2, 0, v[8:9]
	s_or_b32 s2, vcc_lo, s2
	s_delay_alu instid0(SALU_CYCLE_1)
	s_and_not1_b32 vcc_lo, exec_lo, s2
	s_cbranch_vccnz .LBB142_3
; %bb.5:                                ;   in Loop: Header=BB142_4 Depth=1
	s_mov_b32 s24, s7
	s_mov_b32 s25, s7
	;; [unrolled: 1-line block ×4, first 2 shown]
	v_mov_b64_e32 v[18:19], s[24:25]
	v_mov_b64_e32 v[20:21], s[26:27]
	ds_store_b128 v15, v[18:21]
	ds_store_b128 v16, v[18:21]
	s_wait_xcnt 0x0
	s_and_saveexec_b32 s2, s3
	s_cbranch_execnz .LBB142_10
; %bb.6:                                ;   in Loop: Header=BB142_4 Depth=1
	s_or_b32 exec_lo, exec_lo, s2
	s_and_saveexec_b32 s2, s4
	s_cbranch_execnz .LBB142_11
.LBB142_7:                              ;   in Loop: Header=BB142_4 Depth=1
	s_or_b32 exec_lo, exec_lo, s2
	s_and_saveexec_b32 s2, s12
	s_cbranch_execnz .LBB142_12
.LBB142_8:                              ;   in Loop: Header=BB142_4 Depth=1
	s_or_b32 exec_lo, exec_lo, s2
	s_delay_alu instid0(SALU_CYCLE_1)
	s_and_b32 vcc_lo, exec_lo, s13
	s_cbranch_vccz .LBB142_13
.LBB142_9:                              ;   in Loop: Header=BB142_4 Depth=1
	s_and_b32 s2, s0, exec_lo
	s_cbranch_execz .LBB142_14
	s_branch .LBB142_15
.LBB142_10:                             ;   in Loop: Header=BB142_4 Depth=1
	s_mul_u64 s[14:15], s[16:17], s[6:7]
	s_delay_alu instid0(SALU_CYCLE_1)
	v_lshl_add_u64 v[4:5], s[14:15], 4, v[0:1]
	global_load_b128 v[18:21], v[4:5], off
	s_wait_loadcnt 0x0
	v_xor_b32_e32 v21, 0x80000000, v21
	ds_store_b128 v15, v[18:21]
	s_wait_xcnt 0x0
	s_or_b32 exec_lo, exec_lo, s2
	s_and_saveexec_b32 s2, s4
	s_cbranch_execz .LBB142_7
.LBB142_11:                             ;   in Loop: Header=BB142_4 Depth=1
	s_mul_u64 s[14:15], s[22:23], s[6:7]
	s_delay_alu instid0(SALU_CYCLE_1)
	v_lshl_add_u64 v[4:5], s[14:15], 4, v[10:11]
	global_load_b128 v[18:21], v[4:5], off
	s_wait_loadcnt 0x0
	ds_store_2addr_b64 v16, v[18:19], v[20:21] offset1:1
	s_wait_xcnt 0x0
	s_or_b32 exec_lo, exec_lo, s2
	s_and_saveexec_b32 s2, s12
	s_cbranch_execz .LBB142_8
.LBB142_12:                             ;   in Loop: Header=BB142_4 Depth=1
	v_dual_mov_b32 v4, v2 :: v_dual_mov_b32 v5, v2
	ds_store_b128 v15, v[2:5]
	s_or_b32 exec_lo, exec_lo, s2
	s_delay_alu instid0(SALU_CYCLE_1)
	s_and_b32 vcc_lo, exec_lo, s13
	s_cbranch_vccnz .LBB142_9
.LBB142_13:                             ;   in Loop: Header=BB142_4 Depth=1
	s_mov_b32 s2, 0
.LBB142_14:                             ;   in Loop: Header=BB142_4 Depth=1
	s_delay_alu instid0(SALU_CYCLE_1) | instskip(SKIP_1) | instid1(SALU_CYCLE_1)
	s_and_not1_b32 s2, s2, exec_lo
	s_and_b32 s14, s1, exec_lo
	s_or_b32 s2, s2, s14
.LBB142_15:                             ;   in Loop: Header=BB142_4 Depth=1
	s_delay_alu instid0(SALU_CYCLE_1)
	s_and_saveexec_b32 s14, s2
; %bb.16:                               ;   in Loop: Header=BB142_4 Depth=1
	v_dual_mov_b32 v18, v2 :: v_dual_mov_b32 v19, v2
	v_dual_mov_b32 v20, v2 :: v_dual_mov_b32 v21, v2
	ds_store_b128 v15, v[18:21]
; %bb.17:                               ;   in Loop: Header=BB142_4 Depth=1
	s_or_b32 exec_lo, exec_lo, s14
	s_wait_dscnt 0x0
	s_barrier_signal -1
	s_barrier_wait -1
	s_and_saveexec_b32 s2, s4
	s_cbranch_execz .LBB142_2
; %bb.18:                               ;   in Loop: Header=BB142_4 Depth=1
	ds_load_b128 v[18:21], v17
	ds_load_b128 v[22:25], v14
	ds_load_b128 v[26:29], v14 offset:256
	ds_load_b128 v[30:33], v17 offset:256
	;; [unrolled: 1-line block ×6, first 2 shown]
	s_mul_u64 s[14:15], s[34:35], s[6:7]
	s_wait_dscnt 0x6
	v_mul_f64_e32 v[4:5], v[22:23], v[20:21]
	v_mul_f64_e32 v[20:21], v[24:25], v[20:21]
	s_wait_dscnt 0x4
	v_mul_f64_e32 v[50:51], v[26:27], v[32:33]
	s_wait_dscnt 0x2
	v_mul_f64_e32 v[52:53], v[38:39], v[36:37]
	s_wait_dscnt 0x0
	v_mul_f64_e32 v[54:55], v[42:43], v[48:49]
	v_mul_f64_e32 v[36:37], v[40:41], v[36:37]
	;; [unrolled: 1-line block ×3, first 2 shown]
	v_fmac_f64_e32 v[4:5], v[24:25], v[18:19]
	v_mul_f64_e32 v[24:25], v[28:29], v[32:33]
	v_fmac_f64_e32 v[50:51], v[28:29], v[30:31]
	v_fma_f64 v[18:19], v[22:23], v[18:19], -v[20:21]
	v_fmac_f64_e32 v[52:53], v[40:41], v[34:35]
	v_fmac_f64_e32 v[54:55], v[44:45], v[46:47]
	v_fma_f64 v[34:35], v[38:39], v[34:35], -v[36:37]
	v_add_f64_e32 v[4:5], 0, v[4:5]
	v_fma_f64 v[40:41], v[26:27], v[30:31], -v[24:25]
	v_add_f64_e32 v[56:57], 0, v[18:19]
	ds_load_b128 v[18:21], v17 offset:1024
	ds_load_b128 v[22:25], v14 offset:1024
	;; [unrolled: 1-line block ×4, first 2 shown]
	v_add_f64_e32 v[4:5], v[4:5], v[50:51]
	s_wait_dscnt 0x2
	v_mul_f64_e32 v[50:51], v[22:23], v[20:21]
	v_mul_f64_e32 v[20:21], v[24:25], v[20:21]
	v_add_f64_e32 v[36:37], v[56:57], v[40:41]
	s_delay_alu instid0(VALU_DEP_4)
	v_add_f64_e32 v[4:5], v[4:5], v[52:53]
	s_wait_dscnt 0x0
	v_mul_f64_e32 v[52:53], v[26:27], v[32:33]
	v_fmac_f64_e32 v[50:51], v[24:25], v[18:19]
	v_fma_f64 v[24:25], v[42:43], v[46:47], -v[48:49]
	v_add_f64_e32 v[56:57], v[36:37], v[34:35]
	ds_load_b128 v[34:37], v17 offset:1536
	ds_load_b128 v[38:41], v14 offset:1536
	ds_load_b128 v[42:45], v14 offset:1792
	ds_load_b128 v[46:49], v17 offset:1792
	v_mul_f64_e32 v[32:33], v[28:29], v[32:33]
	v_fma_f64 v[18:19], v[22:23], v[18:19], -v[20:21]
	v_add_f64_e32 v[4:5], v[4:5], v[54:55]
	s_wait_dscnt 0x2
	v_mul_f64_e32 v[54:55], v[38:39], v[36:37]
	v_fmac_f64_e32 v[52:53], v[28:29], v[30:31]
	v_mul_f64_e32 v[36:37], v[40:41], v[36:37]
	v_add_f64_e32 v[20:21], v[56:57], v[24:25]
	v_add_f64_e32 v[4:5], v[4:5], v[50:51]
	s_wait_dscnt 0x0
	v_mul_f64_e32 v[50:51], v[42:43], v[48:49]
	v_fmac_f64_e32 v[54:55], v[40:41], v[34:35]
	v_fma_f64 v[40:41], v[26:27], v[30:31], -v[32:33]
	v_add_f64_e32 v[56:57], v[20:21], v[18:19]
	ds_load_b128 v[18:21], v17 offset:2048
	ds_load_b128 v[22:25], v14 offset:2048
	ds_load_b128 v[26:29], v14 offset:2304
	ds_load_b128 v[30:33], v17 offset:2304
	v_mul_f64_e32 v[48:49], v[44:45], v[48:49]
	v_fma_f64 v[34:35], v[38:39], v[34:35], -v[36:37]
	v_add_f64_e32 v[4:5], v[4:5], v[52:53]
	s_wait_dscnt 0x2
	v_mul_f64_e32 v[52:53], v[22:23], v[20:21]
	v_fmac_f64_e32 v[50:51], v[44:45], v[46:47]
	v_mul_f64_e32 v[20:21], v[24:25], v[20:21]
	v_add_f64_e32 v[36:37], v[56:57], v[40:41]
	;; [unrolled: 18-line block ×4, first 2 shown]
	v_add_f64_e32 v[4:5], v[4:5], v[50:51]
	s_wait_dscnt 0x0
	v_mul_f64_e32 v[50:51], v[26:27], v[32:33]
	v_fmac_f64_e32 v[54:55], v[24:25], v[18:19]
	v_fma_f64 v[24:25], v[42:43], v[46:47], -v[48:49]
	v_add_f64_e32 v[56:57], v[36:37], v[34:35]
	ds_load_b128 v[34:37], v17 offset:3584
	ds_load_b128 v[38:41], v14 offset:3584
	ds_load_b128 v[42:45], v14 offset:3840
	ds_load_b128 v[46:49], v17 offset:3840
	v_mul_f64_e32 v[32:33], v[28:29], v[32:33]
	v_fma_f64 v[18:19], v[22:23], v[18:19], -v[20:21]
	s_wait_dscnt 0x0
	v_mul_f64_e32 v[22:23], v[42:43], v[48:49]
	v_add_f64_e32 v[4:5], v[4:5], v[52:53]
	v_mul_f64_e32 v[52:53], v[38:39], v[36:37]
	v_fmac_f64_e32 v[50:51], v[28:29], v[30:31]
	v_add_f64_e32 v[20:21], v[56:57], v[24:25]
	v_mul_f64_e32 v[24:25], v[40:41], v[36:37]
	v_fma_f64 v[26:27], v[26:27], v[30:31], -v[32:33]
	v_fmac_f64_e32 v[22:23], v[44:45], v[46:47]
	v_add_f64_e32 v[4:5], v[4:5], v[54:55]
	v_fmac_f64_e32 v[52:53], v[40:41], v[34:35]
	v_add_f64_e32 v[18:19], v[20:21], v[18:19]
	v_mul_f64_e32 v[20:21], v[44:45], v[48:49]
	v_fma_f64 v[24:25], v[38:39], v[34:35], -v[24:25]
	v_add_f64_e32 v[4:5], v[4:5], v[50:51]
	s_delay_alu instid0(VALU_DEP_4) | instskip(NEXT) | instid1(VALU_DEP_4)
	v_add_f64_e32 v[18:19], v[18:19], v[26:27]
	v_fma_f64 v[20:21], v[42:43], v[46:47], -v[20:21]
	s_delay_alu instid0(VALU_DEP_3) | instskip(NEXT) | instid1(VALU_DEP_3)
	v_add_f64_e32 v[4:5], v[4:5], v[52:53]
	v_add_f64_e32 v[18:19], v[18:19], v[24:25]
	s_delay_alu instid0(VALU_DEP_2) | instskip(NEXT) | instid1(VALU_DEP_2)
	v_add_f64_e32 v[4:5], v[4:5], v[22:23]
	v_add_f64_e32 v[18:19], v[18:19], v[20:21]
	s_delay_alu instid0(VALU_DEP_2) | instskip(SKIP_1) | instid1(VALU_DEP_2)
	v_mul_f64_e32 v[20:21], v[6:7], v[4:5]
	v_mul_f64_e32 v[4:5], v[8:9], v[4:5]
	v_fmac_f64_e32 v[20:21], v[8:9], v[18:19]
	s_delay_alu instid0(VALU_DEP_2)
	v_fma_f64 v[18:19], v[6:7], v[18:19], -v[4:5]
	v_lshl_add_u64 v[4:5], s[14:15], 4, v[12:13]
	global_store_b128 v[4:5], v[18:21], off
	s_branch .LBB142_2
.LBB142_19:
	s_endpgm
	.section	.rodata,"a",@progbits
	.p2align	6, 0x0
	.amdhsa_kernel _ZL23rocblas_trmm_rTx_kernelILi16ELb1E19rocblas_complex_numIdEPKS1_S2_S1_Ev13rocblas_fill_17rocblas_diagonal_iiT2_lPT3_llS8_llPT4_lli
		.amdhsa_group_segment_fixed_size 8192
		.amdhsa_private_segment_fixed_size 0
		.amdhsa_kernarg_size 108
		.amdhsa_user_sgpr_count 2
		.amdhsa_user_sgpr_dispatch_ptr 0
		.amdhsa_user_sgpr_queue_ptr 0
		.amdhsa_user_sgpr_kernarg_segment_ptr 1
		.amdhsa_user_sgpr_dispatch_id 0
		.amdhsa_user_sgpr_kernarg_preload_length 0
		.amdhsa_user_sgpr_kernarg_preload_offset 0
		.amdhsa_user_sgpr_private_segment_size 0
		.amdhsa_wavefront_size32 1
		.amdhsa_uses_dynamic_stack 0
		.amdhsa_enable_private_segment 0
		.amdhsa_system_sgpr_workgroup_id_x 1
		.amdhsa_system_sgpr_workgroup_id_y 0
		.amdhsa_system_sgpr_workgroup_id_z 1
		.amdhsa_system_sgpr_workgroup_info 0
		.amdhsa_system_vgpr_workitem_id 1
		.amdhsa_next_free_vgpr 58
		.amdhsa_next_free_sgpr 36
		.amdhsa_named_barrier_count 0
		.amdhsa_reserve_vcc 1
		.amdhsa_float_round_mode_32 0
		.amdhsa_float_round_mode_16_64 0
		.amdhsa_float_denorm_mode_32 3
		.amdhsa_float_denorm_mode_16_64 3
		.amdhsa_fp16_overflow 0
		.amdhsa_memory_ordered 1
		.amdhsa_forward_progress 1
		.amdhsa_inst_pref_size 14
		.amdhsa_round_robin_scheduling 0
		.amdhsa_exception_fp_ieee_invalid_op 0
		.amdhsa_exception_fp_denorm_src 0
		.amdhsa_exception_fp_ieee_div_zero 0
		.amdhsa_exception_fp_ieee_overflow 0
		.amdhsa_exception_fp_ieee_underflow 0
		.amdhsa_exception_fp_ieee_inexact 0
		.amdhsa_exception_int_div_zero 0
	.end_amdhsa_kernel
	.section	.text._ZL23rocblas_trmm_rTx_kernelILi16ELb1E19rocblas_complex_numIdEPKS1_S2_S1_Ev13rocblas_fill_17rocblas_diagonal_iiT2_lPT3_llS8_llPT4_lli,"axG",@progbits,_ZL23rocblas_trmm_rTx_kernelILi16ELb1E19rocblas_complex_numIdEPKS1_S2_S1_Ev13rocblas_fill_17rocblas_diagonal_iiT2_lPT3_llS8_llPT4_lli,comdat
.Lfunc_end142:
	.size	_ZL23rocblas_trmm_rTx_kernelILi16ELb1E19rocblas_complex_numIdEPKS1_S2_S1_Ev13rocblas_fill_17rocblas_diagonal_iiT2_lPT3_llS8_llPT4_lli, .Lfunc_end142-_ZL23rocblas_trmm_rTx_kernelILi16ELb1E19rocblas_complex_numIdEPKS1_S2_S1_Ev13rocblas_fill_17rocblas_diagonal_iiT2_lPT3_llS8_llPT4_lli
                                        ; -- End function
	.set _ZL23rocblas_trmm_rTx_kernelILi16ELb1E19rocblas_complex_numIdEPKS1_S2_S1_Ev13rocblas_fill_17rocblas_diagonal_iiT2_lPT3_llS8_llPT4_lli.num_vgpr, 58
	.set _ZL23rocblas_trmm_rTx_kernelILi16ELb1E19rocblas_complex_numIdEPKS1_S2_S1_Ev13rocblas_fill_17rocblas_diagonal_iiT2_lPT3_llS8_llPT4_lli.num_agpr, 0
	.set _ZL23rocblas_trmm_rTx_kernelILi16ELb1E19rocblas_complex_numIdEPKS1_S2_S1_Ev13rocblas_fill_17rocblas_diagonal_iiT2_lPT3_llS8_llPT4_lli.numbered_sgpr, 36
	.set _ZL23rocblas_trmm_rTx_kernelILi16ELb1E19rocblas_complex_numIdEPKS1_S2_S1_Ev13rocblas_fill_17rocblas_diagonal_iiT2_lPT3_llS8_llPT4_lli.num_named_barrier, 0
	.set _ZL23rocblas_trmm_rTx_kernelILi16ELb1E19rocblas_complex_numIdEPKS1_S2_S1_Ev13rocblas_fill_17rocblas_diagonal_iiT2_lPT3_llS8_llPT4_lli.private_seg_size, 0
	.set _ZL23rocblas_trmm_rTx_kernelILi16ELb1E19rocblas_complex_numIdEPKS1_S2_S1_Ev13rocblas_fill_17rocblas_diagonal_iiT2_lPT3_llS8_llPT4_lli.uses_vcc, 1
	.set _ZL23rocblas_trmm_rTx_kernelILi16ELb1E19rocblas_complex_numIdEPKS1_S2_S1_Ev13rocblas_fill_17rocblas_diagonal_iiT2_lPT3_llS8_llPT4_lli.uses_flat_scratch, 0
	.set _ZL23rocblas_trmm_rTx_kernelILi16ELb1E19rocblas_complex_numIdEPKS1_S2_S1_Ev13rocblas_fill_17rocblas_diagonal_iiT2_lPT3_llS8_llPT4_lli.has_dyn_sized_stack, 0
	.set _ZL23rocblas_trmm_rTx_kernelILi16ELb1E19rocblas_complex_numIdEPKS1_S2_S1_Ev13rocblas_fill_17rocblas_diagonal_iiT2_lPT3_llS8_llPT4_lli.has_recursion, 0
	.set _ZL23rocblas_trmm_rTx_kernelILi16ELb1E19rocblas_complex_numIdEPKS1_S2_S1_Ev13rocblas_fill_17rocblas_diagonal_iiT2_lPT3_llS8_llPT4_lli.has_indirect_call, 0
	.section	.AMDGPU.csdata,"",@progbits
; Kernel info:
; codeLenInByte = 1688
; TotalNumSgprs: 38
; NumVgprs: 58
; ScratchSize: 0
; MemoryBound: 0
; FloatMode: 240
; IeeeMode: 1
; LDSByteSize: 8192 bytes/workgroup (compile time only)
; SGPRBlocks: 0
; VGPRBlocks: 3
; NumSGPRsForWavesPerEU: 38
; NumVGPRsForWavesPerEU: 58
; NamedBarCnt: 0
; Occupancy: 16
; WaveLimiterHint : 0
; COMPUTE_PGM_RSRC2:SCRATCH_EN: 0
; COMPUTE_PGM_RSRC2:USER_SGPR: 2
; COMPUTE_PGM_RSRC2:TRAP_HANDLER: 0
; COMPUTE_PGM_RSRC2:TGID_X_EN: 1
; COMPUTE_PGM_RSRC2:TGID_Y_EN: 0
; COMPUTE_PGM_RSRC2:TGID_Z_EN: 1
; COMPUTE_PGM_RSRC2:TIDIG_COMP_CNT: 1
	.section	.text._ZL23rocblas_trmm_rTx_kernelILi16ELb1E19rocblas_complex_numIdES1_KS1_S1_Ev13rocblas_fill_17rocblas_diagonal_iiT2_lPT3_llS7_llPT4_lli,"axG",@progbits,_ZL23rocblas_trmm_rTx_kernelILi16ELb1E19rocblas_complex_numIdES1_KS1_S1_Ev13rocblas_fill_17rocblas_diagonal_iiT2_lPT3_llS7_llPT4_lli,comdat
	.globl	_ZL23rocblas_trmm_rTx_kernelILi16ELb1E19rocblas_complex_numIdES1_KS1_S1_Ev13rocblas_fill_17rocblas_diagonal_iiT2_lPT3_llS7_llPT4_lli ; -- Begin function _ZL23rocblas_trmm_rTx_kernelILi16ELb1E19rocblas_complex_numIdES1_KS1_S1_Ev13rocblas_fill_17rocblas_diagonal_iiT2_lPT3_llS7_llPT4_lli
	.p2align	8
	.type	_ZL23rocblas_trmm_rTx_kernelILi16ELb1E19rocblas_complex_numIdES1_KS1_S1_Ev13rocblas_fill_17rocblas_diagonal_iiT2_lPT3_llS7_llPT4_lli,@function
_ZL23rocblas_trmm_rTx_kernelILi16ELb1E19rocblas_complex_numIdES1_KS1_S1_Ev13rocblas_fill_17rocblas_diagonal_iiT2_lPT3_llS7_llPT4_lli: ; @_ZL23rocblas_trmm_rTx_kernelILi16ELb1E19rocblas_complex_numIdES1_KS1_S1_Ev13rocblas_fill_17rocblas_diagonal_iiT2_lPT3_llS7_llPT4_lli
; %bb.0:
	s_load_b32 s33, s[0:1], 0x70
	s_bfe_u32 s2, ttmp6, 0x40014
	s_lshr_b32 s3, ttmp7, 16
	s_add_co_i32 s2, s2, 1
	s_bfe_u32 s5, ttmp6, 0x40008
	s_mul_i32 s4, s3, s2
	s_getreg_b32 s2, hwreg(HW_REG_IB_STS2, 6, 4)
	s_add_co_i32 s5, s5, s4
	s_cmp_eq_u32 s2, 0
	s_mov_b32 s29, 0
	s_cselect_b32 s28, s3, s5
	s_wait_kmcnt 0x0
	s_cmp_ge_u32 s28, s33
	s_cbranch_scc1 .LBB143_19
; %bb.1:
	s_clause 0x1
	s_load_b256 s[20:27], s[0:1], 0x0
	s_load_b512 s[4:19], s[0:1], 0x28
	v_bfe_u32 v4, v0, 10, 10
	v_mov_b32_e32 v2, 0
	s_load_b64 s[30:31], s[0:1], 0x68
	s_wait_xcnt 0x0
	s_bfe_u32 s0, ttmp6, 0x4000c
	v_and_b32_e32 v0, 0x3ff, v0
	v_dual_mov_b32 v5, v2 :: v_dual_lshlrev_b32 v10, 4, v4
	v_mov_b32_e32 v1, v2
	s_add_co_i32 s0, s0, 1
	s_delay_alu instid0(VALU_DEP_3)
	v_cmp_eq_u32_e32 vcc_lo, v4, v0
	v_cmp_gt_u32_e64 s1, v0, v4
	v_add_lshl_u32 v12, v10, v0, 4
	v_lshlrev_b64_e32 v[16:17], 4, v[0:1]
	v_lshl_add_u32 v11, v0, 4, 0x1000
	v_mov_b32_e32 v3, 0x3ff00000
	s_delay_alu instid0(VALU_DEP_4)
	v_add_nc_u32_e32 v13, 0x1000, v12
	s_wait_kmcnt 0x0
	v_cmp_neq_f64_e64 s3, s[24:25], 0
	v_cmp_neq_f64_e64 s34, s[26:27], 0
	v_mul_u64_e32 v[6:7], s[6:7], v[4:5]
	v_mul_u64_e32 v[8:9], s[12:13], v[4:5]
	;; [unrolled: 1-line block ×3, first 2 shown]
	s_add_co_i32 s12, s22, -1
	s_and_b32 s6, ttmp6, 15
	s_mul_i32 s7, ttmp9, s0
	s_ashr_i32 s13, s12, 31
	s_add_co_i32 s7, s6, s7
	s_lshr_b32 s6, s13, 28
	v_cmp_lt_u32_e64 s0, v0, v4
	s_add_co_i32 s12, s12, s6
	s_delay_alu instid0(SALU_CYCLE_1)
	s_and_b32 s6, s12, -16
	s_ashr_i32 s12, s12, 4
	s_sub_co_i32 s13, s22, s6
	s_or_b32 s6, s3, s34
	s_cmp_eq_u32 s2, 0
	v_cmp_gt_i32_e64 s2, s23, v4
	s_cselect_b32 s7, ttmp9, s7
	v_cmp_gt_i32_e64 s3, s23, v0
	s_cmp_ge_i32 s7, s12
	v_lshl_add_u64 v[4:5], v[6:7], 4, s[4:5]
	s_cselect_b32 s18, s13, 16
	s_lshl_b32 s12, s7, 4
	v_cmp_gt_i32_e64 s4, s18, v0
	s_ashr_i32 s13, s12, 31
	s_and_b32 s3, s2, s3
	s_lshl_b64 s[12:13], s[12:13], 4
	v_add_nc_u64_e32 v[0:1], v[4:5], v[16:17]
	s_add_nc_u64 s[10:11], s[10:11], s[12:13]
	s_add_nc_u64 s[12:13], s[16:17], s[12:13]
	v_lshl_add_u64 v[6:7], v[8:9], 4, s[10:11]
	v_lshl_add_u64 v[8:9], v[14:15], 4, s[12:13]
	s_and_b32 s2, s2, s4
	s_cmp_eq_u32 s21, 0x84
	s_cselect_b32 s4, -1, 0
	v_add_nc_u64_e32 v[6:7], v[6:7], v[16:17]
	v_add_nc_u64_e32 v[8:9], v[8:9], v[16:17]
	s_and_b32 s4, vcc_lo, s4
	s_cmp_lg_u32 s20, 0x79
	s_cselect_b32 s5, -1, 0
	s_branch .LBB143_4
.LBB143_2:                              ;   in Loop: Header=BB143_4 Depth=1
	s_wait_xcnt 0x0
	s_or_b32 exec_lo, exec_lo, s7
.LBB143_3:                              ;   in Loop: Header=BB143_4 Depth=1
	s_add_co_i32 s28, s28, 0x10000
	s_delay_alu instid0(SALU_CYCLE_1)
	s_cmp_lt_u32 s28, s33
	s_cbranch_scc0 .LBB143_19
.LBB143_4:                              ; =>This Inner Loop Header: Depth=1
	s_and_not1_b32 vcc_lo, exec_lo, s6
	s_cbranch_vccnz .LBB143_3
; %bb.5:                                ;   in Loop: Header=BB143_4 Depth=1
	s_mov_b32 s16, s29
	s_mov_b32 s17, s29
	s_mov_b32 s18, s29
	s_mov_b32 s19, s29
	v_mov_b64_e32 v[14:15], s[16:17]
	v_mov_b64_e32 v[16:17], s[18:19]
	ds_store_b128 v12, v[14:17]
	ds_store_b128 v13, v[14:17]
	s_and_saveexec_b32 s7, s3
	s_cbranch_execnz .LBB143_10
; %bb.6:                                ;   in Loop: Header=BB143_4 Depth=1
	s_or_b32 exec_lo, exec_lo, s7
	s_and_saveexec_b32 s7, s2
	s_cbranch_execnz .LBB143_11
.LBB143_7:                              ;   in Loop: Header=BB143_4 Depth=1
	s_or_b32 exec_lo, exec_lo, s7
	s_and_saveexec_b32 s7, s4
	s_cbranch_execnz .LBB143_12
.LBB143_8:                              ;   in Loop: Header=BB143_4 Depth=1
	s_or_b32 exec_lo, exec_lo, s7
	s_delay_alu instid0(SALU_CYCLE_1)
	s_and_b32 vcc_lo, exec_lo, s5
	s_cbranch_vccz .LBB143_13
.LBB143_9:                              ;   in Loop: Header=BB143_4 Depth=1
	s_and_b32 s7, s0, exec_lo
	s_cbranch_execz .LBB143_14
	s_branch .LBB143_15
.LBB143_10:                             ;   in Loop: Header=BB143_4 Depth=1
	s_mul_u64 s[10:11], s[8:9], s[28:29]
	s_delay_alu instid0(SALU_CYCLE_1)
	v_lshl_add_u64 v[4:5], s[10:11], 4, v[0:1]
	global_load_b128 v[14:17], v[4:5], off
	s_wait_loadcnt 0x0
	v_xor_b32_e32 v17, 0x80000000, v17
	ds_store_b128 v12, v[14:17]
	s_wait_xcnt 0x0
	s_or_b32 exec_lo, exec_lo, s7
	s_and_saveexec_b32 s7, s2
	s_cbranch_execz .LBB143_7
.LBB143_11:                             ;   in Loop: Header=BB143_4 Depth=1
	s_mul_u64 s[10:11], s[14:15], s[28:29]
	s_delay_alu instid0(SALU_CYCLE_1)
	v_lshl_add_u64 v[4:5], s[10:11], 4, v[6:7]
	global_load_b128 v[14:17], v[4:5], off
	s_wait_loadcnt 0x0
	ds_store_2addr_b64 v13, v[14:15], v[16:17] offset1:1
	s_wait_xcnt 0x0
	s_or_b32 exec_lo, exec_lo, s7
	s_and_saveexec_b32 s7, s4
	s_cbranch_execz .LBB143_8
.LBB143_12:                             ;   in Loop: Header=BB143_4 Depth=1
	v_dual_mov_b32 v4, v2 :: v_dual_mov_b32 v5, v2
	ds_store_b128 v12, v[2:5]
	s_or_b32 exec_lo, exec_lo, s7
	s_delay_alu instid0(SALU_CYCLE_1)
	s_and_b32 vcc_lo, exec_lo, s5
	s_cbranch_vccnz .LBB143_9
.LBB143_13:                             ;   in Loop: Header=BB143_4 Depth=1
	s_mov_b32 s7, 0
.LBB143_14:                             ;   in Loop: Header=BB143_4 Depth=1
	s_delay_alu instid0(SALU_CYCLE_1) | instskip(SKIP_1) | instid1(SALU_CYCLE_1)
	s_and_not1_b32 s7, s7, exec_lo
	s_and_b32 s10, s1, exec_lo
	s_or_b32 s7, s7, s10
.LBB143_15:                             ;   in Loop: Header=BB143_4 Depth=1
	s_delay_alu instid0(SALU_CYCLE_1)
	s_and_saveexec_b32 s10, s7
; %bb.16:                               ;   in Loop: Header=BB143_4 Depth=1
	v_dual_mov_b32 v14, v2 :: v_dual_mov_b32 v15, v2
	v_dual_mov_b32 v16, v2 :: v_dual_mov_b32 v17, v2
	ds_store_b128 v12, v[14:17]
; %bb.17:                               ;   in Loop: Header=BB143_4 Depth=1
	s_or_b32 exec_lo, exec_lo, s10
	s_wait_dscnt 0x0
	s_barrier_signal -1
	s_barrier_wait -1
	s_and_saveexec_b32 s7, s2
	s_cbranch_execz .LBB143_2
; %bb.18:                               ;   in Loop: Header=BB143_4 Depth=1
	ds_load_b128 v[14:17], v11
	ds_load_b128 v[18:21], v10
	ds_load_b128 v[22:25], v10 offset:256
	ds_load_b128 v[26:29], v11 offset:256
	;; [unrolled: 1-line block ×6, first 2 shown]
	s_mul_u64 s[10:11], s[30:31], s[28:29]
	s_wait_dscnt 0x6
	v_mul_f64_e32 v[4:5], v[18:19], v[16:17]
	v_mul_f64_e32 v[16:17], v[20:21], v[16:17]
	s_wait_dscnt 0x4
	v_mul_f64_e32 v[46:47], v[22:23], v[28:29]
	s_wait_dscnt 0x2
	;; [unrolled: 2-line block ×3, first 2 shown]
	v_mul_f64_e32 v[50:51], v[38:39], v[44:45]
	v_mul_f64_e32 v[32:33], v[36:37], v[32:33]
	;; [unrolled: 1-line block ×3, first 2 shown]
	v_fmac_f64_e32 v[4:5], v[20:21], v[14:15]
	v_mul_f64_e32 v[20:21], v[24:25], v[28:29]
	v_fmac_f64_e32 v[46:47], v[24:25], v[26:27]
	v_fma_f64 v[14:15], v[18:19], v[14:15], -v[16:17]
	v_fmac_f64_e32 v[48:49], v[36:37], v[30:31]
	v_fmac_f64_e32 v[50:51], v[40:41], v[42:43]
	v_fma_f64 v[30:31], v[34:35], v[30:31], -v[32:33]
	v_add_f64_e32 v[4:5], 0, v[4:5]
	v_fma_f64 v[36:37], v[22:23], v[26:27], -v[20:21]
	v_add_f64_e32 v[52:53], 0, v[14:15]
	ds_load_b128 v[14:17], v11 offset:1024
	ds_load_b128 v[18:21], v10 offset:1024
	;; [unrolled: 1-line block ×4, first 2 shown]
	v_add_f64_e32 v[4:5], v[4:5], v[46:47]
	s_wait_dscnt 0x2
	v_mul_f64_e32 v[46:47], v[18:19], v[16:17]
	v_mul_f64_e32 v[16:17], v[20:21], v[16:17]
	v_add_f64_e32 v[32:33], v[52:53], v[36:37]
	s_delay_alu instid0(VALU_DEP_4)
	v_add_f64_e32 v[4:5], v[4:5], v[48:49]
	s_wait_dscnt 0x0
	v_mul_f64_e32 v[48:49], v[22:23], v[28:29]
	v_fmac_f64_e32 v[46:47], v[20:21], v[14:15]
	v_fma_f64 v[20:21], v[38:39], v[42:43], -v[44:45]
	v_add_f64_e32 v[52:53], v[32:33], v[30:31]
	ds_load_b128 v[30:33], v11 offset:1536
	ds_load_b128 v[34:37], v10 offset:1536
	ds_load_b128 v[38:41], v10 offset:1792
	ds_load_b128 v[42:45], v11 offset:1792
	v_mul_f64_e32 v[28:29], v[24:25], v[28:29]
	v_fma_f64 v[14:15], v[18:19], v[14:15], -v[16:17]
	v_add_f64_e32 v[4:5], v[4:5], v[50:51]
	s_wait_dscnt 0x2
	v_mul_f64_e32 v[50:51], v[34:35], v[32:33]
	v_fmac_f64_e32 v[48:49], v[24:25], v[26:27]
	v_mul_f64_e32 v[32:33], v[36:37], v[32:33]
	v_add_f64_e32 v[16:17], v[52:53], v[20:21]
	v_add_f64_e32 v[4:5], v[4:5], v[46:47]
	s_wait_dscnt 0x0
	v_mul_f64_e32 v[46:47], v[38:39], v[44:45]
	v_fmac_f64_e32 v[50:51], v[36:37], v[30:31]
	v_fma_f64 v[36:37], v[22:23], v[26:27], -v[28:29]
	v_add_f64_e32 v[52:53], v[16:17], v[14:15]
	ds_load_b128 v[14:17], v11 offset:2048
	ds_load_b128 v[18:21], v10 offset:2048
	ds_load_b128 v[22:25], v10 offset:2304
	ds_load_b128 v[26:29], v11 offset:2304
	v_mul_f64_e32 v[44:45], v[40:41], v[44:45]
	v_fma_f64 v[30:31], v[34:35], v[30:31], -v[32:33]
	v_add_f64_e32 v[4:5], v[4:5], v[48:49]
	s_wait_dscnt 0x2
	v_mul_f64_e32 v[48:49], v[18:19], v[16:17]
	v_fmac_f64_e32 v[46:47], v[40:41], v[42:43]
	v_mul_f64_e32 v[16:17], v[20:21], v[16:17]
	v_add_f64_e32 v[32:33], v[52:53], v[36:37]
	;; [unrolled: 18-line block ×4, first 2 shown]
	v_add_f64_e32 v[4:5], v[4:5], v[46:47]
	s_wait_dscnt 0x0
	v_mul_f64_e32 v[46:47], v[22:23], v[28:29]
	v_fmac_f64_e32 v[50:51], v[20:21], v[14:15]
	v_fma_f64 v[20:21], v[38:39], v[42:43], -v[44:45]
	v_add_f64_e32 v[52:53], v[32:33], v[30:31]
	ds_load_b128 v[30:33], v11 offset:3584
	ds_load_b128 v[34:37], v10 offset:3584
	;; [unrolled: 1-line block ×4, first 2 shown]
	v_mul_f64_e32 v[28:29], v[24:25], v[28:29]
	v_fma_f64 v[14:15], v[18:19], v[14:15], -v[16:17]
	s_wait_dscnt 0x0
	v_mul_f64_e32 v[18:19], v[38:39], v[44:45]
	v_add_f64_e32 v[4:5], v[4:5], v[48:49]
	v_mul_f64_e32 v[48:49], v[34:35], v[32:33]
	v_fmac_f64_e32 v[46:47], v[24:25], v[26:27]
	v_add_f64_e32 v[16:17], v[52:53], v[20:21]
	v_mul_f64_e32 v[20:21], v[36:37], v[32:33]
	v_fma_f64 v[22:23], v[22:23], v[26:27], -v[28:29]
	v_fmac_f64_e32 v[18:19], v[40:41], v[42:43]
	v_add_f64_e32 v[4:5], v[4:5], v[50:51]
	v_fmac_f64_e32 v[48:49], v[36:37], v[30:31]
	v_add_f64_e32 v[14:15], v[16:17], v[14:15]
	v_mul_f64_e32 v[16:17], v[40:41], v[44:45]
	v_fma_f64 v[20:21], v[34:35], v[30:31], -v[20:21]
	v_add_f64_e32 v[4:5], v[4:5], v[46:47]
	s_delay_alu instid0(VALU_DEP_4) | instskip(NEXT) | instid1(VALU_DEP_4)
	v_add_f64_e32 v[14:15], v[14:15], v[22:23]
	v_fma_f64 v[16:17], v[38:39], v[42:43], -v[16:17]
	s_delay_alu instid0(VALU_DEP_3) | instskip(NEXT) | instid1(VALU_DEP_3)
	v_add_f64_e32 v[4:5], v[4:5], v[48:49]
	v_add_f64_e32 v[14:15], v[14:15], v[20:21]
	s_delay_alu instid0(VALU_DEP_2) | instskip(NEXT) | instid1(VALU_DEP_2)
	v_add_f64_e32 v[4:5], v[4:5], v[18:19]
	v_add_f64_e32 v[14:15], v[14:15], v[16:17]
	s_delay_alu instid0(VALU_DEP_2) | instskip(SKIP_1) | instid1(VALU_DEP_2)
	v_mul_f64_e32 v[16:17], s[24:25], v[4:5]
	v_mul_f64_e32 v[4:5], s[26:27], v[4:5]
	v_fmac_f64_e32 v[16:17], s[26:27], v[14:15]
	s_delay_alu instid0(VALU_DEP_2)
	v_fma_f64 v[14:15], s[24:25], v[14:15], -v[4:5]
	v_lshl_add_u64 v[4:5], s[10:11], 4, v[8:9]
	global_store_b128 v[4:5], v[14:17], off
	s_branch .LBB143_2
.LBB143_19:
	s_endpgm
	.section	.rodata,"a",@progbits
	.p2align	6, 0x0
	.amdhsa_kernel _ZL23rocblas_trmm_rTx_kernelILi16ELb1E19rocblas_complex_numIdES1_KS1_S1_Ev13rocblas_fill_17rocblas_diagonal_iiT2_lPT3_llS7_llPT4_lli
		.amdhsa_group_segment_fixed_size 8192
		.amdhsa_private_segment_fixed_size 0
		.amdhsa_kernarg_size 116
		.amdhsa_user_sgpr_count 2
		.amdhsa_user_sgpr_dispatch_ptr 0
		.amdhsa_user_sgpr_queue_ptr 0
		.amdhsa_user_sgpr_kernarg_segment_ptr 1
		.amdhsa_user_sgpr_dispatch_id 0
		.amdhsa_user_sgpr_kernarg_preload_length 0
		.amdhsa_user_sgpr_kernarg_preload_offset 0
		.amdhsa_user_sgpr_private_segment_size 0
		.amdhsa_wavefront_size32 1
		.amdhsa_uses_dynamic_stack 0
		.amdhsa_enable_private_segment 0
		.amdhsa_system_sgpr_workgroup_id_x 1
		.amdhsa_system_sgpr_workgroup_id_y 0
		.amdhsa_system_sgpr_workgroup_id_z 1
		.amdhsa_system_sgpr_workgroup_info 0
		.amdhsa_system_vgpr_workitem_id 1
		.amdhsa_next_free_vgpr 54
		.amdhsa_next_free_sgpr 35
		.amdhsa_named_barrier_count 0
		.amdhsa_reserve_vcc 1
		.amdhsa_float_round_mode_32 0
		.amdhsa_float_round_mode_16_64 0
		.amdhsa_float_denorm_mode_32 3
		.amdhsa_float_denorm_mode_16_64 3
		.amdhsa_fp16_overflow 0
		.amdhsa_memory_ordered 1
		.amdhsa_forward_progress 1
		.amdhsa_inst_pref_size 13
		.amdhsa_round_robin_scheduling 0
		.amdhsa_exception_fp_ieee_invalid_op 0
		.amdhsa_exception_fp_denorm_src 0
		.amdhsa_exception_fp_ieee_div_zero 0
		.amdhsa_exception_fp_ieee_overflow 0
		.amdhsa_exception_fp_ieee_underflow 0
		.amdhsa_exception_fp_ieee_inexact 0
		.amdhsa_exception_int_div_zero 0
	.end_amdhsa_kernel
	.section	.text._ZL23rocblas_trmm_rTx_kernelILi16ELb1E19rocblas_complex_numIdES1_KS1_S1_Ev13rocblas_fill_17rocblas_diagonal_iiT2_lPT3_llS7_llPT4_lli,"axG",@progbits,_ZL23rocblas_trmm_rTx_kernelILi16ELb1E19rocblas_complex_numIdES1_KS1_S1_Ev13rocblas_fill_17rocblas_diagonal_iiT2_lPT3_llS7_llPT4_lli,comdat
.Lfunc_end143:
	.size	_ZL23rocblas_trmm_rTx_kernelILi16ELb1E19rocblas_complex_numIdES1_KS1_S1_Ev13rocblas_fill_17rocblas_diagonal_iiT2_lPT3_llS7_llPT4_lli, .Lfunc_end143-_ZL23rocblas_trmm_rTx_kernelILi16ELb1E19rocblas_complex_numIdES1_KS1_S1_Ev13rocblas_fill_17rocblas_diagonal_iiT2_lPT3_llS7_llPT4_lli
                                        ; -- End function
	.set _ZL23rocblas_trmm_rTx_kernelILi16ELb1E19rocblas_complex_numIdES1_KS1_S1_Ev13rocblas_fill_17rocblas_diagonal_iiT2_lPT3_llS7_llPT4_lli.num_vgpr, 54
	.set _ZL23rocblas_trmm_rTx_kernelILi16ELb1E19rocblas_complex_numIdES1_KS1_S1_Ev13rocblas_fill_17rocblas_diagonal_iiT2_lPT3_llS7_llPT4_lli.num_agpr, 0
	.set _ZL23rocblas_trmm_rTx_kernelILi16ELb1E19rocblas_complex_numIdES1_KS1_S1_Ev13rocblas_fill_17rocblas_diagonal_iiT2_lPT3_llS7_llPT4_lli.numbered_sgpr, 35
	.set _ZL23rocblas_trmm_rTx_kernelILi16ELb1E19rocblas_complex_numIdES1_KS1_S1_Ev13rocblas_fill_17rocblas_diagonal_iiT2_lPT3_llS7_llPT4_lli.num_named_barrier, 0
	.set _ZL23rocblas_trmm_rTx_kernelILi16ELb1E19rocblas_complex_numIdES1_KS1_S1_Ev13rocblas_fill_17rocblas_diagonal_iiT2_lPT3_llS7_llPT4_lli.private_seg_size, 0
	.set _ZL23rocblas_trmm_rTx_kernelILi16ELb1E19rocblas_complex_numIdES1_KS1_S1_Ev13rocblas_fill_17rocblas_diagonal_iiT2_lPT3_llS7_llPT4_lli.uses_vcc, 1
	.set _ZL23rocblas_trmm_rTx_kernelILi16ELb1E19rocblas_complex_numIdES1_KS1_S1_Ev13rocblas_fill_17rocblas_diagonal_iiT2_lPT3_llS7_llPT4_lli.uses_flat_scratch, 0
	.set _ZL23rocblas_trmm_rTx_kernelILi16ELb1E19rocblas_complex_numIdES1_KS1_S1_Ev13rocblas_fill_17rocblas_diagonal_iiT2_lPT3_llS7_llPT4_lli.has_dyn_sized_stack, 0
	.set _ZL23rocblas_trmm_rTx_kernelILi16ELb1E19rocblas_complex_numIdES1_KS1_S1_Ev13rocblas_fill_17rocblas_diagonal_iiT2_lPT3_llS7_llPT4_lli.has_recursion, 0
	.set _ZL23rocblas_trmm_rTx_kernelILi16ELb1E19rocblas_complex_numIdES1_KS1_S1_Ev13rocblas_fill_17rocblas_diagonal_iiT2_lPT3_llS7_llPT4_lli.has_indirect_call, 0
	.section	.AMDGPU.csdata,"",@progbits
; Kernel info:
; codeLenInByte = 1632
; TotalNumSgprs: 37
; NumVgprs: 54
; ScratchSize: 0
; MemoryBound: 0
; FloatMode: 240
; IeeeMode: 1
; LDSByteSize: 8192 bytes/workgroup (compile time only)
; SGPRBlocks: 0
; VGPRBlocks: 3
; NumSGPRsForWavesPerEU: 37
; NumVGPRsForWavesPerEU: 54
; NamedBarCnt: 0
; Occupancy: 16
; WaveLimiterHint : 1
; COMPUTE_PGM_RSRC2:SCRATCH_EN: 0
; COMPUTE_PGM_RSRC2:USER_SGPR: 2
; COMPUTE_PGM_RSRC2:TRAP_HANDLER: 0
; COMPUTE_PGM_RSRC2:TGID_X_EN: 1
; COMPUTE_PGM_RSRC2:TGID_Y_EN: 0
; COMPUTE_PGM_RSRC2:TGID_Z_EN: 1
; COMPUTE_PGM_RSRC2:TIDIG_COMP_CNT: 1
	.section	.text._ZL23rocblas_trmm_lNx_kernelILi32EfPKfKS1_KPfEv13rocblas_fill_17rocblas_diagonal_iiT1_lPT2_llS9_llPT3_lli,"axG",@progbits,_ZL23rocblas_trmm_lNx_kernelILi32EfPKfKS1_KPfEv13rocblas_fill_17rocblas_diagonal_iiT1_lPT2_llS9_llPT3_lli,comdat
	.globl	_ZL23rocblas_trmm_lNx_kernelILi32EfPKfKS1_KPfEv13rocblas_fill_17rocblas_diagonal_iiT1_lPT2_llS9_llPT3_lli ; -- Begin function _ZL23rocblas_trmm_lNx_kernelILi32EfPKfKS1_KPfEv13rocblas_fill_17rocblas_diagonal_iiT1_lPT2_llS9_llPT3_lli
	.p2align	8
	.type	_ZL23rocblas_trmm_lNx_kernelILi32EfPKfKS1_KPfEv13rocblas_fill_17rocblas_diagonal_iiT1_lPT2_llS9_llPT3_lli,@function
_ZL23rocblas_trmm_lNx_kernelILi32EfPKfKS1_KPfEv13rocblas_fill_17rocblas_diagonal_iiT1_lPT2_llS9_llPT3_lli: ; @_ZL23rocblas_trmm_lNx_kernelILi32EfPKfKS1_KPfEv13rocblas_fill_17rocblas_diagonal_iiT1_lPT2_llS9_llPT3_lli
; %bb.0:
	s_load_b32 s33, s[0:1], 0x68
	s_bfe_u32 s2, ttmp6, 0x40014
	s_lshr_b32 s3, ttmp7, 16
	s_add_co_i32 s2, s2, 1
	s_bfe_u32 s5, ttmp6, 0x40008
	s_mul_i32 s4, s3, s2
	s_getreg_b32 s2, hwreg(HW_REG_IB_STS2, 6, 4)
	s_add_co_i32 s5, s5, s4
	s_cmp_eq_u32 s2, 0
	s_mov_b32 s7, 0
	s_cselect_b32 s6, s3, s5
	s_wait_kmcnt 0x0
	s_cmp_ge_u32 s6, s33
	s_cbranch_scc1 .LBB144_19
; %bb.1:
	s_clause 0x3
	s_load_b128 s[28:31], s[0:1], 0x0
	s_load_b512 s[8:23], s[0:1], 0x10
	s_load_b64 s[34:35], s[0:1], 0x60
	s_load_b128 s[24:27], s[0:1], 0x50
	s_wait_xcnt 0x0
	s_bfe_u32 s0, ttmp6, 0x4000c
	v_bfe_u32 v2, v0, 10, 10
	v_dual_mov_b32 v3, 0 :: v_dual_mov_b32 v12, 1.0
	s_add_co_i32 s0, s0, 1
	s_and_b32 s3, ttmp6, 15
	s_mul_i32 s4, ttmp9, s0
	v_and_b32_e32 v8, 0x3ff, v0
	s_add_co_i32 s3, s3, s4
	v_lshlrev_b32_e32 v9, 5, v2
	v_lshl_add_u32 v14, v2, 7, 0x1000
	s_delay_alu instid0(VALU_DEP_3) | instskip(SKIP_1) | instid1(VALU_DEP_4)
	v_cmp_eq_u32_e32 vcc_lo, v2, v8
	v_lshlrev_b32_e32 v13, 2, v8
	v_add_lshl_u32 v15, v9, v8, 2
	v_cmp_lt_u32_e64 s0, v8, v2
	s_wait_kmcnt 0x0
	s_add_co_i32 s5, s31, -1
	v_mul_u64_e32 v[0:1], s[14:15], v[2:3]
	s_ashr_i32 s4, s5, 31
	v_mul_u64_e32 v[4:5], s[20:21], v[2:3]
	v_mul_u64_e32 v[6:7], s[26:27], v[2:3]
	s_lshr_b32 s4, s4, 27
	v_cmp_gt_u32_e64 s1, v8, v2
	s_add_co_i32 s4, s5, s4
	v_add_nc_u32_e32 v16, 0x400, v13
	s_and_b32 s5, s4, 0xffffffe0
	s_ashr_i32 s4, s4, 5
	s_sub_co_i32 s5, s31, s5
	s_cmp_eq_u32 s2, 0
	v_cmp_gt_i32_e64 s2, s30, v2
	s_cselect_b32 s14, ttmp9, s3
	v_cmp_gt_i32_e64 s3, s30, v8
	s_cmp_ge_i32 s14, s4
	v_add_nc_u32_e32 v17, 0x1000, v15
	s_cselect_b32 s4, s5, 32
	s_lshl_b32 s14, s14, 5
	v_cmp_gt_i32_e64 s4, s4, v2
	s_and_b32 s30, s2, s3
	s_ashr_i32 s15, s14, 31
	v_lshlrev_b32_e32 v2, 2, v8
	v_add_nc_u32_e32 v18, 0x800, v13
	s_and_b32 s31, s3, s4
	s_cmp_eq_u32 s29, 0x84
	v_add_nc_u32_e32 v19, 0xc00, v13
	s_cselect_b32 s2, -1, 0
	s_mul_u64 s[20:21], s[20:21], s[14:15]
	s_and_b32 s29, vcc_lo, s2
	s_cmp_lg_u32 s28, 0x79
	s_mul_u64 s[36:37], s[26:27], s[14:15]
	s_cselect_b32 s26, -1, 0
	s_lshl_b64 s[2:3], s[16:17], 2
	s_lshl_b64 s[4:5], s[22:23], 2
	;; [unrolled: 1-line block ×5, first 2 shown]
	s_branch .LBB144_4
.LBB144_2:                              ;   in Loop: Header=BB144_4 Depth=1
	s_wait_xcnt 0x0
	s_or_b32 exec_lo, exec_lo, s22
.LBB144_3:                              ;   in Loop: Header=BB144_4 Depth=1
	s_add_co_i32 s6, s6, 0x10000
	s_delay_alu instid0(SALU_CYCLE_1)
	s_cmp_lt_u32 s6, s33
	s_cbranch_scc0 .LBB144_19
.LBB144_4:                              ; =>This Inner Loop Header: Depth=1
	s_wait_xcnt 0x0
	s_mul_u64 s[22:23], s[10:11], s[6:7]
	s_delay_alu instid0(SALU_CYCLE_1) | instskip(NEXT) | instid1(SALU_CYCLE_1)
	s_lshl_b64 s[22:23], s[22:23], 2
	s_add_nc_u64 s[22:23], s[8:9], s[22:23]
	global_load_b32 v20, v3, s[22:23]
	s_wait_loadcnt 0x0
	v_cmp_eq_f32_e32 vcc_lo, 0, v20
	s_cbranch_vccnz .LBB144_3
; %bb.5:                                ;   in Loop: Header=BB144_4 Depth=1
	s_wait_xcnt 0x0
	s_lshl_b64 s[22:23], s[6:7], 3
	s_delay_alu instid0(SALU_CYCLE_1)
	s_add_nc_u64 s[34:35], s[18:19], s[22:23]
	s_add_nc_u64 s[36:37], s[24:25], s[22:23]
	s_clause 0x1
	global_load_b64 v[10:11], v3, s[34:35]
	global_load_b64 v[8:9], v3, s[36:37]
	ds_store_b32 v15, v3
	ds_store_b32 v17, v3
	s_wait_xcnt 0x0
	s_and_saveexec_b32 s27, s30
	s_cbranch_execnz .LBB144_10
; %bb.6:                                ;   in Loop: Header=BB144_4 Depth=1
	s_or_b32 exec_lo, exec_lo, s27
	s_and_saveexec_b32 s22, s31
	s_cbranch_execnz .LBB144_11
.LBB144_7:                              ;   in Loop: Header=BB144_4 Depth=1
	s_or_b32 exec_lo, exec_lo, s22
	s_and_saveexec_b32 s22, s29
	s_cbranch_execnz .LBB144_12
.LBB144_8:                              ;   in Loop: Header=BB144_4 Depth=1
	s_or_b32 exec_lo, exec_lo, s22
	s_delay_alu instid0(SALU_CYCLE_1)
	s_and_b32 vcc_lo, exec_lo, s26
	s_cbranch_vccz .LBB144_13
.LBB144_9:                              ;   in Loop: Header=BB144_4 Depth=1
	s_and_b32 s22, s0, exec_lo
	s_cbranch_execz .LBB144_14
	s_branch .LBB144_15
.LBB144_10:                             ;   in Loop: Header=BB144_4 Depth=1
	s_add_nc_u64 s[22:23], s[12:13], s[22:23]
	global_load_b64 v[22:23], v3, s[22:23]
	s_wait_loadcnt 0x0
	v_add_nc_u64_e32 v[22:23], s[2:3], v[22:23]
	s_delay_alu instid0(VALU_DEP_1) | instskip(NEXT) | instid1(VALU_DEP_1)
	v_lshl_add_u64 v[22:23], v[0:1], 2, v[22:23]
	v_add_nc_u64_e32 v[22:23], v[22:23], v[2:3]
	flat_load_b32 v21, v[22:23]
	s_wait_loadcnt_dscnt 0x0
	ds_store_b32 v15, v21
	s_wait_xcnt 0x0
	s_or_b32 exec_lo, exec_lo, s27
	s_and_saveexec_b32 s22, s31
	s_cbranch_execz .LBB144_7
.LBB144_11:                             ;   in Loop: Header=BB144_4 Depth=1
	s_wait_loadcnt 0x1
	v_add_nc_u64_e32 v[10:11], s[4:5], v[10:11]
	s_delay_alu instid0(VALU_DEP_1) | instskip(NEXT) | instid1(VALU_DEP_1)
	v_add_nc_u64_e32 v[10:11], s[14:15], v[10:11]
	v_lshl_add_u64 v[10:11], v[4:5], 2, v[10:11]
	s_delay_alu instid0(VALU_DEP_1)
	v_add_nc_u64_e32 v[10:11], v[10:11], v[2:3]
	flat_load_b32 v10, v[10:11]
	s_wait_loadcnt_dscnt 0x0
	ds_store_b32 v17, v10
	s_wait_xcnt 0x0
	s_or_b32 exec_lo, exec_lo, s22
	s_and_saveexec_b32 s22, s29
	s_cbranch_execz .LBB144_8
.LBB144_12:                             ;   in Loop: Header=BB144_4 Depth=1
	ds_store_b32 v15, v12
	s_or_b32 exec_lo, exec_lo, s22
	s_delay_alu instid0(SALU_CYCLE_1)
	s_and_b32 vcc_lo, exec_lo, s26
	s_cbranch_vccnz .LBB144_9
.LBB144_13:                             ;   in Loop: Header=BB144_4 Depth=1
	s_mov_b32 s22, 0
.LBB144_14:                             ;   in Loop: Header=BB144_4 Depth=1
	s_delay_alu instid0(SALU_CYCLE_1) | instskip(SKIP_1) | instid1(SALU_CYCLE_1)
	s_and_not1_b32 s22, s22, exec_lo
	s_and_b32 s23, s1, exec_lo
	s_or_b32 s22, s22, s23
.LBB144_15:                             ;   in Loop: Header=BB144_4 Depth=1
	s_delay_alu instid0(SALU_CYCLE_1)
	s_and_saveexec_b32 s23, s22
; %bb.16:                               ;   in Loop: Header=BB144_4 Depth=1
	ds_store_b32 v15, v3
; %bb.17:                               ;   in Loop: Header=BB144_4 Depth=1
	s_or_b32 exec_lo, exec_lo, s23
	s_wait_loadcnt_dscnt 0x0
	s_barrier_signal -1
	s_barrier_wait -1
	s_and_saveexec_b32 s22, s31
	s_cbranch_execz .LBB144_2
; %bb.18:                               ;   in Loop: Header=BB144_4 Depth=1
	ds_load_2addr_b32 v[10:11], v13 offset1:32
	ds_load_b128 v[22:25], v14
	ds_load_2addr_b32 v[30:31], v13 offset0:64 offset1:96
	ds_load_b128 v[26:29], v14 offset:16
	ds_load_2addr_b32 v[32:33], v13 offset0:128 offset1:160
	v_add_nc_u64_e32 v[8:9], s[16:17], v[8:9]
	s_delay_alu instid0(VALU_DEP_1) | instskip(NEXT) | instid1(VALU_DEP_1)
	v_add_nc_u64_e32 v[8:9], s[20:21], v[8:9]
	v_lshl_add_u64 v[8:9], v[6:7], 2, v[8:9]
	s_wait_dscnt 0x3
	v_fma_f32 v21, v10, v22, 0
	s_delay_alu instid0(VALU_DEP_2) | instskip(NEXT) | instid1(VALU_DEP_2)
	v_add_nc_u64_e32 v[8:9], v[8:9], v[2:3]
	v_fmac_f32_e32 v21, v11, v23
	ds_load_2addr_b32 v[10:11], v13 offset0:192 offset1:224
	s_wait_dscnt 0x3
	v_fmac_f32_e32 v21, v30, v24
	s_delay_alu instid0(VALU_DEP_1) | instskip(SKIP_4) | instid1(VALU_DEP_1)
	v_fmac_f32_e32 v21, v31, v25
	ds_load_b128 v[22:25], v14 offset:32
	ds_load_2addr_b32 v[30:31], v16 offset1:32
	s_wait_dscnt 0x3
	v_fmac_f32_e32 v21, v32, v26
	v_fmac_f32_e32 v21, v33, v27
	ds_load_2addr_b32 v[32:33], v16 offset0:64 offset1:96
	s_wait_dscnt 0x3
	v_fmac_f32_e32 v21, v10, v28
	s_delay_alu instid0(VALU_DEP_1)
	v_fmac_f32_e32 v21, v11, v29
	ds_load_b128 v[26:29], v14 offset:48
	ds_load_2addr_b32 v[10:11], v16 offset0:128 offset1:160
	ds_load_2addr_b32 v[34:35], v16 offset0:192 offset1:224
	s_wait_dscnt 0x4
	v_fmac_f32_e32 v21, v30, v22
	s_delay_alu instid0(VALU_DEP_1) | instskip(SKIP_1) | instid1(VALU_DEP_1)
	v_fmac_f32_e32 v21, v31, v23
	s_wait_dscnt 0x3
	v_fmac_f32_e32 v21, v32, v24
	s_delay_alu instid0(VALU_DEP_1) | instskip(SKIP_4) | instid1(VALU_DEP_1)
	v_fmac_f32_e32 v21, v33, v25
	ds_load_2addr_b32 v[36:37], v18 offset1:32
	ds_load_b128 v[22:25], v14 offset:64
	s_wait_dscnt 0x3
	v_fmac_f32_e32 v21, v10, v26
	v_fmac_f32_e32 v21, v11, v27
	ds_load_2addr_b32 v[10:11], v18 offset0:64 offset1:96
	ds_load_2addr_b32 v[38:39], v18 offset0:128 offset1:160
	ds_load_b128 v[30:33], v14 offset:80
	s_wait_dscnt 0x5
	v_fmac_f32_e32 v21, v34, v28
	s_delay_alu instid0(VALU_DEP_1) | instskip(SKIP_3) | instid1(VALU_DEP_1)
	v_fmac_f32_e32 v21, v35, v29
	ds_load_2addr_b32 v[34:35], v18 offset0:192 offset1:224
	s_wait_dscnt 0x4
	v_fmac_f32_e32 v21, v36, v22
	v_fmac_f32_e32 v21, v37, v23
	ds_load_2addr_b32 v[36:37], v19 offset1:32
	ds_load_b128 v[26:29], v14 offset:96
	s_wait_dscnt 0x3
	v_pk_mul_f32 v[22:23], v[38:39], v[30:31]
	v_fmac_f32_e32 v21, v10, v24
	s_delay_alu instid0(VALU_DEP_1) | instskip(SKIP_4) | instid1(VALU_DEP_1)
	v_fmac_f32_e32 v21, v11, v25
	ds_load_2addr_b32 v[10:11], v19 offset0:64 offset1:96
	s_wait_dscnt 0x3
	v_pk_mul_f32 v[30:31], v[34:35], v[32:33]
	v_add_f32_e32 v21, v21, v22
	v_add_f32_e32 v21, v21, v23
	ds_load_2addr_b32 v[32:33], v19 offset0:128 offset1:160
	ds_load_b128 v[22:25], v14 offset:112
	s_wait_dscnt 0x3
	v_pk_mul_f32 v[26:27], v[36:37], v[26:27]
	v_add_f32_e32 v21, v21, v30
	s_delay_alu instid0(VALU_DEP_1) | instskip(SKIP_2) | instid1(VALU_DEP_2)
	v_add_f32_e32 v21, v21, v31
	s_wait_dscnt 0x2
	v_pk_mul_f32 v[10:11], v[10:11], v[28:29]
	v_add_f32_e32 v21, v21, v26
	s_delay_alu instid0(VALU_DEP_1) | instskip(SKIP_4) | instid1(VALU_DEP_1)
	v_add_f32_e32 v21, v21, v27
	ds_load_2addr_b32 v[26:27], v19 offset0:192 offset1:224
	s_wait_dscnt 0x1
	v_pk_mul_f32 v[22:23], v[32:33], v[22:23]
	v_add_f32_e32 v10, v21, v10
	v_add_f32_e32 v10, v10, v11
	s_delay_alu instid0(VALU_DEP_1) | instskip(NEXT) | instid1(VALU_DEP_1)
	v_add_f32_e32 v10, v10, v22
	v_add_f32_e32 v21, v10, v23
	s_wait_dscnt 0x0
	v_pk_mul_f32 v[10:11], v[26:27], v[24:25]
	s_delay_alu instid0(VALU_DEP_1) | instskip(NEXT) | instid1(VALU_DEP_1)
	v_add_f32_e32 v10, v21, v10
	v_add_f32_e32 v10, v10, v11
	s_delay_alu instid0(VALU_DEP_1)
	v_mul_f32_e32 v10, v20, v10
	flat_store_b32 v[8:9], v10
	s_branch .LBB144_2
.LBB144_19:
	s_endpgm
	.section	.rodata,"a",@progbits
	.p2align	6, 0x0
	.amdhsa_kernel _ZL23rocblas_trmm_lNx_kernelILi32EfPKfKS1_KPfEv13rocblas_fill_17rocblas_diagonal_iiT1_lPT2_llS9_llPT3_lli
		.amdhsa_group_segment_fixed_size 8192
		.amdhsa_private_segment_fixed_size 0
		.amdhsa_kernarg_size 108
		.amdhsa_user_sgpr_count 2
		.amdhsa_user_sgpr_dispatch_ptr 0
		.amdhsa_user_sgpr_queue_ptr 0
		.amdhsa_user_sgpr_kernarg_segment_ptr 1
		.amdhsa_user_sgpr_dispatch_id 0
		.amdhsa_user_sgpr_kernarg_preload_length 0
		.amdhsa_user_sgpr_kernarg_preload_offset 0
		.amdhsa_user_sgpr_private_segment_size 0
		.amdhsa_wavefront_size32 1
		.amdhsa_uses_dynamic_stack 0
		.amdhsa_enable_private_segment 0
		.amdhsa_system_sgpr_workgroup_id_x 1
		.amdhsa_system_sgpr_workgroup_id_y 0
		.amdhsa_system_sgpr_workgroup_id_z 1
		.amdhsa_system_sgpr_workgroup_info 0
		.amdhsa_system_vgpr_workitem_id 1
		.amdhsa_next_free_vgpr 40
		.amdhsa_next_free_sgpr 38
		.amdhsa_named_barrier_count 0
		.amdhsa_reserve_vcc 1
		.amdhsa_float_round_mode_32 0
		.amdhsa_float_round_mode_16_64 0
		.amdhsa_float_denorm_mode_32 3
		.amdhsa_float_denorm_mode_16_64 3
		.amdhsa_fp16_overflow 0
		.amdhsa_memory_ordered 1
		.amdhsa_forward_progress 1
		.amdhsa_inst_pref_size 11
		.amdhsa_round_robin_scheduling 0
		.amdhsa_exception_fp_ieee_invalid_op 0
		.amdhsa_exception_fp_denorm_src 0
		.amdhsa_exception_fp_ieee_div_zero 0
		.amdhsa_exception_fp_ieee_overflow 0
		.amdhsa_exception_fp_ieee_underflow 0
		.amdhsa_exception_fp_ieee_inexact 0
		.amdhsa_exception_int_div_zero 0
	.end_amdhsa_kernel
	.section	.text._ZL23rocblas_trmm_lNx_kernelILi32EfPKfKS1_KPfEv13rocblas_fill_17rocblas_diagonal_iiT1_lPT2_llS9_llPT3_lli,"axG",@progbits,_ZL23rocblas_trmm_lNx_kernelILi32EfPKfKS1_KPfEv13rocblas_fill_17rocblas_diagonal_iiT1_lPT2_llS9_llPT3_lli,comdat
.Lfunc_end144:
	.size	_ZL23rocblas_trmm_lNx_kernelILi32EfPKfKS1_KPfEv13rocblas_fill_17rocblas_diagonal_iiT1_lPT2_llS9_llPT3_lli, .Lfunc_end144-_ZL23rocblas_trmm_lNx_kernelILi32EfPKfKS1_KPfEv13rocblas_fill_17rocblas_diagonal_iiT1_lPT2_llS9_llPT3_lli
                                        ; -- End function
	.set _ZL23rocblas_trmm_lNx_kernelILi32EfPKfKS1_KPfEv13rocblas_fill_17rocblas_diagonal_iiT1_lPT2_llS9_llPT3_lli.num_vgpr, 40
	.set _ZL23rocblas_trmm_lNx_kernelILi32EfPKfKS1_KPfEv13rocblas_fill_17rocblas_diagonal_iiT1_lPT2_llS9_llPT3_lli.num_agpr, 0
	.set _ZL23rocblas_trmm_lNx_kernelILi32EfPKfKS1_KPfEv13rocblas_fill_17rocblas_diagonal_iiT1_lPT2_llS9_llPT3_lli.numbered_sgpr, 38
	.set _ZL23rocblas_trmm_lNx_kernelILi32EfPKfKS1_KPfEv13rocblas_fill_17rocblas_diagonal_iiT1_lPT2_llS9_llPT3_lli.num_named_barrier, 0
	.set _ZL23rocblas_trmm_lNx_kernelILi32EfPKfKS1_KPfEv13rocblas_fill_17rocblas_diagonal_iiT1_lPT2_llS9_llPT3_lli.private_seg_size, 0
	.set _ZL23rocblas_trmm_lNx_kernelILi32EfPKfKS1_KPfEv13rocblas_fill_17rocblas_diagonal_iiT1_lPT2_llS9_llPT3_lli.uses_vcc, 1
	.set _ZL23rocblas_trmm_lNx_kernelILi32EfPKfKS1_KPfEv13rocblas_fill_17rocblas_diagonal_iiT1_lPT2_llS9_llPT3_lli.uses_flat_scratch, 0
	.set _ZL23rocblas_trmm_lNx_kernelILi32EfPKfKS1_KPfEv13rocblas_fill_17rocblas_diagonal_iiT1_lPT2_llS9_llPT3_lli.has_dyn_sized_stack, 0
	.set _ZL23rocblas_trmm_lNx_kernelILi32EfPKfKS1_KPfEv13rocblas_fill_17rocblas_diagonal_iiT1_lPT2_llS9_llPT3_lli.has_recursion, 0
	.set _ZL23rocblas_trmm_lNx_kernelILi32EfPKfKS1_KPfEv13rocblas_fill_17rocblas_diagonal_iiT1_lPT2_llS9_llPT3_lli.has_indirect_call, 0
	.section	.AMDGPU.csdata,"",@progbits
; Kernel info:
; codeLenInByte = 1372
; TotalNumSgprs: 40
; NumVgprs: 40
; ScratchSize: 0
; MemoryBound: 0
; FloatMode: 240
; IeeeMode: 1
; LDSByteSize: 8192 bytes/workgroup (compile time only)
; SGPRBlocks: 0
; VGPRBlocks: 2
; NumSGPRsForWavesPerEU: 40
; NumVGPRsForWavesPerEU: 40
; NamedBarCnt: 0
; Occupancy: 16
; WaveLimiterHint : 1
; COMPUTE_PGM_RSRC2:SCRATCH_EN: 0
; COMPUTE_PGM_RSRC2:USER_SGPR: 2
; COMPUTE_PGM_RSRC2:TRAP_HANDLER: 0
; COMPUTE_PGM_RSRC2:TGID_X_EN: 1
; COMPUTE_PGM_RSRC2:TGID_Y_EN: 0
; COMPUTE_PGM_RSRC2:TGID_Z_EN: 1
; COMPUTE_PGM_RSRC2:TIDIG_COMP_CNT: 1
	.section	.text._ZL23rocblas_trmm_lNx_kernelILi32EffKPKfKPfEv13rocblas_fill_17rocblas_diagonal_iiT1_lPT2_llS9_llPT3_lli,"axG",@progbits,_ZL23rocblas_trmm_lNx_kernelILi32EffKPKfKPfEv13rocblas_fill_17rocblas_diagonal_iiT1_lPT2_llS9_llPT3_lli,comdat
	.globl	_ZL23rocblas_trmm_lNx_kernelILi32EffKPKfKPfEv13rocblas_fill_17rocblas_diagonal_iiT1_lPT2_llS9_llPT3_lli ; -- Begin function _ZL23rocblas_trmm_lNx_kernelILi32EffKPKfKPfEv13rocblas_fill_17rocblas_diagonal_iiT1_lPT2_llS9_llPT3_lli
	.p2align	8
	.type	_ZL23rocblas_trmm_lNx_kernelILi32EffKPKfKPfEv13rocblas_fill_17rocblas_diagonal_iiT1_lPT2_llS9_llPT3_lli,@function
_ZL23rocblas_trmm_lNx_kernelILi32EffKPKfKPfEv13rocblas_fill_17rocblas_diagonal_iiT1_lPT2_llS9_llPT3_lli: ; @_ZL23rocblas_trmm_lNx_kernelILi32EffKPKfKPfEv13rocblas_fill_17rocblas_diagonal_iiT1_lPT2_llS9_llPT3_lli
; %bb.0:
	s_load_b32 s28, s[0:1], 0x68
	s_bfe_u32 s2, ttmp6, 0x40014
	s_lshr_b32 s3, ttmp7, 16
	s_add_co_i32 s2, s2, 1
	s_bfe_u32 s5, ttmp6, 0x40008
	s_mul_i32 s4, s3, s2
	s_getreg_b32 s2, hwreg(HW_REG_IB_STS2, 6, 4)
	s_add_co_i32 s5, s5, s4
	s_cmp_eq_u32 s2, 0
	s_mov_b32 s7, 0
	s_cselect_b32 s6, s3, s5
	s_wait_kmcnt 0x0
	s_cmp_ge_u32 s6, s28
	s_cbranch_scc1 .LBB145_19
; %bb.1:
	s_clause 0x2
	s_load_b32 s29, s[0:1], 0x10
	s_load_b512 s[8:23], s[0:1], 0x20
	s_load_b128 s[24:27], s[0:1], 0x0
	v_bfe_u32 v2, v0, 10, 10
	v_and_b32_e32 v8, 0x3ff, v0
	v_dual_mov_b32 v3, 0 :: v_dual_mov_b32 v12, 1.0
	s_load_b64 s[34:35], s[0:1], 0x60
	s_delay_alu instid0(VALU_DEP_2)
	v_dual_lshlrev_b32 v0, 5, v2 :: v_dual_lshlrev_b32 v13, 2, v8
	v_cmp_eq_u32_e32 vcc_lo, v2, v8
	s_wait_xcnt 0x0
	v_cmp_lt_u32_e64 s0, v8, v2
	v_cmp_gt_u32_e64 s1, v8, v2
	v_add_lshl_u32 v15, v0, v8, 2
	v_lshl_add_u32 v14, v2, 7, 0x1000
	v_add_nc_u32_e32 v16, 0x400, v13
	v_add_nc_u32_e32 v17, 0x800, v13
	;; [unrolled: 1-line block ×4, first 2 shown]
	s_wait_kmcnt 0x0
	s_cmp_neq_f32 s29, 0
	v_mul_u64_e32 v[0:1], s[10:11], v[2:3]
	v_mul_u64_e32 v[4:5], s[16:17], v[2:3]
	;; [unrolled: 1-line block ×3, first 2 shown]
	s_cselect_b32 s30, -1, 0
	s_add_co_i32 s3, s27, -1
	s_bfe_u32 s5, ttmp6, 0x4000c
	s_ashr_i32 s10, s3, 31
	s_add_co_i32 s5, s5, 1
	s_lshr_b32 s10, s10, 27
	s_and_b32 s4, ttmp6, 15
	s_mul_i32 s5, ttmp9, s5
	s_add_co_i32 s3, s3, s10
	s_add_co_i32 s4, s4, s5
	s_and_b32 s5, s3, 0xffffffe0
	s_ashr_i32 s3, s3, 5
	s_sub_co_i32 s5, s27, s5
	s_cmp_eq_u32 s2, 0
	v_cmp_gt_i32_e64 s2, s26, v2
	s_cselect_b32 s10, ttmp9, s4
	s_delay_alu instid0(SALU_CYCLE_1)
	s_cmp_ge_i32 s10, s3
	v_cmp_gt_i32_e64 s3, s26, v8
	s_cselect_b32 s4, s5, 32
	s_lshl_b32 s10, s10, 5
	v_cmp_gt_i32_e64 s4, s4, v2
	s_ashr_i32 s11, s10, 31
	s_and_b32 s26, s2, s3
	v_lshlrev_b32_e32 v2, 2, v8
	s_mul_u64 s[16:17], s[16:17], s[10:11]
	s_and_b32 s27, s3, s4
	s_cmp_eq_u32 s25, 0x84
	s_mul_u64 s[36:37], s[22:23], s[10:11]
	s_cselect_b32 s2, -1, 0
	s_delay_alu instid0(SALU_CYCLE_1)
	s_and_b32 s25, vcc_lo, s2
	s_cmp_lg_u32 s24, 0x79
	s_cselect_b32 s22, -1, 0
	s_lshl_b64 s[2:3], s[12:13], 2
	s_lshl_b64 s[4:5], s[18:19], 2
	;; [unrolled: 1-line block ×5, first 2 shown]
	s_branch .LBB145_4
.LBB145_2:                              ;   in Loop: Header=BB145_4 Depth=1
	s_wait_xcnt 0x0
	s_or_b32 exec_lo, exec_lo, s18
.LBB145_3:                              ;   in Loop: Header=BB145_4 Depth=1
	s_add_co_i32 s6, s6, 0x10000
	s_delay_alu instid0(SALU_CYCLE_1)
	s_cmp_lt_u32 s6, s28
	s_cbranch_scc0 .LBB145_19
.LBB145_4:                              ; =>This Inner Loop Header: Depth=1
	s_and_not1_b32 vcc_lo, exec_lo, s30
	s_cbranch_vccnz .LBB145_3
; %bb.5:                                ;   in Loop: Header=BB145_4 Depth=1
	v_mov_b32_e32 v20, s6
	s_clause 0x1
	global_load_b64 v[10:11], v20, s[14:15] scale_offset
	global_load_b64 v[8:9], v20, s[20:21] scale_offset
	ds_store_b32 v15, v3
	ds_store_b32 v18, v3
	s_wait_xcnt 0x0
	s_and_saveexec_b32 s18, s26
	s_cbranch_execnz .LBB145_10
; %bb.6:                                ;   in Loop: Header=BB145_4 Depth=1
	s_or_b32 exec_lo, exec_lo, s18
	s_and_saveexec_b32 s18, s27
	s_cbranch_execnz .LBB145_11
.LBB145_7:                              ;   in Loop: Header=BB145_4 Depth=1
	s_or_b32 exec_lo, exec_lo, s18
	s_and_saveexec_b32 s18, s25
	s_cbranch_execnz .LBB145_12
.LBB145_8:                              ;   in Loop: Header=BB145_4 Depth=1
	s_or_b32 exec_lo, exec_lo, s18
	s_delay_alu instid0(SALU_CYCLE_1)
	s_and_b32 vcc_lo, exec_lo, s22
	s_cbranch_vccz .LBB145_13
.LBB145_9:                              ;   in Loop: Header=BB145_4 Depth=1
	s_and_b32 s18, s0, exec_lo
	s_cbranch_execz .LBB145_14
	s_branch .LBB145_15
.LBB145_10:                             ;   in Loop: Header=BB145_4 Depth=1
	s_lshl_b64 s[34:35], s[6:7], 3
	s_delay_alu instid0(SALU_CYCLE_1) | instskip(SKIP_3) | instid1(VALU_DEP_1)
	s_add_nc_u64 s[34:35], s[8:9], s[34:35]
	global_load_b64 v[20:21], v3, s[34:35]
	s_wait_loadcnt 0x0
	v_add_nc_u64_e32 v[20:21], s[2:3], v[20:21]
	v_lshl_add_u64 v[20:21], v[0:1], 2, v[20:21]
	s_delay_alu instid0(VALU_DEP_1)
	v_add_nc_u64_e32 v[20:21], v[20:21], v[2:3]
	flat_load_b32 v20, v[20:21]
	s_wait_loadcnt_dscnt 0x0
	ds_store_b32 v15, v20
	s_wait_xcnt 0x0
	s_or_b32 exec_lo, exec_lo, s18
	s_and_saveexec_b32 s18, s27
	s_cbranch_execz .LBB145_7
.LBB145_11:                             ;   in Loop: Header=BB145_4 Depth=1
	s_wait_loadcnt 0x1
	v_add_nc_u64_e32 v[10:11], s[4:5], v[10:11]
	s_delay_alu instid0(VALU_DEP_1) | instskip(NEXT) | instid1(VALU_DEP_1)
	v_add_nc_u64_e32 v[10:11], s[10:11], v[10:11]
	v_lshl_add_u64 v[10:11], v[4:5], 2, v[10:11]
	s_delay_alu instid0(VALU_DEP_1)
	v_add_nc_u64_e32 v[10:11], v[10:11], v[2:3]
	flat_load_b32 v10, v[10:11]
	s_wait_loadcnt_dscnt 0x0
	ds_store_b32 v18, v10
	s_wait_xcnt 0x0
	s_or_b32 exec_lo, exec_lo, s18
	s_and_saveexec_b32 s18, s25
	s_cbranch_execz .LBB145_8
.LBB145_12:                             ;   in Loop: Header=BB145_4 Depth=1
	ds_store_b32 v15, v12
	s_or_b32 exec_lo, exec_lo, s18
	s_delay_alu instid0(SALU_CYCLE_1)
	s_and_b32 vcc_lo, exec_lo, s22
	s_cbranch_vccnz .LBB145_9
.LBB145_13:                             ;   in Loop: Header=BB145_4 Depth=1
	s_mov_b32 s18, 0
.LBB145_14:                             ;   in Loop: Header=BB145_4 Depth=1
	s_delay_alu instid0(SALU_CYCLE_1) | instskip(SKIP_1) | instid1(SALU_CYCLE_1)
	s_and_not1_b32 s18, s18, exec_lo
	s_and_b32 s19, s1, exec_lo
	s_or_b32 s18, s18, s19
.LBB145_15:                             ;   in Loop: Header=BB145_4 Depth=1
	s_delay_alu instid0(SALU_CYCLE_1)
	s_and_saveexec_b32 s19, s18
; %bb.16:                               ;   in Loop: Header=BB145_4 Depth=1
	ds_store_b32 v15, v3
; %bb.17:                               ;   in Loop: Header=BB145_4 Depth=1
	s_or_b32 exec_lo, exec_lo, s19
	s_wait_loadcnt_dscnt 0x0
	s_barrier_signal -1
	s_barrier_wait -1
	s_and_saveexec_b32 s18, s27
	s_cbranch_execz .LBB145_2
; %bb.18:                               ;   in Loop: Header=BB145_4 Depth=1
	ds_load_2addr_b32 v[10:11], v13 offset1:32
	ds_load_b128 v[20:23], v14
	ds_load_2addr_b32 v[28:29], v13 offset0:64 offset1:96
	ds_load_b128 v[24:27], v14 offset:16
	ds_load_2addr_b32 v[30:31], v13 offset0:128 offset1:160
	v_add_nc_u64_e32 v[8:9], s[12:13], v[8:9]
	s_delay_alu instid0(VALU_DEP_1) | instskip(NEXT) | instid1(VALU_DEP_1)
	v_add_nc_u64_e32 v[8:9], s[16:17], v[8:9]
	v_lshl_add_u64 v[8:9], v[6:7], 2, v[8:9]
	s_wait_dscnt 0x3
	v_fma_f32 v38, v10, v20, 0
	s_delay_alu instid0(VALU_DEP_2) | instskip(NEXT) | instid1(VALU_DEP_2)
	v_add_nc_u64_e32 v[8:9], v[8:9], v[2:3]
	v_fmac_f32_e32 v38, v11, v21
	ds_load_2addr_b32 v[10:11], v13 offset0:192 offset1:224
	s_wait_dscnt 0x3
	v_fmac_f32_e32 v38, v28, v22
	s_delay_alu instid0(VALU_DEP_1) | instskip(SKIP_4) | instid1(VALU_DEP_1)
	v_fmac_f32_e32 v38, v29, v23
	ds_load_b128 v[20:23], v14 offset:32
	ds_load_2addr_b32 v[28:29], v16 offset1:32
	s_wait_dscnt 0x3
	v_fmac_f32_e32 v38, v30, v24
	v_fmac_f32_e32 v38, v31, v25
	ds_load_2addr_b32 v[30:31], v16 offset0:64 offset1:96
	s_wait_dscnt 0x3
	v_fmac_f32_e32 v38, v10, v26
	s_delay_alu instid0(VALU_DEP_1)
	v_fmac_f32_e32 v38, v11, v27
	ds_load_b128 v[24:27], v14 offset:48
	ds_load_2addr_b32 v[10:11], v16 offset0:128 offset1:160
	ds_load_2addr_b32 v[32:33], v16 offset0:192 offset1:224
	s_wait_dscnt 0x4
	v_fmac_f32_e32 v38, v28, v20
	s_delay_alu instid0(VALU_DEP_1) | instskip(SKIP_1) | instid1(VALU_DEP_1)
	v_fmac_f32_e32 v38, v29, v21
	s_wait_dscnt 0x3
	v_fmac_f32_e32 v38, v30, v22
	s_delay_alu instid0(VALU_DEP_1) | instskip(SKIP_4) | instid1(VALU_DEP_1)
	v_fmac_f32_e32 v38, v31, v23
	ds_load_2addr_b32 v[34:35], v17 offset1:32
	ds_load_b128 v[20:23], v14 offset:64
	s_wait_dscnt 0x3
	v_fmac_f32_e32 v38, v10, v24
	v_fmac_f32_e32 v38, v11, v25
	ds_load_2addr_b32 v[10:11], v17 offset0:64 offset1:96
	ds_load_2addr_b32 v[36:37], v17 offset0:128 offset1:160
	ds_load_b128 v[28:31], v14 offset:80
	s_wait_dscnt 0x5
	v_fmac_f32_e32 v38, v32, v26
	s_delay_alu instid0(VALU_DEP_1) | instskip(SKIP_3) | instid1(VALU_DEP_1)
	v_fmac_f32_e32 v38, v33, v27
	ds_load_2addr_b32 v[32:33], v17 offset0:192 offset1:224
	s_wait_dscnt 0x4
	v_fmac_f32_e32 v38, v34, v20
	v_fmac_f32_e32 v38, v35, v21
	ds_load_2addr_b32 v[34:35], v19 offset1:32
	ds_load_b128 v[24:27], v14 offset:96
	s_wait_dscnt 0x3
	v_pk_mul_f32 v[20:21], v[36:37], v[28:29]
	v_fmac_f32_e32 v38, v10, v22
	s_delay_alu instid0(VALU_DEP_1) | instskip(SKIP_4) | instid1(VALU_DEP_1)
	v_fmac_f32_e32 v38, v11, v23
	ds_load_2addr_b32 v[10:11], v19 offset0:64 offset1:96
	s_wait_dscnt 0x3
	v_pk_mul_f32 v[28:29], v[32:33], v[30:31]
	v_add_f32_e32 v20, v38, v20
	v_add_f32_e32 v20, v20, v21
	s_wait_dscnt 0x1
	v_pk_mul_f32 v[24:25], v[34:35], v[24:25]
	s_delay_alu instid0(VALU_DEP_2)
	v_add_f32_e32 v28, v20, v28
	ds_load_2addr_b32 v[30:31], v19 offset0:128 offset1:160
	ds_load_b128 v[20:23], v14 offset:112
	v_add_f32_e32 v28, v28, v29
	s_wait_dscnt 0x2
	v_pk_mul_f32 v[10:11], v[10:11], v[26:27]
	s_delay_alu instid0(VALU_DEP_2) | instskip(NEXT) | instid1(VALU_DEP_1)
	v_add_f32_e32 v24, v28, v24
	v_add_f32_e32 v26, v24, v25
	ds_load_2addr_b32 v[24:25], v19 offset0:192 offset1:224
	v_add_f32_e32 v10, v26, v10
	s_wait_dscnt 0x1
	v_pk_mul_f32 v[20:21], v[30:31], v[20:21]
	s_delay_alu instid0(VALU_DEP_2) | instskip(NEXT) | instid1(VALU_DEP_1)
	v_add_f32_e32 v10, v10, v11
	v_add_f32_e32 v10, v10, v20
	s_delay_alu instid0(VALU_DEP_1) | instskip(SKIP_2) | instid1(VALU_DEP_1)
	v_add_f32_e32 v20, v10, v21
	s_wait_dscnt 0x0
	v_pk_mul_f32 v[10:11], v[24:25], v[22:23]
	v_add_f32_e32 v10, v20, v10
	s_delay_alu instid0(VALU_DEP_1) | instskip(NEXT) | instid1(VALU_DEP_1)
	v_add_f32_e32 v10, v10, v11
	v_mul_f32_e32 v10, s29, v10
	flat_store_b32 v[8:9], v10
	s_branch .LBB145_2
.LBB145_19:
	s_endpgm
	.section	.rodata,"a",@progbits
	.p2align	6, 0x0
	.amdhsa_kernel _ZL23rocblas_trmm_lNx_kernelILi32EffKPKfKPfEv13rocblas_fill_17rocblas_diagonal_iiT1_lPT2_llS9_llPT3_lli
		.amdhsa_group_segment_fixed_size 8192
		.amdhsa_private_segment_fixed_size 0
		.amdhsa_kernarg_size 108
		.amdhsa_user_sgpr_count 2
		.amdhsa_user_sgpr_dispatch_ptr 0
		.amdhsa_user_sgpr_queue_ptr 0
		.amdhsa_user_sgpr_kernarg_segment_ptr 1
		.amdhsa_user_sgpr_dispatch_id 0
		.amdhsa_user_sgpr_kernarg_preload_length 0
		.amdhsa_user_sgpr_kernarg_preload_offset 0
		.amdhsa_user_sgpr_private_segment_size 0
		.amdhsa_wavefront_size32 1
		.amdhsa_uses_dynamic_stack 0
		.amdhsa_enable_private_segment 0
		.amdhsa_system_sgpr_workgroup_id_x 1
		.amdhsa_system_sgpr_workgroup_id_y 0
		.amdhsa_system_sgpr_workgroup_id_z 1
		.amdhsa_system_sgpr_workgroup_info 0
		.amdhsa_system_vgpr_workitem_id 1
		.amdhsa_next_free_vgpr 39
		.amdhsa_next_free_sgpr 38
		.amdhsa_named_barrier_count 0
		.amdhsa_reserve_vcc 1
		.amdhsa_float_round_mode_32 0
		.amdhsa_float_round_mode_16_64 0
		.amdhsa_float_denorm_mode_32 3
		.amdhsa_float_denorm_mode_16_64 3
		.amdhsa_fp16_overflow 0
		.amdhsa_memory_ordered 1
		.amdhsa_forward_progress 1
		.amdhsa_inst_pref_size 11
		.amdhsa_round_robin_scheduling 0
		.amdhsa_exception_fp_ieee_invalid_op 0
		.amdhsa_exception_fp_denorm_src 0
		.amdhsa_exception_fp_ieee_div_zero 0
		.amdhsa_exception_fp_ieee_overflow 0
		.amdhsa_exception_fp_ieee_underflow 0
		.amdhsa_exception_fp_ieee_inexact 0
		.amdhsa_exception_int_div_zero 0
	.end_amdhsa_kernel
	.section	.text._ZL23rocblas_trmm_lNx_kernelILi32EffKPKfKPfEv13rocblas_fill_17rocblas_diagonal_iiT1_lPT2_llS9_llPT3_lli,"axG",@progbits,_ZL23rocblas_trmm_lNx_kernelILi32EffKPKfKPfEv13rocblas_fill_17rocblas_diagonal_iiT1_lPT2_llS9_llPT3_lli,comdat
.Lfunc_end145:
	.size	_ZL23rocblas_trmm_lNx_kernelILi32EffKPKfKPfEv13rocblas_fill_17rocblas_diagonal_iiT1_lPT2_llS9_llPT3_lli, .Lfunc_end145-_ZL23rocblas_trmm_lNx_kernelILi32EffKPKfKPfEv13rocblas_fill_17rocblas_diagonal_iiT1_lPT2_llS9_llPT3_lli
                                        ; -- End function
	.set _ZL23rocblas_trmm_lNx_kernelILi32EffKPKfKPfEv13rocblas_fill_17rocblas_diagonal_iiT1_lPT2_llS9_llPT3_lli.num_vgpr, 39
	.set _ZL23rocblas_trmm_lNx_kernelILi32EffKPKfKPfEv13rocblas_fill_17rocblas_diagonal_iiT1_lPT2_llS9_llPT3_lli.num_agpr, 0
	.set _ZL23rocblas_trmm_lNx_kernelILi32EffKPKfKPfEv13rocblas_fill_17rocblas_diagonal_iiT1_lPT2_llS9_llPT3_lli.numbered_sgpr, 38
	.set _ZL23rocblas_trmm_lNx_kernelILi32EffKPKfKPfEv13rocblas_fill_17rocblas_diagonal_iiT1_lPT2_llS9_llPT3_lli.num_named_barrier, 0
	.set _ZL23rocblas_trmm_lNx_kernelILi32EffKPKfKPfEv13rocblas_fill_17rocblas_diagonal_iiT1_lPT2_llS9_llPT3_lli.private_seg_size, 0
	.set _ZL23rocblas_trmm_lNx_kernelILi32EffKPKfKPfEv13rocblas_fill_17rocblas_diagonal_iiT1_lPT2_llS9_llPT3_lli.uses_vcc, 1
	.set _ZL23rocblas_trmm_lNx_kernelILi32EffKPKfKPfEv13rocblas_fill_17rocblas_diagonal_iiT1_lPT2_llS9_llPT3_lli.uses_flat_scratch, 0
	.set _ZL23rocblas_trmm_lNx_kernelILi32EffKPKfKPfEv13rocblas_fill_17rocblas_diagonal_iiT1_lPT2_llS9_llPT3_lli.has_dyn_sized_stack, 0
	.set _ZL23rocblas_trmm_lNx_kernelILi32EffKPKfKPfEv13rocblas_fill_17rocblas_diagonal_iiT1_lPT2_llS9_llPT3_lli.has_recursion, 0
	.set _ZL23rocblas_trmm_lNx_kernelILi32EffKPKfKPfEv13rocblas_fill_17rocblas_diagonal_iiT1_lPT2_llS9_llPT3_lli.has_indirect_call, 0
	.section	.AMDGPU.csdata,"",@progbits
; Kernel info:
; codeLenInByte = 1348
; TotalNumSgprs: 40
; NumVgprs: 39
; ScratchSize: 0
; MemoryBound: 0
; FloatMode: 240
; IeeeMode: 1
; LDSByteSize: 8192 bytes/workgroup (compile time only)
; SGPRBlocks: 0
; VGPRBlocks: 2
; NumSGPRsForWavesPerEU: 40
; NumVGPRsForWavesPerEU: 39
; NamedBarCnt: 0
; Occupancy: 16
; WaveLimiterHint : 1
; COMPUTE_PGM_RSRC2:SCRATCH_EN: 0
; COMPUTE_PGM_RSRC2:USER_SGPR: 2
; COMPUTE_PGM_RSRC2:TRAP_HANDLER: 0
; COMPUTE_PGM_RSRC2:TGID_X_EN: 1
; COMPUTE_PGM_RSRC2:TGID_Y_EN: 0
; COMPUTE_PGM_RSRC2:TGID_Z_EN: 1
; COMPUTE_PGM_RSRC2:TIDIG_COMP_CNT: 1
	.section	.text._ZL23rocblas_trmm_lTx_kernelILi32ELb0EfPKfKS1_KPfEv13rocblas_fill_17rocblas_diagonal_iiT2_lPT3_llS9_llPT4_lli,"axG",@progbits,_ZL23rocblas_trmm_lTx_kernelILi32ELb0EfPKfKS1_KPfEv13rocblas_fill_17rocblas_diagonal_iiT2_lPT3_llS9_llPT4_lli,comdat
	.globl	_ZL23rocblas_trmm_lTx_kernelILi32ELb0EfPKfKS1_KPfEv13rocblas_fill_17rocblas_diagonal_iiT2_lPT3_llS9_llPT4_lli ; -- Begin function _ZL23rocblas_trmm_lTx_kernelILi32ELb0EfPKfKS1_KPfEv13rocblas_fill_17rocblas_diagonal_iiT2_lPT3_llS9_llPT4_lli
	.p2align	8
	.type	_ZL23rocblas_trmm_lTx_kernelILi32ELb0EfPKfKS1_KPfEv13rocblas_fill_17rocblas_diagonal_iiT2_lPT3_llS9_llPT4_lli,@function
_ZL23rocblas_trmm_lTx_kernelILi32ELb0EfPKfKS1_KPfEv13rocblas_fill_17rocblas_diagonal_iiT2_lPT3_llS9_llPT4_lli: ; @_ZL23rocblas_trmm_lTx_kernelILi32ELb0EfPKfKS1_KPfEv13rocblas_fill_17rocblas_diagonal_iiT2_lPT3_llS9_llPT4_lli
; %bb.0:
	s_load_b32 s33, s[0:1], 0x68
	s_bfe_u32 s2, ttmp6, 0x40014
	s_lshr_b32 s3, ttmp7, 16
	s_add_co_i32 s2, s2, 1
	s_bfe_u32 s5, ttmp6, 0x40008
	s_mul_i32 s4, s3, s2
	s_getreg_b32 s2, hwreg(HW_REG_IB_STS2, 6, 4)
	s_add_co_i32 s5, s5, s4
	s_cmp_eq_u32 s2, 0
	s_mov_b32 s7, 0
	s_cselect_b32 s6, s3, s5
	s_wait_kmcnt 0x0
	s_cmp_ge_u32 s6, s33
	s_cbranch_scc1 .LBB146_19
; %bb.1:
	s_clause 0x3
	s_load_b128 s[28:31], s[0:1], 0x0
	s_load_b512 s[8:23], s[0:1], 0x10
	s_load_b64 s[34:35], s[0:1], 0x60
	s_load_b128 s[24:27], s[0:1], 0x50
	v_bfe_u32 v2, v0, 10, 10
	v_mov_b32_e32 v3, 0
	s_wait_xcnt 0x0
	s_bfe_u32 s0, ttmp6, 0x4000c
	s_and_b32 s3, ttmp6, 15
	s_add_co_i32 s0, s0, 1
	v_and_b32_e32 v8, 0x3ff, v0
	s_mul_i32 s4, ttmp9, s0
	v_lshlrev_b32_e32 v9, 2, v2
	s_add_co_i32 s3, s3, s4
	s_delay_alu instid0(VALU_DEP_2) | instskip(SKIP_3) | instid1(VALU_DEP_4)
	v_dual_lshlrev_b32 v10, 5, v2 :: v_dual_lshlrev_b32 v11, 7, v8
	v_cmp_eq_u32_e32 vcc_lo, v2, v8
	v_lshlrev_b32_e32 v14, 2, v8
	v_cmp_lt_u32_e64 s0, v8, v2
	v_add_lshl_u32 v16, v10, v8, 2
	v_cmp_gt_u32_e64 s1, v8, v2
	s_wait_kmcnt 0x0
	s_add_co_i32 s5, s31, -1
	v_mul_u64_e32 v[0:1], s[14:15], v[2:3]
	s_ashr_i32 s36, s5, 31
	v_mul_u64_e32 v[4:5], s[20:21], v[2:3]
	v_mul_u64_e32 v[6:7], s[26:27], v[2:3]
	s_lshr_b32 s4, s36, 27
	v_lshl_add_u32 v15, v2, 7, 0x1000
	s_add_co_i32 s4, s5, s4
	v_add_nc_u32_e32 v17, v9, v11
	s_and_b32 s5, s4, 0xffffffe0
	s_ashr_i32 s4, s4, 5
	s_sub_co_i32 s5, s31, s5
	s_cmp_eq_u32 s2, 0
	v_cmp_gt_i32_e64 s2, s30, v2
	s_cselect_b32 s14, ttmp9, s3
	v_cmp_gt_i32_e64 s3, s30, v8
	s_cmp_ge_i32 s14, s4
	v_dual_mov_b32 v19, 1.0 :: v_dual_add_nc_u32 v18, 0x1000, v16
	s_cselect_b32 s4, s5, 32
	s_lshl_b32 s14, s14, 5
	v_cmp_gt_i32_e64 s4, s4, v2
	s_and_b32 s30, s2, s3
	s_ashr_i32 s15, s14, 31
	v_lshlrev_b32_e32 v2, 2, v8
	v_add_nc_u32_e32 v20, 0x400, v14
	s_and_b32 s31, s3, s4
	s_cmp_eq_u32 s29, 0x84
	v_add_nc_u32_e32 v21, 0x800, v14
	s_cselect_b32 s2, -1, 0
	v_add_nc_u32_e32 v22, 0xc00, v14
	s_and_b32 s29, vcc_lo, s2
	s_mul_u64 s[20:21], s[20:21], s[14:15]
	s_cmp_lg_u32 s28, 0x7a
	s_mul_u64 s[36:37], s[26:27], s[14:15]
	s_cselect_b32 s26, -1, 0
	s_lshl_b64 s[2:3], s[16:17], 2
	s_lshl_b64 s[4:5], s[22:23], 2
	;; [unrolled: 1-line block ×5, first 2 shown]
	s_branch .LBB146_4
.LBB146_2:                              ;   in Loop: Header=BB146_4 Depth=1
	s_wait_xcnt 0x0
	s_or_b32 exec_lo, exec_lo, s22
.LBB146_3:                              ;   in Loop: Header=BB146_4 Depth=1
	s_add_co_i32 s6, s6, 0x10000
	s_delay_alu instid0(SALU_CYCLE_1)
	s_cmp_lt_u32 s6, s33
	s_cbranch_scc0 .LBB146_19
.LBB146_4:                              ; =>This Inner Loop Header: Depth=1
	s_wait_xcnt 0x0
	s_mul_u64 s[22:23], s[10:11], s[6:7]
	s_delay_alu instid0(SALU_CYCLE_1) | instskip(NEXT) | instid1(SALU_CYCLE_1)
	s_lshl_b64 s[22:23], s[22:23], 2
	s_add_nc_u64 s[22:23], s[8:9], s[22:23]
	global_load_b32 v23, v3, s[22:23]
	s_wait_loadcnt 0x0
	v_cmp_eq_f32_e32 vcc_lo, 0, v23
	s_cbranch_vccnz .LBB146_3
; %bb.5:                                ;   in Loop: Header=BB146_4 Depth=1
	s_wait_xcnt 0x0
	s_lshl_b64 s[22:23], s[6:7], 3
	s_delay_alu instid0(SALU_CYCLE_1)
	s_add_nc_u64 s[34:35], s[12:13], s[22:23]
	s_add_nc_u64 s[36:37], s[18:19], s[22:23]
	;; [unrolled: 1-line block ×3, first 2 shown]
	s_clause 0x2
	global_load_b64 v[12:13], v3, s[34:35]
	global_load_b64 v[10:11], v3, s[36:37]
	;; [unrolled: 1-line block ×3, first 2 shown]
	ds_store_b32 v16, v3
	ds_store_b32 v18, v3
	s_wait_loadcnt_dscnt 0x0
	s_barrier_signal -1
	s_barrier_wait -1
	s_wait_xcnt 0x0
	s_and_saveexec_b32 s22, s30
	s_cbranch_execnz .LBB146_11
; %bb.6:                                ;   in Loop: Header=BB146_4 Depth=1
	s_or_b32 exec_lo, exec_lo, s22
	s_and_saveexec_b32 s22, s31
	s_cbranch_execnz .LBB146_12
.LBB146_7:                              ;   in Loop: Header=BB146_4 Depth=1
	s_or_b32 exec_lo, exec_lo, s22
	s_and_saveexec_b32 s22, s29
.LBB146_8:                              ;   in Loop: Header=BB146_4 Depth=1
	ds_store_b32 v16, v19
.LBB146_9:                              ;   in Loop: Header=BB146_4 Depth=1
	s_or_b32 exec_lo, exec_lo, s22
	s_delay_alu instid0(SALU_CYCLE_1)
	s_and_b32 vcc_lo, exec_lo, s26
	s_wait_dscnt 0x0
	s_barrier_signal -1
	s_barrier_wait -1
	s_cbranch_vccz .LBB146_13
; %bb.10:                               ;   in Loop: Header=BB146_4 Depth=1
	s_and_b32 s22, s0, exec_lo
	s_cbranch_execz .LBB146_14
	s_branch .LBB146_15
.LBB146_11:                             ;   in Loop: Header=BB146_4 Depth=1
	v_add_nc_u64_e32 v[12:13], s[2:3], v[12:13]
	s_delay_alu instid0(VALU_DEP_1) | instskip(NEXT) | instid1(VALU_DEP_1)
	v_lshl_add_u64 v[12:13], v[0:1], 2, v[12:13]
	v_add_nc_u64_e32 v[12:13], v[12:13], v[2:3]
	flat_load_b32 v12, v[12:13]
	s_wait_loadcnt_dscnt 0x0
	ds_store_b32 v17, v12
	s_wait_xcnt 0x0
	s_or_b32 exec_lo, exec_lo, s22
	s_and_saveexec_b32 s22, s31
	s_cbranch_execz .LBB146_7
.LBB146_12:                             ;   in Loop: Header=BB146_4 Depth=1
	v_add_nc_u64_e32 v[10:11], s[4:5], v[10:11]
	s_delay_alu instid0(VALU_DEP_1) | instskip(NEXT) | instid1(VALU_DEP_1)
	v_add_nc_u64_e32 v[10:11], s[14:15], v[10:11]
	v_lshl_add_u64 v[10:11], v[4:5], 2, v[10:11]
	s_delay_alu instid0(VALU_DEP_1)
	v_add_nc_u64_e32 v[10:11], v[10:11], v[2:3]
	flat_load_b32 v10, v[10:11]
	s_wait_loadcnt_dscnt 0x0
	ds_store_b32 v18, v10
	s_wait_xcnt 0x0
	s_or_b32 exec_lo, exec_lo, s22
	s_and_saveexec_b32 s22, s29
	s_cbranch_execnz .LBB146_8
	s_branch .LBB146_9
.LBB146_13:                             ;   in Loop: Header=BB146_4 Depth=1
	s_mov_b32 s22, 0
.LBB146_14:                             ;   in Loop: Header=BB146_4 Depth=1
	s_delay_alu instid0(SALU_CYCLE_1) | instskip(SKIP_1) | instid1(SALU_CYCLE_1)
	s_and_not1_b32 s22, s22, exec_lo
	s_and_b32 s23, s1, exec_lo
	s_or_b32 s22, s22, s23
.LBB146_15:                             ;   in Loop: Header=BB146_4 Depth=1
	s_delay_alu instid0(SALU_CYCLE_1)
	s_and_saveexec_b32 s23, s22
; %bb.16:                               ;   in Loop: Header=BB146_4 Depth=1
	ds_store_b32 v16, v3
; %bb.17:                               ;   in Loop: Header=BB146_4 Depth=1
	s_or_b32 exec_lo, exec_lo, s23
	s_wait_dscnt 0x0
	s_barrier_signal -1
	s_barrier_wait -1
	s_and_saveexec_b32 s22, s31
	s_cbranch_execz .LBB146_2
; %bb.18:                               ;   in Loop: Header=BB146_4 Depth=1
	ds_load_2addr_b32 v[28:29], v14 offset1:32
	ds_load_b128 v[10:13], v15
	ds_load_2addr_b32 v[30:31], v14 offset0:64 offset1:96
	ds_load_b128 v[24:27], v15 offset:16
	ds_load_2addr_b32 v[32:33], v14 offset0:128 offset1:160
	v_add_nc_u64_e32 v[8:9], s[16:17], v[8:9]
	s_delay_alu instid0(VALU_DEP_1) | instskip(NEXT) | instid1(VALU_DEP_1)
	v_add_nc_u64_e32 v[8:9], s[20:21], v[8:9]
	v_lshl_add_u64 v[8:9], v[6:7], 2, v[8:9]
	s_wait_dscnt 0x3
	v_fma_f32 v40, v28, v10, 0
	s_delay_alu instid0(VALU_DEP_2) | instskip(NEXT) | instid1(VALU_DEP_2)
	v_add_nc_u64_e32 v[8:9], v[8:9], v[2:3]
	v_fmac_f32_e32 v40, v29, v11
	ds_load_2addr_b32 v[28:29], v14 offset0:192 offset1:224
	s_wait_dscnt 0x3
	v_fmac_f32_e32 v40, v30, v12
	s_delay_alu instid0(VALU_DEP_1) | instskip(SKIP_4) | instid1(VALU_DEP_1)
	v_fmac_f32_e32 v40, v31, v13
	ds_load_b128 v[10:13], v15 offset:32
	ds_load_2addr_b32 v[30:31], v20 offset1:32
	s_wait_dscnt 0x3
	v_fmac_f32_e32 v40, v32, v24
	v_fmac_f32_e32 v40, v33, v25
	ds_load_2addr_b32 v[32:33], v20 offset0:64 offset1:96
	s_wait_dscnt 0x3
	v_fmac_f32_e32 v40, v28, v26
	s_delay_alu instid0(VALU_DEP_1)
	v_fmac_f32_e32 v40, v29, v27
	ds_load_b128 v[24:27], v15 offset:48
	ds_load_2addr_b32 v[28:29], v20 offset0:128 offset1:160
	ds_load_2addr_b32 v[34:35], v20 offset0:192 offset1:224
	s_wait_dscnt 0x4
	v_fmac_f32_e32 v40, v30, v10
	s_delay_alu instid0(VALU_DEP_1) | instskip(SKIP_1) | instid1(VALU_DEP_1)
	v_fmac_f32_e32 v40, v31, v11
	s_wait_dscnt 0x3
	v_fmac_f32_e32 v40, v32, v12
	s_delay_alu instid0(VALU_DEP_1)
	v_fmac_f32_e32 v40, v33, v13
	ds_load_2addr_b32 v[32:33], v21 offset1:32
	ds_load_b128 v[10:13], v15 offset:64
	ds_load_2addr_b32 v[36:37], v21 offset0:64 offset1:96
	s_wait_dscnt 0x4
	v_fmac_f32_e32 v40, v28, v24
	s_delay_alu instid0(VALU_DEP_1) | instskip(SKIP_4) | instid1(VALU_DEP_1)
	v_fmac_f32_e32 v40, v29, v25
	ds_load_2addr_b32 v[38:39], v21 offset0:128 offset1:160
	ds_load_b128 v[28:31], v15 offset:80
	s_wait_dscnt 0x5
	v_fmac_f32_e32 v40, v34, v26
	v_fmac_f32_e32 v40, v35, v27
	ds_load_2addr_b32 v[34:35], v21 offset0:192 offset1:224
	s_wait_dscnt 0x4
	v_fmac_f32_e32 v40, v32, v10
	s_delay_alu instid0(VALU_DEP_1)
	v_fmac_f32_e32 v40, v33, v11
	ds_load_2addr_b32 v[32:33], v22 offset1:32
	ds_load_b128 v[24:27], v15 offset:96
	s_wait_dscnt 0x3
	v_pk_mul_f32 v[10:11], v[38:39], v[28:29]
	ds_load_2addr_b32 v[28:29], v22 offset0:64 offset1:96
	v_fmac_f32_e32 v40, v36, v12
	s_delay_alu instid0(VALU_DEP_1) | instskip(SKIP_2) | instid1(VALU_DEP_2)
	v_fmac_f32_e32 v40, v37, v13
	s_wait_dscnt 0x3
	v_pk_mul_f32 v[30:31], v[34:35], v[30:31]
	v_add_f32_e32 v10, v40, v10
	s_delay_alu instid0(VALU_DEP_1)
	v_add_f32_e32 v10, v10, v11
	s_wait_dscnt 0x1
	v_pk_mul_f32 v[24:25], v[32:33], v[24:25]
	s_wait_dscnt 0x0
	v_pk_mul_f32 v[26:27], v[28:29], v[26:27]
	v_add_f32_e32 v30, v10, v30
	ds_load_2addr_b32 v[34:35], v22 offset0:128 offset1:160
	ds_load_b128 v[10:13], v15 offset:112
	v_add_f32_e32 v30, v30, v31
	s_delay_alu instid0(VALU_DEP_1) | instskip(NEXT) | instid1(VALU_DEP_1)
	v_add_f32_e32 v24, v30, v24
	v_add_f32_e32 v28, v24, v25
	ds_load_2addr_b32 v[24:25], v22 offset0:192 offset1:224
	v_add_f32_e32 v26, v28, v26
	s_wait_dscnt 0x1
	v_pk_mul_f32 v[10:11], v[34:35], v[10:11]
	s_delay_alu instid0(VALU_DEP_2) | instskip(NEXT) | instid1(VALU_DEP_1)
	v_add_f32_e32 v26, v26, v27
	v_add_f32_e32 v10, v26, v10
	s_delay_alu instid0(VALU_DEP_1) | instskip(SKIP_2) | instid1(VALU_DEP_1)
	v_add_f32_e32 v26, v10, v11
	s_wait_dscnt 0x0
	v_pk_mul_f32 v[10:11], v[24:25], v[12:13]
	v_add_f32_e32 v10, v26, v10
	s_delay_alu instid0(VALU_DEP_1) | instskip(NEXT) | instid1(VALU_DEP_1)
	v_add_f32_e32 v10, v10, v11
	v_mul_f32_e32 v10, v23, v10
	flat_store_b32 v[8:9], v10
	s_branch .LBB146_2
.LBB146_19:
	s_endpgm
	.section	.rodata,"a",@progbits
	.p2align	6, 0x0
	.amdhsa_kernel _ZL23rocblas_trmm_lTx_kernelILi32ELb0EfPKfKS1_KPfEv13rocblas_fill_17rocblas_diagonal_iiT2_lPT3_llS9_llPT4_lli
		.amdhsa_group_segment_fixed_size 8192
		.amdhsa_private_segment_fixed_size 0
		.amdhsa_kernarg_size 108
		.amdhsa_user_sgpr_count 2
		.amdhsa_user_sgpr_dispatch_ptr 0
		.amdhsa_user_sgpr_queue_ptr 0
		.amdhsa_user_sgpr_kernarg_segment_ptr 1
		.amdhsa_user_sgpr_dispatch_id 0
		.amdhsa_user_sgpr_kernarg_preload_length 0
		.amdhsa_user_sgpr_kernarg_preload_offset 0
		.amdhsa_user_sgpr_private_segment_size 0
		.amdhsa_wavefront_size32 1
		.amdhsa_uses_dynamic_stack 0
		.amdhsa_enable_private_segment 0
		.amdhsa_system_sgpr_workgroup_id_x 1
		.amdhsa_system_sgpr_workgroup_id_y 0
		.amdhsa_system_sgpr_workgroup_id_z 1
		.amdhsa_system_sgpr_workgroup_info 0
		.amdhsa_system_vgpr_workitem_id 1
		.amdhsa_next_free_vgpr 41
		.amdhsa_next_free_sgpr 38
		.amdhsa_named_barrier_count 0
		.amdhsa_reserve_vcc 1
		.amdhsa_float_round_mode_32 0
		.amdhsa_float_round_mode_16_64 0
		.amdhsa_float_denorm_mode_32 3
		.amdhsa_float_denorm_mode_16_64 3
		.amdhsa_fp16_overflow 0
		.amdhsa_memory_ordered 1
		.amdhsa_forward_progress 1
		.amdhsa_inst_pref_size 11
		.amdhsa_round_robin_scheduling 0
		.amdhsa_exception_fp_ieee_invalid_op 0
		.amdhsa_exception_fp_denorm_src 0
		.amdhsa_exception_fp_ieee_div_zero 0
		.amdhsa_exception_fp_ieee_overflow 0
		.amdhsa_exception_fp_ieee_underflow 0
		.amdhsa_exception_fp_ieee_inexact 0
		.amdhsa_exception_int_div_zero 0
	.end_amdhsa_kernel
	.section	.text._ZL23rocblas_trmm_lTx_kernelILi32ELb0EfPKfKS1_KPfEv13rocblas_fill_17rocblas_diagonal_iiT2_lPT3_llS9_llPT4_lli,"axG",@progbits,_ZL23rocblas_trmm_lTx_kernelILi32ELb0EfPKfKS1_KPfEv13rocblas_fill_17rocblas_diagonal_iiT2_lPT3_llS9_llPT4_lli,comdat
.Lfunc_end146:
	.size	_ZL23rocblas_trmm_lTx_kernelILi32ELb0EfPKfKS1_KPfEv13rocblas_fill_17rocblas_diagonal_iiT2_lPT3_llS9_llPT4_lli, .Lfunc_end146-_ZL23rocblas_trmm_lTx_kernelILi32ELb0EfPKfKS1_KPfEv13rocblas_fill_17rocblas_diagonal_iiT2_lPT3_llS9_llPT4_lli
                                        ; -- End function
	.set _ZL23rocblas_trmm_lTx_kernelILi32ELb0EfPKfKS1_KPfEv13rocblas_fill_17rocblas_diagonal_iiT2_lPT3_llS9_llPT4_lli.num_vgpr, 41
	.set _ZL23rocblas_trmm_lTx_kernelILi32ELb0EfPKfKS1_KPfEv13rocblas_fill_17rocblas_diagonal_iiT2_lPT3_llS9_llPT4_lli.num_agpr, 0
	.set _ZL23rocblas_trmm_lTx_kernelILi32ELb0EfPKfKS1_KPfEv13rocblas_fill_17rocblas_diagonal_iiT2_lPT3_llS9_llPT4_lli.numbered_sgpr, 38
	.set _ZL23rocblas_trmm_lTx_kernelILi32ELb0EfPKfKS1_KPfEv13rocblas_fill_17rocblas_diagonal_iiT2_lPT3_llS9_llPT4_lli.num_named_barrier, 0
	.set _ZL23rocblas_trmm_lTx_kernelILi32ELb0EfPKfKS1_KPfEv13rocblas_fill_17rocblas_diagonal_iiT2_lPT3_llS9_llPT4_lli.private_seg_size, 0
	.set _ZL23rocblas_trmm_lTx_kernelILi32ELb0EfPKfKS1_KPfEv13rocblas_fill_17rocblas_diagonal_iiT2_lPT3_llS9_llPT4_lli.uses_vcc, 1
	.set _ZL23rocblas_trmm_lTx_kernelILi32ELb0EfPKfKS1_KPfEv13rocblas_fill_17rocblas_diagonal_iiT2_lPT3_llS9_llPT4_lli.uses_flat_scratch, 0
	.set _ZL23rocblas_trmm_lTx_kernelILi32ELb0EfPKfKS1_KPfEv13rocblas_fill_17rocblas_diagonal_iiT2_lPT3_llS9_llPT4_lli.has_dyn_sized_stack, 0
	.set _ZL23rocblas_trmm_lTx_kernelILi32ELb0EfPKfKS1_KPfEv13rocblas_fill_17rocblas_diagonal_iiT2_lPT3_llS9_llPT4_lli.has_recursion, 0
	.set _ZL23rocblas_trmm_lTx_kernelILi32ELb0EfPKfKS1_KPfEv13rocblas_fill_17rocblas_diagonal_iiT2_lPT3_llS9_llPT4_lli.has_indirect_call, 0
	.section	.AMDGPU.csdata,"",@progbits
; Kernel info:
; codeLenInByte = 1392
; TotalNumSgprs: 40
; NumVgprs: 41
; ScratchSize: 0
; MemoryBound: 0
; FloatMode: 240
; IeeeMode: 1
; LDSByteSize: 8192 bytes/workgroup (compile time only)
; SGPRBlocks: 0
; VGPRBlocks: 2
; NumSGPRsForWavesPerEU: 40
; NumVGPRsForWavesPerEU: 41
; NamedBarCnt: 0
; Occupancy: 16
; WaveLimiterHint : 1
; COMPUTE_PGM_RSRC2:SCRATCH_EN: 0
; COMPUTE_PGM_RSRC2:USER_SGPR: 2
; COMPUTE_PGM_RSRC2:TRAP_HANDLER: 0
; COMPUTE_PGM_RSRC2:TGID_X_EN: 1
; COMPUTE_PGM_RSRC2:TGID_Y_EN: 0
; COMPUTE_PGM_RSRC2:TGID_Z_EN: 1
; COMPUTE_PGM_RSRC2:TIDIG_COMP_CNT: 1
	.section	.text._ZL23rocblas_trmm_lTx_kernelILi32ELb0EffKPKfKPfEv13rocblas_fill_17rocblas_diagonal_iiT2_lPT3_llS9_llPT4_lli,"axG",@progbits,_ZL23rocblas_trmm_lTx_kernelILi32ELb0EffKPKfKPfEv13rocblas_fill_17rocblas_diagonal_iiT2_lPT3_llS9_llPT4_lli,comdat
	.globl	_ZL23rocblas_trmm_lTx_kernelILi32ELb0EffKPKfKPfEv13rocblas_fill_17rocblas_diagonal_iiT2_lPT3_llS9_llPT4_lli ; -- Begin function _ZL23rocblas_trmm_lTx_kernelILi32ELb0EffKPKfKPfEv13rocblas_fill_17rocblas_diagonal_iiT2_lPT3_llS9_llPT4_lli
	.p2align	8
	.type	_ZL23rocblas_trmm_lTx_kernelILi32ELb0EffKPKfKPfEv13rocblas_fill_17rocblas_diagonal_iiT2_lPT3_llS9_llPT4_lli,@function
_ZL23rocblas_trmm_lTx_kernelILi32ELb0EffKPKfKPfEv13rocblas_fill_17rocblas_diagonal_iiT2_lPT3_llS9_llPT4_lli: ; @_ZL23rocblas_trmm_lTx_kernelILi32ELb0EffKPKfKPfEv13rocblas_fill_17rocblas_diagonal_iiT2_lPT3_llS9_llPT4_lli
; %bb.0:
	s_load_b32 s30, s[0:1], 0x68
	s_bfe_u32 s2, ttmp6, 0x40014
	s_lshr_b32 s3, ttmp7, 16
	s_add_co_i32 s2, s2, 1
	s_bfe_u32 s5, ttmp6, 0x40008
	s_mul_i32 s4, s3, s2
	s_getreg_b32 s2, hwreg(HW_REG_IB_STS2, 6, 4)
	s_add_co_i32 s5, s5, s4
	s_cmp_eq_u32 s2, 0
	s_cselect_b32 s31, s3, s5
	s_wait_kmcnt 0x0
	s_cmp_ge_u32 s31, s30
	s_cbranch_scc1 .LBB147_19
; %bb.1:
	s_clause 0x2
	s_load_b32 s33, s[0:1], 0x10
	s_load_b512 s[8:23], s[0:1], 0x20
	s_load_b128 s[24:27], s[0:1], 0x0
	v_bfe_u32 v2, v0, 10, 10
	v_dual_mov_b32 v3, 0 :: v_dual_mov_b32 v14, 1.0
	v_and_b32_e32 v8, 0x3ff, v0
	s_load_b64 s[28:29], s[0:1], 0x60
	s_delay_alu instid0(VALU_DEP_3) | instskip(SKIP_1) | instid1(VALU_DEP_3)
	v_dual_lshlrev_b32 v9, 2, v2 :: v_dual_lshlrev_b32 v10, 5, v2
	v_lshl_add_u32 v16, v2, 7, 0x1000
	v_dual_lshlrev_b32 v11, 7, v8 :: v_dual_lshlrev_b32 v15, 2, v8
	v_cmp_eq_u32_e32 vcc_lo, v2, v8
	s_delay_alu instid0(VALU_DEP_4)
	v_add_lshl_u32 v17, v10, v8, 2
	s_wait_xcnt 0x0
	v_cmp_lt_u32_e64 s0, v8, v2
	v_cmp_gt_u32_e64 s1, v8, v2
	v_add_nc_u32_e32 v18, v9, v11
	v_add_nc_u32_e32 v20, 0x400, v15
	;; [unrolled: 1-line block ×3, first 2 shown]
	s_wait_kmcnt 0x0
	s_cmp_neq_f32 s33, 0
	v_mul_u64_e32 v[0:1], s[10:11], v[2:3]
	v_mul_u64_e32 v[4:5], s[16:17], v[2:3]
	;; [unrolled: 1-line block ×3, first 2 shown]
	s_cselect_b32 s34, -1, 0
	s_add_co_i32 s3, s27, -1
	s_bfe_u32 s5, ttmp6, 0x4000c
	s_ashr_i32 s6, s3, 31
	s_add_co_i32 s5, s5, 1
	s_lshr_b32 s6, s6, 27
	s_and_b32 s4, ttmp6, 15
	s_mul_i32 s5, ttmp9, s5
	s_add_co_i32 s3, s3, s6
	s_add_co_i32 s4, s4, s5
	s_and_b32 s5, s3, 0xffffffe0
	s_ashr_i32 s3, s3, 5
	s_sub_co_i32 s5, s27, s5
	s_cmp_eq_u32 s2, 0
	v_cmp_gt_i32_e64 s2, s26, v2
	s_cselect_b32 s6, ttmp9, s4
	v_add_nc_u32_e32 v21, 0x800, v15
	s_cmp_ge_i32 s6, s3
	v_cmp_gt_i32_e64 s3, s26, v8
	s_cselect_b32 s4, s5, 32
	s_lshl_b32 s6, s6, 5
	v_cmp_gt_i32_e64 s4, s4, v2
	s_ashr_i32 s7, s6, 31
	s_and_b32 s26, s2, s3
	s_mul_u64 s[10:11], s[16:17], s[6:7]
	v_lshlrev_b32_e32 v2, 2, v8
	s_and_b32 s27, s3, s4
	s_cmp_eq_u32 s25, 0x84
	v_add_nc_u32_e32 v22, 0xc00, v15
	s_cselect_b32 s2, -1, 0
	s_mul_u64 s[22:23], s[22:23], s[6:7]
	s_and_b32 s16, vcc_lo, s2
	s_cmp_lg_u32 s24, 0x7a
	s_cselect_b32 s17, -1, 0
	s_lshl_b64 s[2:3], s[12:13], 2
	s_lshl_b64 s[4:5], s[18:19], 2
	;; [unrolled: 1-line block ×5, first 2 shown]
	s_branch .LBB147_4
.LBB147_2:                              ;   in Loop: Header=BB147_4 Depth=1
	s_wait_xcnt 0x0
	s_or_b32 exec_lo, exec_lo, s18
.LBB147_3:                              ;   in Loop: Header=BB147_4 Depth=1
	s_add_co_i32 s31, s31, 0x10000
	s_delay_alu instid0(SALU_CYCLE_1)
	s_cmp_lt_u32 s31, s30
	s_cbranch_scc0 .LBB147_19
.LBB147_4:                              ; =>This Inner Loop Header: Depth=1
	s_and_not1_b32 vcc_lo, exec_lo, s34
	s_cbranch_vccnz .LBB147_3
; %bb.5:                                ;   in Loop: Header=BB147_4 Depth=1
	v_mov_b32_e32 v23, s31
	s_clause 0x2
	global_load_b64 v[12:13], v23, s[8:9] scale_offset
	global_load_b64 v[10:11], v23, s[14:15] scale_offset
	;; [unrolled: 1-line block ×3, first 2 shown]
	ds_store_b32 v17, v3
	ds_store_b32 v19, v3
	s_wait_loadcnt_dscnt 0x0
	s_barrier_signal -1
	s_barrier_wait -1
	s_wait_xcnt 0x0
	s_and_saveexec_b32 s18, s26
	s_cbranch_execnz .LBB147_11
; %bb.6:                                ;   in Loop: Header=BB147_4 Depth=1
	s_or_b32 exec_lo, exec_lo, s18
	s_and_saveexec_b32 s18, s27
	s_cbranch_execnz .LBB147_12
.LBB147_7:                              ;   in Loop: Header=BB147_4 Depth=1
	s_or_b32 exec_lo, exec_lo, s18
	s_and_saveexec_b32 s18, s16
.LBB147_8:                              ;   in Loop: Header=BB147_4 Depth=1
	ds_store_b32 v17, v14
.LBB147_9:                              ;   in Loop: Header=BB147_4 Depth=1
	s_or_b32 exec_lo, exec_lo, s18
	s_delay_alu instid0(SALU_CYCLE_1)
	s_and_b32 vcc_lo, exec_lo, s17
	s_wait_dscnt 0x0
	s_barrier_signal -1
	s_barrier_wait -1
	s_cbranch_vccz .LBB147_13
; %bb.10:                               ;   in Loop: Header=BB147_4 Depth=1
	s_and_b32 s18, s0, exec_lo
	s_cbranch_execz .LBB147_14
	s_branch .LBB147_15
.LBB147_11:                             ;   in Loop: Header=BB147_4 Depth=1
	v_add_nc_u64_e32 v[12:13], s[2:3], v[12:13]
	s_delay_alu instid0(VALU_DEP_1) | instskip(NEXT) | instid1(VALU_DEP_1)
	v_lshl_add_u64 v[12:13], v[0:1], 2, v[12:13]
	v_add_nc_u64_e32 v[12:13], v[12:13], v[2:3]
	flat_load_b32 v12, v[12:13]
	s_wait_loadcnt_dscnt 0x0
	ds_store_b32 v18, v12
	s_wait_xcnt 0x0
	s_or_b32 exec_lo, exec_lo, s18
	s_and_saveexec_b32 s18, s27
	s_cbranch_execz .LBB147_7
.LBB147_12:                             ;   in Loop: Header=BB147_4 Depth=1
	v_add_nc_u64_e32 v[10:11], s[4:5], v[10:11]
	s_delay_alu instid0(VALU_DEP_1) | instskip(NEXT) | instid1(VALU_DEP_1)
	v_add_nc_u64_e32 v[10:11], s[6:7], v[10:11]
	v_lshl_add_u64 v[10:11], v[4:5], 2, v[10:11]
	s_delay_alu instid0(VALU_DEP_1)
	v_add_nc_u64_e32 v[10:11], v[10:11], v[2:3]
	flat_load_b32 v10, v[10:11]
	s_wait_loadcnt_dscnt 0x0
	ds_store_b32 v19, v10
	s_wait_xcnt 0x0
	s_or_b32 exec_lo, exec_lo, s18
	s_and_saveexec_b32 s18, s16
	s_cbranch_execnz .LBB147_8
	s_branch .LBB147_9
.LBB147_13:                             ;   in Loop: Header=BB147_4 Depth=1
	s_mov_b32 s18, 0
.LBB147_14:                             ;   in Loop: Header=BB147_4 Depth=1
	s_delay_alu instid0(SALU_CYCLE_1) | instskip(SKIP_1) | instid1(SALU_CYCLE_1)
	s_and_not1_b32 s18, s18, exec_lo
	s_and_b32 s19, s1, exec_lo
	s_or_b32 s18, s18, s19
.LBB147_15:                             ;   in Loop: Header=BB147_4 Depth=1
	s_delay_alu instid0(SALU_CYCLE_1)
	s_and_saveexec_b32 s19, s18
; %bb.16:                               ;   in Loop: Header=BB147_4 Depth=1
	ds_store_b32 v17, v3
; %bb.17:                               ;   in Loop: Header=BB147_4 Depth=1
	s_or_b32 exec_lo, exec_lo, s19
	s_wait_dscnt 0x0
	s_barrier_signal -1
	s_barrier_wait -1
	s_and_saveexec_b32 s18, s27
	s_cbranch_execz .LBB147_2
; %bb.18:                               ;   in Loop: Header=BB147_4 Depth=1
	ds_load_2addr_b32 v[28:29], v15 offset1:32
	ds_load_b128 v[10:13], v16
	ds_load_2addr_b32 v[30:31], v15 offset0:64 offset1:96
	ds_load_b128 v[24:27], v16 offset:16
	ds_load_2addr_b32 v[32:33], v15 offset0:128 offset1:160
	v_add_nc_u64_e32 v[8:9], s[10:11], v[8:9]
	s_delay_alu instid0(VALU_DEP_1) | instskip(NEXT) | instid1(VALU_DEP_1)
	v_add_nc_u64_e32 v[8:9], s[12:13], v[8:9]
	v_lshl_add_u64 v[8:9], v[6:7], 2, v[8:9]
	s_wait_dscnt 0x3
	v_fma_f32 v23, v28, v10, 0
	s_delay_alu instid0(VALU_DEP_2) | instskip(NEXT) | instid1(VALU_DEP_2)
	v_add_nc_u64_e32 v[8:9], v[8:9], v[2:3]
	v_fmac_f32_e32 v23, v29, v11
	ds_load_2addr_b32 v[28:29], v15 offset0:192 offset1:224
	s_wait_dscnt 0x3
	v_fmac_f32_e32 v23, v30, v12
	s_delay_alu instid0(VALU_DEP_1) | instskip(SKIP_4) | instid1(VALU_DEP_1)
	v_fmac_f32_e32 v23, v31, v13
	ds_load_b128 v[10:13], v16 offset:32
	ds_load_2addr_b32 v[30:31], v20 offset1:32
	s_wait_dscnt 0x3
	v_fmac_f32_e32 v23, v32, v24
	v_fmac_f32_e32 v23, v33, v25
	ds_load_2addr_b32 v[32:33], v20 offset0:64 offset1:96
	s_wait_dscnt 0x3
	v_fmac_f32_e32 v23, v28, v26
	s_delay_alu instid0(VALU_DEP_1)
	v_fmac_f32_e32 v23, v29, v27
	ds_load_b128 v[24:27], v16 offset:48
	ds_load_2addr_b32 v[28:29], v20 offset0:128 offset1:160
	ds_load_2addr_b32 v[34:35], v20 offset0:192 offset1:224
	s_wait_dscnt 0x4
	v_fmac_f32_e32 v23, v30, v10
	s_delay_alu instid0(VALU_DEP_1) | instskip(SKIP_1) | instid1(VALU_DEP_1)
	v_fmac_f32_e32 v23, v31, v11
	s_wait_dscnt 0x3
	v_fmac_f32_e32 v23, v32, v12
	s_delay_alu instid0(VALU_DEP_1)
	v_fmac_f32_e32 v23, v33, v13
	ds_load_2addr_b32 v[32:33], v21 offset1:32
	ds_load_b128 v[10:13], v16 offset:64
	ds_load_2addr_b32 v[36:37], v21 offset0:64 offset1:96
	s_wait_dscnt 0x4
	v_fmac_f32_e32 v23, v28, v24
	s_delay_alu instid0(VALU_DEP_1) | instskip(SKIP_4) | instid1(VALU_DEP_1)
	v_fmac_f32_e32 v23, v29, v25
	ds_load_2addr_b32 v[38:39], v21 offset0:128 offset1:160
	ds_load_b128 v[28:31], v16 offset:80
	s_wait_dscnt 0x5
	v_fmac_f32_e32 v23, v34, v26
	v_fmac_f32_e32 v23, v35, v27
	ds_load_2addr_b32 v[34:35], v21 offset0:192 offset1:224
	s_wait_dscnt 0x4
	v_fmac_f32_e32 v23, v32, v10
	s_delay_alu instid0(VALU_DEP_1)
	v_fmac_f32_e32 v23, v33, v11
	ds_load_2addr_b32 v[32:33], v22 offset1:32
	ds_load_b128 v[24:27], v16 offset:96
	s_wait_dscnt 0x3
	v_pk_mul_f32 v[10:11], v[38:39], v[28:29]
	ds_load_2addr_b32 v[28:29], v22 offset0:64 offset1:96
	v_fmac_f32_e32 v23, v36, v12
	s_delay_alu instid0(VALU_DEP_1) | instskip(SKIP_2) | instid1(VALU_DEP_2)
	v_fmac_f32_e32 v23, v37, v13
	s_wait_dscnt 0x3
	v_pk_mul_f32 v[30:31], v[34:35], v[30:31]
	v_add_f32_e32 v10, v23, v10
	s_delay_alu instid0(VALU_DEP_1)
	v_add_f32_e32 v10, v10, v11
	s_wait_dscnt 0x1
	v_pk_mul_f32 v[24:25], v[32:33], v[24:25]
	s_wait_dscnt 0x0
	v_pk_mul_f32 v[26:27], v[28:29], v[26:27]
	v_add_f32_e32 v23, v10, v30
	ds_load_2addr_b32 v[34:35], v22 offset0:128 offset1:160
	ds_load_b128 v[10:13], v16 offset:112
	v_add_f32_e32 v23, v23, v31
	s_delay_alu instid0(VALU_DEP_1) | instskip(NEXT) | instid1(VALU_DEP_1)
	v_add_f32_e32 v23, v23, v24
	v_add_f32_e32 v23, v23, v25
	ds_load_2addr_b32 v[24:25], v22 offset0:192 offset1:224
	v_add_f32_e32 v23, v23, v26
	s_wait_dscnt 0x1
	v_pk_mul_f32 v[10:11], v[34:35], v[10:11]
	s_delay_alu instid0(VALU_DEP_2) | instskip(NEXT) | instid1(VALU_DEP_1)
	v_add_f32_e32 v23, v23, v27
	v_add_f32_e32 v10, v23, v10
	s_delay_alu instid0(VALU_DEP_1) | instskip(SKIP_2) | instid1(VALU_DEP_1)
	v_add_f32_e32 v23, v10, v11
	s_wait_dscnt 0x0
	v_pk_mul_f32 v[10:11], v[24:25], v[12:13]
	v_add_f32_e32 v10, v23, v10
	s_delay_alu instid0(VALU_DEP_1) | instskip(NEXT) | instid1(VALU_DEP_1)
	v_add_f32_e32 v10, v10, v11
	v_mul_f32_e32 v10, s33, v10
	flat_store_b32 v[8:9], v10
	s_branch .LBB147_2
.LBB147_19:
	s_endpgm
	.section	.rodata,"a",@progbits
	.p2align	6, 0x0
	.amdhsa_kernel _ZL23rocblas_trmm_lTx_kernelILi32ELb0EffKPKfKPfEv13rocblas_fill_17rocblas_diagonal_iiT2_lPT3_llS9_llPT4_lli
		.amdhsa_group_segment_fixed_size 8192
		.amdhsa_private_segment_fixed_size 0
		.amdhsa_kernarg_size 108
		.amdhsa_user_sgpr_count 2
		.amdhsa_user_sgpr_dispatch_ptr 0
		.amdhsa_user_sgpr_queue_ptr 0
		.amdhsa_user_sgpr_kernarg_segment_ptr 1
		.amdhsa_user_sgpr_dispatch_id 0
		.amdhsa_user_sgpr_kernarg_preload_length 0
		.amdhsa_user_sgpr_kernarg_preload_offset 0
		.amdhsa_user_sgpr_private_segment_size 0
		.amdhsa_wavefront_size32 1
		.amdhsa_uses_dynamic_stack 0
		.amdhsa_enable_private_segment 0
		.amdhsa_system_sgpr_workgroup_id_x 1
		.amdhsa_system_sgpr_workgroup_id_y 0
		.amdhsa_system_sgpr_workgroup_id_z 1
		.amdhsa_system_sgpr_workgroup_info 0
		.amdhsa_system_vgpr_workitem_id 1
		.amdhsa_next_free_vgpr 40
		.amdhsa_next_free_sgpr 35
		.amdhsa_named_barrier_count 0
		.amdhsa_reserve_vcc 1
		.amdhsa_float_round_mode_32 0
		.amdhsa_float_round_mode_16_64 0
		.amdhsa_float_denorm_mode_32 3
		.amdhsa_float_denorm_mode_16_64 3
		.amdhsa_fp16_overflow 0
		.amdhsa_memory_ordered 1
		.amdhsa_forward_progress 1
		.amdhsa_inst_pref_size 11
		.amdhsa_round_robin_scheduling 0
		.amdhsa_exception_fp_ieee_invalid_op 0
		.amdhsa_exception_fp_denorm_src 0
		.amdhsa_exception_fp_ieee_div_zero 0
		.amdhsa_exception_fp_ieee_overflow 0
		.amdhsa_exception_fp_ieee_underflow 0
		.amdhsa_exception_fp_ieee_inexact 0
		.amdhsa_exception_int_div_zero 0
	.end_amdhsa_kernel
	.section	.text._ZL23rocblas_trmm_lTx_kernelILi32ELb0EffKPKfKPfEv13rocblas_fill_17rocblas_diagonal_iiT2_lPT3_llS9_llPT4_lli,"axG",@progbits,_ZL23rocblas_trmm_lTx_kernelILi32ELb0EffKPKfKPfEv13rocblas_fill_17rocblas_diagonal_iiT2_lPT3_llS9_llPT4_lli,comdat
.Lfunc_end147:
	.size	_ZL23rocblas_trmm_lTx_kernelILi32ELb0EffKPKfKPfEv13rocblas_fill_17rocblas_diagonal_iiT2_lPT3_llS9_llPT4_lli, .Lfunc_end147-_ZL23rocblas_trmm_lTx_kernelILi32ELb0EffKPKfKPfEv13rocblas_fill_17rocblas_diagonal_iiT2_lPT3_llS9_llPT4_lli
                                        ; -- End function
	.set _ZL23rocblas_trmm_lTx_kernelILi32ELb0EffKPKfKPfEv13rocblas_fill_17rocblas_diagonal_iiT2_lPT3_llS9_llPT4_lli.num_vgpr, 40
	.set _ZL23rocblas_trmm_lTx_kernelILi32ELb0EffKPKfKPfEv13rocblas_fill_17rocblas_diagonal_iiT2_lPT3_llS9_llPT4_lli.num_agpr, 0
	.set _ZL23rocblas_trmm_lTx_kernelILi32ELb0EffKPKfKPfEv13rocblas_fill_17rocblas_diagonal_iiT2_lPT3_llS9_llPT4_lli.numbered_sgpr, 35
	.set _ZL23rocblas_trmm_lTx_kernelILi32ELb0EffKPKfKPfEv13rocblas_fill_17rocblas_diagonal_iiT2_lPT3_llS9_llPT4_lli.num_named_barrier, 0
	.set _ZL23rocblas_trmm_lTx_kernelILi32ELb0EffKPKfKPfEv13rocblas_fill_17rocblas_diagonal_iiT2_lPT3_llS9_llPT4_lli.private_seg_size, 0
	.set _ZL23rocblas_trmm_lTx_kernelILi32ELb0EffKPKfKPfEv13rocblas_fill_17rocblas_diagonal_iiT2_lPT3_llS9_llPT4_lli.uses_vcc, 1
	.set _ZL23rocblas_trmm_lTx_kernelILi32ELb0EffKPKfKPfEv13rocblas_fill_17rocblas_diagonal_iiT2_lPT3_llS9_llPT4_lli.uses_flat_scratch, 0
	.set _ZL23rocblas_trmm_lTx_kernelILi32ELb0EffKPKfKPfEv13rocblas_fill_17rocblas_diagonal_iiT2_lPT3_llS9_llPT4_lli.has_dyn_sized_stack, 0
	.set _ZL23rocblas_trmm_lTx_kernelILi32ELb0EffKPKfKPfEv13rocblas_fill_17rocblas_diagonal_iiT2_lPT3_llS9_llPT4_lli.has_recursion, 0
	.set _ZL23rocblas_trmm_lTx_kernelILi32ELb0EffKPKfKPfEv13rocblas_fill_17rocblas_diagonal_iiT2_lPT3_llS9_llPT4_lli.has_indirect_call, 0
	.section	.AMDGPU.csdata,"",@progbits
; Kernel info:
; codeLenInByte = 1348
; TotalNumSgprs: 37
; NumVgprs: 40
; ScratchSize: 0
; MemoryBound: 0
; FloatMode: 240
; IeeeMode: 1
; LDSByteSize: 8192 bytes/workgroup (compile time only)
; SGPRBlocks: 0
; VGPRBlocks: 2
; NumSGPRsForWavesPerEU: 37
; NumVGPRsForWavesPerEU: 40
; NamedBarCnt: 0
; Occupancy: 16
; WaveLimiterHint : 1
; COMPUTE_PGM_RSRC2:SCRATCH_EN: 0
; COMPUTE_PGM_RSRC2:USER_SGPR: 2
; COMPUTE_PGM_RSRC2:TRAP_HANDLER: 0
; COMPUTE_PGM_RSRC2:TGID_X_EN: 1
; COMPUTE_PGM_RSRC2:TGID_Y_EN: 0
; COMPUTE_PGM_RSRC2:TGID_Z_EN: 1
; COMPUTE_PGM_RSRC2:TIDIG_COMP_CNT: 1
	.section	.text._ZL23rocblas_trmm_lTx_kernelILi32ELb1EfPKfKS1_KPfEv13rocblas_fill_17rocblas_diagonal_iiT2_lPT3_llS9_llPT4_lli,"axG",@progbits,_ZL23rocblas_trmm_lTx_kernelILi32ELb1EfPKfKS1_KPfEv13rocblas_fill_17rocblas_diagonal_iiT2_lPT3_llS9_llPT4_lli,comdat
	.globl	_ZL23rocblas_trmm_lTx_kernelILi32ELb1EfPKfKS1_KPfEv13rocblas_fill_17rocblas_diagonal_iiT2_lPT3_llS9_llPT4_lli ; -- Begin function _ZL23rocblas_trmm_lTx_kernelILi32ELb1EfPKfKS1_KPfEv13rocblas_fill_17rocblas_diagonal_iiT2_lPT3_llS9_llPT4_lli
	.p2align	8
	.type	_ZL23rocblas_trmm_lTx_kernelILi32ELb1EfPKfKS1_KPfEv13rocblas_fill_17rocblas_diagonal_iiT2_lPT3_llS9_llPT4_lli,@function
_ZL23rocblas_trmm_lTx_kernelILi32ELb1EfPKfKS1_KPfEv13rocblas_fill_17rocblas_diagonal_iiT2_lPT3_llS9_llPT4_lli: ; @_ZL23rocblas_trmm_lTx_kernelILi32ELb1EfPKfKS1_KPfEv13rocblas_fill_17rocblas_diagonal_iiT2_lPT3_llS9_llPT4_lli
; %bb.0:
	s_load_b32 s33, s[0:1], 0x68
	s_bfe_u32 s2, ttmp6, 0x40014
	s_lshr_b32 s3, ttmp7, 16
	s_add_co_i32 s2, s2, 1
	s_bfe_u32 s5, ttmp6, 0x40008
	s_mul_i32 s4, s3, s2
	s_getreg_b32 s2, hwreg(HW_REG_IB_STS2, 6, 4)
	s_add_co_i32 s5, s5, s4
	s_cmp_eq_u32 s2, 0
	s_mov_b32 s7, 0
	s_cselect_b32 s6, s3, s5
	s_wait_kmcnt 0x0
	s_cmp_ge_u32 s6, s33
	s_cbranch_scc1 .LBB148_19
; %bb.1:
	s_clause 0x3
	s_load_b128 s[28:31], s[0:1], 0x0
	s_load_b512 s[8:23], s[0:1], 0x10
	s_load_b64 s[34:35], s[0:1], 0x60
	s_load_b128 s[24:27], s[0:1], 0x50
	v_bfe_u32 v2, v0, 10, 10
	v_mov_b32_e32 v3, 0
	s_wait_xcnt 0x0
	s_bfe_u32 s0, ttmp6, 0x4000c
	s_and_b32 s3, ttmp6, 15
	s_add_co_i32 s0, s0, 1
	v_and_b32_e32 v8, 0x3ff, v0
	s_mul_i32 s4, ttmp9, s0
	v_lshlrev_b32_e32 v9, 2, v2
	s_add_co_i32 s3, s3, s4
	s_delay_alu instid0(VALU_DEP_2) | instskip(SKIP_3) | instid1(VALU_DEP_4)
	v_dual_lshlrev_b32 v10, 5, v2 :: v_dual_lshlrev_b32 v11, 7, v8
	v_cmp_eq_u32_e32 vcc_lo, v2, v8
	v_lshlrev_b32_e32 v14, 2, v8
	v_cmp_lt_u32_e64 s0, v8, v2
	v_add_lshl_u32 v16, v10, v8, 2
	v_cmp_gt_u32_e64 s1, v8, v2
	s_wait_kmcnt 0x0
	s_add_co_i32 s5, s31, -1
	v_mul_u64_e32 v[0:1], s[14:15], v[2:3]
	s_ashr_i32 s36, s5, 31
	v_mul_u64_e32 v[4:5], s[20:21], v[2:3]
	v_mul_u64_e32 v[6:7], s[26:27], v[2:3]
	s_lshr_b32 s4, s36, 27
	v_lshl_add_u32 v15, v2, 7, 0x1000
	s_add_co_i32 s4, s5, s4
	v_add_nc_u32_e32 v17, v9, v11
	s_and_b32 s5, s4, 0xffffffe0
	s_ashr_i32 s4, s4, 5
	s_sub_co_i32 s5, s31, s5
	s_cmp_eq_u32 s2, 0
	v_cmp_gt_i32_e64 s2, s30, v2
	s_cselect_b32 s14, ttmp9, s3
	v_cmp_gt_i32_e64 s3, s30, v8
	s_cmp_ge_i32 s14, s4
	v_dual_mov_b32 v19, 1.0 :: v_dual_add_nc_u32 v18, 0x1000, v16
	s_cselect_b32 s4, s5, 32
	s_lshl_b32 s14, s14, 5
	v_cmp_gt_i32_e64 s4, s4, v2
	s_and_b32 s30, s2, s3
	s_ashr_i32 s15, s14, 31
	v_lshlrev_b32_e32 v2, 2, v8
	v_add_nc_u32_e32 v20, 0x400, v14
	s_and_b32 s31, s3, s4
	s_cmp_eq_u32 s29, 0x84
	v_add_nc_u32_e32 v21, 0x800, v14
	s_cselect_b32 s2, -1, 0
	v_add_nc_u32_e32 v22, 0xc00, v14
	s_and_b32 s29, vcc_lo, s2
	s_mul_u64 s[20:21], s[20:21], s[14:15]
	s_cmp_lg_u32 s28, 0x7a
	s_mul_u64 s[36:37], s[26:27], s[14:15]
	s_cselect_b32 s26, -1, 0
	s_lshl_b64 s[2:3], s[16:17], 2
	s_lshl_b64 s[4:5], s[22:23], 2
	;; [unrolled: 1-line block ×5, first 2 shown]
	s_branch .LBB148_4
.LBB148_2:                              ;   in Loop: Header=BB148_4 Depth=1
	s_wait_xcnt 0x0
	s_or_b32 exec_lo, exec_lo, s22
.LBB148_3:                              ;   in Loop: Header=BB148_4 Depth=1
	s_add_co_i32 s6, s6, 0x10000
	s_delay_alu instid0(SALU_CYCLE_1)
	s_cmp_lt_u32 s6, s33
	s_cbranch_scc0 .LBB148_19
.LBB148_4:                              ; =>This Inner Loop Header: Depth=1
	s_wait_xcnt 0x0
	s_mul_u64 s[22:23], s[10:11], s[6:7]
	s_delay_alu instid0(SALU_CYCLE_1) | instskip(NEXT) | instid1(SALU_CYCLE_1)
	s_lshl_b64 s[22:23], s[22:23], 2
	s_add_nc_u64 s[22:23], s[8:9], s[22:23]
	global_load_b32 v23, v3, s[22:23]
	s_wait_loadcnt 0x0
	v_cmp_eq_f32_e32 vcc_lo, 0, v23
	s_cbranch_vccnz .LBB148_3
; %bb.5:                                ;   in Loop: Header=BB148_4 Depth=1
	s_wait_xcnt 0x0
	s_lshl_b64 s[22:23], s[6:7], 3
	s_delay_alu instid0(SALU_CYCLE_1)
	s_add_nc_u64 s[34:35], s[12:13], s[22:23]
	s_add_nc_u64 s[36:37], s[18:19], s[22:23]
	;; [unrolled: 1-line block ×3, first 2 shown]
	s_clause 0x2
	global_load_b64 v[12:13], v3, s[34:35]
	global_load_b64 v[10:11], v3, s[36:37]
	;; [unrolled: 1-line block ×3, first 2 shown]
	ds_store_b32 v16, v3
	ds_store_b32 v18, v3
	s_wait_loadcnt_dscnt 0x0
	s_barrier_signal -1
	s_barrier_wait -1
	s_wait_xcnt 0x0
	s_and_saveexec_b32 s22, s30
	s_cbranch_execnz .LBB148_11
; %bb.6:                                ;   in Loop: Header=BB148_4 Depth=1
	s_or_b32 exec_lo, exec_lo, s22
	s_and_saveexec_b32 s22, s31
	s_cbranch_execnz .LBB148_12
.LBB148_7:                              ;   in Loop: Header=BB148_4 Depth=1
	s_or_b32 exec_lo, exec_lo, s22
	s_and_saveexec_b32 s22, s29
.LBB148_8:                              ;   in Loop: Header=BB148_4 Depth=1
	ds_store_b32 v16, v19
.LBB148_9:                              ;   in Loop: Header=BB148_4 Depth=1
	s_or_b32 exec_lo, exec_lo, s22
	s_delay_alu instid0(SALU_CYCLE_1)
	s_and_b32 vcc_lo, exec_lo, s26
	s_wait_dscnt 0x0
	s_barrier_signal -1
	s_barrier_wait -1
	s_cbranch_vccz .LBB148_13
; %bb.10:                               ;   in Loop: Header=BB148_4 Depth=1
	s_and_b32 s22, s0, exec_lo
	s_cbranch_execz .LBB148_14
	s_branch .LBB148_15
.LBB148_11:                             ;   in Loop: Header=BB148_4 Depth=1
	v_add_nc_u64_e32 v[12:13], s[2:3], v[12:13]
	s_delay_alu instid0(VALU_DEP_1) | instskip(NEXT) | instid1(VALU_DEP_1)
	v_lshl_add_u64 v[12:13], v[0:1], 2, v[12:13]
	v_add_nc_u64_e32 v[12:13], v[12:13], v[2:3]
	flat_load_b32 v12, v[12:13]
	s_wait_loadcnt_dscnt 0x0
	ds_store_b32 v17, v12
	s_wait_xcnt 0x0
	s_or_b32 exec_lo, exec_lo, s22
	s_and_saveexec_b32 s22, s31
	s_cbranch_execz .LBB148_7
.LBB148_12:                             ;   in Loop: Header=BB148_4 Depth=1
	v_add_nc_u64_e32 v[10:11], s[4:5], v[10:11]
	s_delay_alu instid0(VALU_DEP_1) | instskip(NEXT) | instid1(VALU_DEP_1)
	v_add_nc_u64_e32 v[10:11], s[14:15], v[10:11]
	v_lshl_add_u64 v[10:11], v[4:5], 2, v[10:11]
	s_delay_alu instid0(VALU_DEP_1)
	v_add_nc_u64_e32 v[10:11], v[10:11], v[2:3]
	flat_load_b32 v10, v[10:11]
	s_wait_loadcnt_dscnt 0x0
	ds_store_b32 v18, v10
	s_wait_xcnt 0x0
	s_or_b32 exec_lo, exec_lo, s22
	s_and_saveexec_b32 s22, s29
	s_cbranch_execnz .LBB148_8
	s_branch .LBB148_9
.LBB148_13:                             ;   in Loop: Header=BB148_4 Depth=1
	s_mov_b32 s22, 0
.LBB148_14:                             ;   in Loop: Header=BB148_4 Depth=1
	s_delay_alu instid0(SALU_CYCLE_1) | instskip(SKIP_1) | instid1(SALU_CYCLE_1)
	s_and_not1_b32 s22, s22, exec_lo
	s_and_b32 s23, s1, exec_lo
	s_or_b32 s22, s22, s23
.LBB148_15:                             ;   in Loop: Header=BB148_4 Depth=1
	s_delay_alu instid0(SALU_CYCLE_1)
	s_and_saveexec_b32 s23, s22
; %bb.16:                               ;   in Loop: Header=BB148_4 Depth=1
	ds_store_b32 v16, v3
; %bb.17:                               ;   in Loop: Header=BB148_4 Depth=1
	s_or_b32 exec_lo, exec_lo, s23
	s_wait_dscnt 0x0
	s_barrier_signal -1
	s_barrier_wait -1
	s_and_saveexec_b32 s22, s31
	s_cbranch_execz .LBB148_2
; %bb.18:                               ;   in Loop: Header=BB148_4 Depth=1
	ds_load_2addr_b32 v[28:29], v14 offset1:32
	ds_load_b128 v[10:13], v15
	ds_load_2addr_b32 v[30:31], v14 offset0:64 offset1:96
	ds_load_b128 v[24:27], v15 offset:16
	ds_load_2addr_b32 v[32:33], v14 offset0:128 offset1:160
	v_add_nc_u64_e32 v[8:9], s[16:17], v[8:9]
	s_delay_alu instid0(VALU_DEP_1) | instskip(NEXT) | instid1(VALU_DEP_1)
	v_add_nc_u64_e32 v[8:9], s[20:21], v[8:9]
	v_lshl_add_u64 v[8:9], v[6:7], 2, v[8:9]
	s_wait_dscnt 0x3
	v_fma_f32 v40, v28, v10, 0
	s_delay_alu instid0(VALU_DEP_2) | instskip(NEXT) | instid1(VALU_DEP_2)
	v_add_nc_u64_e32 v[8:9], v[8:9], v[2:3]
	v_fmac_f32_e32 v40, v29, v11
	ds_load_2addr_b32 v[28:29], v14 offset0:192 offset1:224
	s_wait_dscnt 0x3
	v_fmac_f32_e32 v40, v30, v12
	s_delay_alu instid0(VALU_DEP_1) | instskip(SKIP_4) | instid1(VALU_DEP_1)
	v_fmac_f32_e32 v40, v31, v13
	ds_load_b128 v[10:13], v15 offset:32
	ds_load_2addr_b32 v[30:31], v20 offset1:32
	s_wait_dscnt 0x3
	v_fmac_f32_e32 v40, v32, v24
	v_fmac_f32_e32 v40, v33, v25
	ds_load_2addr_b32 v[32:33], v20 offset0:64 offset1:96
	s_wait_dscnt 0x3
	v_fmac_f32_e32 v40, v28, v26
	s_delay_alu instid0(VALU_DEP_1)
	v_fmac_f32_e32 v40, v29, v27
	ds_load_b128 v[24:27], v15 offset:48
	ds_load_2addr_b32 v[28:29], v20 offset0:128 offset1:160
	ds_load_2addr_b32 v[34:35], v20 offset0:192 offset1:224
	s_wait_dscnt 0x4
	v_fmac_f32_e32 v40, v30, v10
	s_delay_alu instid0(VALU_DEP_1) | instskip(SKIP_1) | instid1(VALU_DEP_1)
	v_fmac_f32_e32 v40, v31, v11
	s_wait_dscnt 0x3
	v_fmac_f32_e32 v40, v32, v12
	s_delay_alu instid0(VALU_DEP_1)
	v_fmac_f32_e32 v40, v33, v13
	ds_load_2addr_b32 v[32:33], v21 offset1:32
	ds_load_b128 v[10:13], v15 offset:64
	ds_load_2addr_b32 v[36:37], v21 offset0:64 offset1:96
	s_wait_dscnt 0x4
	v_fmac_f32_e32 v40, v28, v24
	s_delay_alu instid0(VALU_DEP_1) | instskip(SKIP_4) | instid1(VALU_DEP_1)
	v_fmac_f32_e32 v40, v29, v25
	ds_load_2addr_b32 v[38:39], v21 offset0:128 offset1:160
	ds_load_b128 v[28:31], v15 offset:80
	s_wait_dscnt 0x5
	v_fmac_f32_e32 v40, v34, v26
	v_fmac_f32_e32 v40, v35, v27
	ds_load_2addr_b32 v[34:35], v21 offset0:192 offset1:224
	s_wait_dscnt 0x4
	v_fmac_f32_e32 v40, v32, v10
	s_delay_alu instid0(VALU_DEP_1)
	v_fmac_f32_e32 v40, v33, v11
	ds_load_2addr_b32 v[32:33], v22 offset1:32
	ds_load_b128 v[24:27], v15 offset:96
	s_wait_dscnt 0x3
	v_pk_mul_f32 v[10:11], v[38:39], v[28:29]
	ds_load_2addr_b32 v[28:29], v22 offset0:64 offset1:96
	v_fmac_f32_e32 v40, v36, v12
	s_delay_alu instid0(VALU_DEP_1) | instskip(SKIP_2) | instid1(VALU_DEP_2)
	v_fmac_f32_e32 v40, v37, v13
	s_wait_dscnt 0x3
	v_pk_mul_f32 v[30:31], v[34:35], v[30:31]
	v_add_f32_e32 v10, v40, v10
	s_delay_alu instid0(VALU_DEP_1)
	v_add_f32_e32 v10, v10, v11
	s_wait_dscnt 0x1
	v_pk_mul_f32 v[24:25], v[32:33], v[24:25]
	s_wait_dscnt 0x0
	v_pk_mul_f32 v[26:27], v[28:29], v[26:27]
	v_add_f32_e32 v30, v10, v30
	ds_load_2addr_b32 v[34:35], v22 offset0:128 offset1:160
	ds_load_b128 v[10:13], v15 offset:112
	v_add_f32_e32 v30, v30, v31
	s_delay_alu instid0(VALU_DEP_1) | instskip(NEXT) | instid1(VALU_DEP_1)
	v_add_f32_e32 v24, v30, v24
	v_add_f32_e32 v28, v24, v25
	ds_load_2addr_b32 v[24:25], v22 offset0:192 offset1:224
	v_add_f32_e32 v26, v28, v26
	s_wait_dscnt 0x1
	v_pk_mul_f32 v[10:11], v[34:35], v[10:11]
	s_delay_alu instid0(VALU_DEP_2) | instskip(NEXT) | instid1(VALU_DEP_1)
	v_add_f32_e32 v26, v26, v27
	v_add_f32_e32 v10, v26, v10
	s_delay_alu instid0(VALU_DEP_1) | instskip(SKIP_2) | instid1(VALU_DEP_1)
	v_add_f32_e32 v26, v10, v11
	s_wait_dscnt 0x0
	v_pk_mul_f32 v[10:11], v[24:25], v[12:13]
	v_add_f32_e32 v10, v26, v10
	s_delay_alu instid0(VALU_DEP_1) | instskip(NEXT) | instid1(VALU_DEP_1)
	v_add_f32_e32 v10, v10, v11
	v_mul_f32_e32 v10, v23, v10
	flat_store_b32 v[8:9], v10
	s_branch .LBB148_2
.LBB148_19:
	s_endpgm
	.section	.rodata,"a",@progbits
	.p2align	6, 0x0
	.amdhsa_kernel _ZL23rocblas_trmm_lTx_kernelILi32ELb1EfPKfKS1_KPfEv13rocblas_fill_17rocblas_diagonal_iiT2_lPT3_llS9_llPT4_lli
		.amdhsa_group_segment_fixed_size 8192
		.amdhsa_private_segment_fixed_size 0
		.amdhsa_kernarg_size 108
		.amdhsa_user_sgpr_count 2
		.amdhsa_user_sgpr_dispatch_ptr 0
		.amdhsa_user_sgpr_queue_ptr 0
		.amdhsa_user_sgpr_kernarg_segment_ptr 1
		.amdhsa_user_sgpr_dispatch_id 0
		.amdhsa_user_sgpr_kernarg_preload_length 0
		.amdhsa_user_sgpr_kernarg_preload_offset 0
		.amdhsa_user_sgpr_private_segment_size 0
		.amdhsa_wavefront_size32 1
		.amdhsa_uses_dynamic_stack 0
		.amdhsa_enable_private_segment 0
		.amdhsa_system_sgpr_workgroup_id_x 1
		.amdhsa_system_sgpr_workgroup_id_y 0
		.amdhsa_system_sgpr_workgroup_id_z 1
		.amdhsa_system_sgpr_workgroup_info 0
		.amdhsa_system_vgpr_workitem_id 1
		.amdhsa_next_free_vgpr 41
		.amdhsa_next_free_sgpr 38
		.amdhsa_named_barrier_count 0
		.amdhsa_reserve_vcc 1
		.amdhsa_float_round_mode_32 0
		.amdhsa_float_round_mode_16_64 0
		.amdhsa_float_denorm_mode_32 3
		.amdhsa_float_denorm_mode_16_64 3
		.amdhsa_fp16_overflow 0
		.amdhsa_memory_ordered 1
		.amdhsa_forward_progress 1
		.amdhsa_inst_pref_size 11
		.amdhsa_round_robin_scheduling 0
		.amdhsa_exception_fp_ieee_invalid_op 0
		.amdhsa_exception_fp_denorm_src 0
		.amdhsa_exception_fp_ieee_div_zero 0
		.amdhsa_exception_fp_ieee_overflow 0
		.amdhsa_exception_fp_ieee_underflow 0
		.amdhsa_exception_fp_ieee_inexact 0
		.amdhsa_exception_int_div_zero 0
	.end_amdhsa_kernel
	.section	.text._ZL23rocblas_trmm_lTx_kernelILi32ELb1EfPKfKS1_KPfEv13rocblas_fill_17rocblas_diagonal_iiT2_lPT3_llS9_llPT4_lli,"axG",@progbits,_ZL23rocblas_trmm_lTx_kernelILi32ELb1EfPKfKS1_KPfEv13rocblas_fill_17rocblas_diagonal_iiT2_lPT3_llS9_llPT4_lli,comdat
.Lfunc_end148:
	.size	_ZL23rocblas_trmm_lTx_kernelILi32ELb1EfPKfKS1_KPfEv13rocblas_fill_17rocblas_diagonal_iiT2_lPT3_llS9_llPT4_lli, .Lfunc_end148-_ZL23rocblas_trmm_lTx_kernelILi32ELb1EfPKfKS1_KPfEv13rocblas_fill_17rocblas_diagonal_iiT2_lPT3_llS9_llPT4_lli
                                        ; -- End function
	.set _ZL23rocblas_trmm_lTx_kernelILi32ELb1EfPKfKS1_KPfEv13rocblas_fill_17rocblas_diagonal_iiT2_lPT3_llS9_llPT4_lli.num_vgpr, 41
	.set _ZL23rocblas_trmm_lTx_kernelILi32ELb1EfPKfKS1_KPfEv13rocblas_fill_17rocblas_diagonal_iiT2_lPT3_llS9_llPT4_lli.num_agpr, 0
	.set _ZL23rocblas_trmm_lTx_kernelILi32ELb1EfPKfKS1_KPfEv13rocblas_fill_17rocblas_diagonal_iiT2_lPT3_llS9_llPT4_lli.numbered_sgpr, 38
	.set _ZL23rocblas_trmm_lTx_kernelILi32ELb1EfPKfKS1_KPfEv13rocblas_fill_17rocblas_diagonal_iiT2_lPT3_llS9_llPT4_lli.num_named_barrier, 0
	.set _ZL23rocblas_trmm_lTx_kernelILi32ELb1EfPKfKS1_KPfEv13rocblas_fill_17rocblas_diagonal_iiT2_lPT3_llS9_llPT4_lli.private_seg_size, 0
	.set _ZL23rocblas_trmm_lTx_kernelILi32ELb1EfPKfKS1_KPfEv13rocblas_fill_17rocblas_diagonal_iiT2_lPT3_llS9_llPT4_lli.uses_vcc, 1
	.set _ZL23rocblas_trmm_lTx_kernelILi32ELb1EfPKfKS1_KPfEv13rocblas_fill_17rocblas_diagonal_iiT2_lPT3_llS9_llPT4_lli.uses_flat_scratch, 0
	.set _ZL23rocblas_trmm_lTx_kernelILi32ELb1EfPKfKS1_KPfEv13rocblas_fill_17rocblas_diagonal_iiT2_lPT3_llS9_llPT4_lli.has_dyn_sized_stack, 0
	.set _ZL23rocblas_trmm_lTx_kernelILi32ELb1EfPKfKS1_KPfEv13rocblas_fill_17rocblas_diagonal_iiT2_lPT3_llS9_llPT4_lli.has_recursion, 0
	.set _ZL23rocblas_trmm_lTx_kernelILi32ELb1EfPKfKS1_KPfEv13rocblas_fill_17rocblas_diagonal_iiT2_lPT3_llS9_llPT4_lli.has_indirect_call, 0
	.section	.AMDGPU.csdata,"",@progbits
; Kernel info:
; codeLenInByte = 1392
; TotalNumSgprs: 40
; NumVgprs: 41
; ScratchSize: 0
; MemoryBound: 0
; FloatMode: 240
; IeeeMode: 1
; LDSByteSize: 8192 bytes/workgroup (compile time only)
; SGPRBlocks: 0
; VGPRBlocks: 2
; NumSGPRsForWavesPerEU: 40
; NumVGPRsForWavesPerEU: 41
; NamedBarCnt: 0
; Occupancy: 16
; WaveLimiterHint : 1
; COMPUTE_PGM_RSRC2:SCRATCH_EN: 0
; COMPUTE_PGM_RSRC2:USER_SGPR: 2
; COMPUTE_PGM_RSRC2:TRAP_HANDLER: 0
; COMPUTE_PGM_RSRC2:TGID_X_EN: 1
; COMPUTE_PGM_RSRC2:TGID_Y_EN: 0
; COMPUTE_PGM_RSRC2:TGID_Z_EN: 1
; COMPUTE_PGM_RSRC2:TIDIG_COMP_CNT: 1
	.section	.text._ZL23rocblas_trmm_lTx_kernelILi32ELb1EffKPKfKPfEv13rocblas_fill_17rocblas_diagonal_iiT2_lPT3_llS9_llPT4_lli,"axG",@progbits,_ZL23rocblas_trmm_lTx_kernelILi32ELb1EffKPKfKPfEv13rocblas_fill_17rocblas_diagonal_iiT2_lPT3_llS9_llPT4_lli,comdat
	.globl	_ZL23rocblas_trmm_lTx_kernelILi32ELb1EffKPKfKPfEv13rocblas_fill_17rocblas_diagonal_iiT2_lPT3_llS9_llPT4_lli ; -- Begin function _ZL23rocblas_trmm_lTx_kernelILi32ELb1EffKPKfKPfEv13rocblas_fill_17rocblas_diagonal_iiT2_lPT3_llS9_llPT4_lli
	.p2align	8
	.type	_ZL23rocblas_trmm_lTx_kernelILi32ELb1EffKPKfKPfEv13rocblas_fill_17rocblas_diagonal_iiT2_lPT3_llS9_llPT4_lli,@function
_ZL23rocblas_trmm_lTx_kernelILi32ELb1EffKPKfKPfEv13rocblas_fill_17rocblas_diagonal_iiT2_lPT3_llS9_llPT4_lli: ; @_ZL23rocblas_trmm_lTx_kernelILi32ELb1EffKPKfKPfEv13rocblas_fill_17rocblas_diagonal_iiT2_lPT3_llS9_llPT4_lli
; %bb.0:
	s_load_b32 s30, s[0:1], 0x68
	s_bfe_u32 s2, ttmp6, 0x40014
	s_lshr_b32 s3, ttmp7, 16
	s_add_co_i32 s2, s2, 1
	s_bfe_u32 s5, ttmp6, 0x40008
	s_mul_i32 s4, s3, s2
	s_getreg_b32 s2, hwreg(HW_REG_IB_STS2, 6, 4)
	s_add_co_i32 s5, s5, s4
	s_cmp_eq_u32 s2, 0
	s_cselect_b32 s31, s3, s5
	s_wait_kmcnt 0x0
	s_cmp_ge_u32 s31, s30
	s_cbranch_scc1 .LBB149_19
; %bb.1:
	s_clause 0x2
	s_load_b32 s33, s[0:1], 0x10
	s_load_b512 s[8:23], s[0:1], 0x20
	s_load_b128 s[24:27], s[0:1], 0x0
	v_bfe_u32 v2, v0, 10, 10
	v_dual_mov_b32 v3, 0 :: v_dual_mov_b32 v14, 1.0
	v_and_b32_e32 v8, 0x3ff, v0
	s_load_b64 s[28:29], s[0:1], 0x60
	s_delay_alu instid0(VALU_DEP_3) | instskip(SKIP_1) | instid1(VALU_DEP_3)
	v_dual_lshlrev_b32 v9, 2, v2 :: v_dual_lshlrev_b32 v10, 5, v2
	v_lshl_add_u32 v16, v2, 7, 0x1000
	v_dual_lshlrev_b32 v11, 7, v8 :: v_dual_lshlrev_b32 v15, 2, v8
	v_cmp_eq_u32_e32 vcc_lo, v2, v8
	s_delay_alu instid0(VALU_DEP_4)
	v_add_lshl_u32 v17, v10, v8, 2
	s_wait_xcnt 0x0
	v_cmp_lt_u32_e64 s0, v8, v2
	v_cmp_gt_u32_e64 s1, v8, v2
	v_add_nc_u32_e32 v18, v9, v11
	v_add_nc_u32_e32 v20, 0x400, v15
	;; [unrolled: 1-line block ×3, first 2 shown]
	s_wait_kmcnt 0x0
	s_cmp_neq_f32 s33, 0
	v_mul_u64_e32 v[0:1], s[10:11], v[2:3]
	v_mul_u64_e32 v[4:5], s[16:17], v[2:3]
	;; [unrolled: 1-line block ×3, first 2 shown]
	s_cselect_b32 s34, -1, 0
	s_add_co_i32 s3, s27, -1
	s_bfe_u32 s5, ttmp6, 0x4000c
	s_ashr_i32 s6, s3, 31
	s_add_co_i32 s5, s5, 1
	s_lshr_b32 s6, s6, 27
	s_and_b32 s4, ttmp6, 15
	s_mul_i32 s5, ttmp9, s5
	s_add_co_i32 s3, s3, s6
	s_add_co_i32 s4, s4, s5
	s_and_b32 s5, s3, 0xffffffe0
	s_ashr_i32 s3, s3, 5
	s_sub_co_i32 s5, s27, s5
	s_cmp_eq_u32 s2, 0
	v_cmp_gt_i32_e64 s2, s26, v2
	s_cselect_b32 s6, ttmp9, s4
	v_add_nc_u32_e32 v21, 0x800, v15
	s_cmp_ge_i32 s6, s3
	v_cmp_gt_i32_e64 s3, s26, v8
	s_cselect_b32 s4, s5, 32
	s_lshl_b32 s6, s6, 5
	v_cmp_gt_i32_e64 s4, s4, v2
	s_ashr_i32 s7, s6, 31
	s_and_b32 s26, s2, s3
	s_mul_u64 s[10:11], s[16:17], s[6:7]
	v_lshlrev_b32_e32 v2, 2, v8
	s_and_b32 s27, s3, s4
	s_cmp_eq_u32 s25, 0x84
	v_add_nc_u32_e32 v22, 0xc00, v15
	s_cselect_b32 s2, -1, 0
	s_mul_u64 s[22:23], s[22:23], s[6:7]
	s_and_b32 s16, vcc_lo, s2
	s_cmp_lg_u32 s24, 0x7a
	s_cselect_b32 s17, -1, 0
	s_lshl_b64 s[2:3], s[12:13], 2
	s_lshl_b64 s[4:5], s[18:19], 2
	;; [unrolled: 1-line block ×5, first 2 shown]
	s_branch .LBB149_4
.LBB149_2:                              ;   in Loop: Header=BB149_4 Depth=1
	s_wait_xcnt 0x0
	s_or_b32 exec_lo, exec_lo, s18
.LBB149_3:                              ;   in Loop: Header=BB149_4 Depth=1
	s_add_co_i32 s31, s31, 0x10000
	s_delay_alu instid0(SALU_CYCLE_1)
	s_cmp_lt_u32 s31, s30
	s_cbranch_scc0 .LBB149_19
.LBB149_4:                              ; =>This Inner Loop Header: Depth=1
	s_and_not1_b32 vcc_lo, exec_lo, s34
	s_cbranch_vccnz .LBB149_3
; %bb.5:                                ;   in Loop: Header=BB149_4 Depth=1
	v_mov_b32_e32 v23, s31
	s_clause 0x2
	global_load_b64 v[12:13], v23, s[8:9] scale_offset
	global_load_b64 v[10:11], v23, s[14:15] scale_offset
	;; [unrolled: 1-line block ×3, first 2 shown]
	ds_store_b32 v17, v3
	ds_store_b32 v19, v3
	s_wait_loadcnt_dscnt 0x0
	s_barrier_signal -1
	s_barrier_wait -1
	s_wait_xcnt 0x0
	s_and_saveexec_b32 s18, s26
	s_cbranch_execnz .LBB149_11
; %bb.6:                                ;   in Loop: Header=BB149_4 Depth=1
	s_or_b32 exec_lo, exec_lo, s18
	s_and_saveexec_b32 s18, s27
	s_cbranch_execnz .LBB149_12
.LBB149_7:                              ;   in Loop: Header=BB149_4 Depth=1
	s_or_b32 exec_lo, exec_lo, s18
	s_and_saveexec_b32 s18, s16
.LBB149_8:                              ;   in Loop: Header=BB149_4 Depth=1
	ds_store_b32 v17, v14
.LBB149_9:                              ;   in Loop: Header=BB149_4 Depth=1
	s_or_b32 exec_lo, exec_lo, s18
	s_delay_alu instid0(SALU_CYCLE_1)
	s_and_b32 vcc_lo, exec_lo, s17
	s_wait_dscnt 0x0
	s_barrier_signal -1
	s_barrier_wait -1
	s_cbranch_vccz .LBB149_13
; %bb.10:                               ;   in Loop: Header=BB149_4 Depth=1
	s_and_b32 s18, s0, exec_lo
	s_cbranch_execz .LBB149_14
	s_branch .LBB149_15
.LBB149_11:                             ;   in Loop: Header=BB149_4 Depth=1
	v_add_nc_u64_e32 v[12:13], s[2:3], v[12:13]
	s_delay_alu instid0(VALU_DEP_1) | instskip(NEXT) | instid1(VALU_DEP_1)
	v_lshl_add_u64 v[12:13], v[0:1], 2, v[12:13]
	v_add_nc_u64_e32 v[12:13], v[12:13], v[2:3]
	flat_load_b32 v12, v[12:13]
	s_wait_loadcnt_dscnt 0x0
	ds_store_b32 v18, v12
	s_wait_xcnt 0x0
	s_or_b32 exec_lo, exec_lo, s18
	s_and_saveexec_b32 s18, s27
	s_cbranch_execz .LBB149_7
.LBB149_12:                             ;   in Loop: Header=BB149_4 Depth=1
	v_add_nc_u64_e32 v[10:11], s[4:5], v[10:11]
	s_delay_alu instid0(VALU_DEP_1) | instskip(NEXT) | instid1(VALU_DEP_1)
	v_add_nc_u64_e32 v[10:11], s[6:7], v[10:11]
	v_lshl_add_u64 v[10:11], v[4:5], 2, v[10:11]
	s_delay_alu instid0(VALU_DEP_1)
	v_add_nc_u64_e32 v[10:11], v[10:11], v[2:3]
	flat_load_b32 v10, v[10:11]
	s_wait_loadcnt_dscnt 0x0
	ds_store_b32 v19, v10
	s_wait_xcnt 0x0
	s_or_b32 exec_lo, exec_lo, s18
	s_and_saveexec_b32 s18, s16
	s_cbranch_execnz .LBB149_8
	s_branch .LBB149_9
.LBB149_13:                             ;   in Loop: Header=BB149_4 Depth=1
	s_mov_b32 s18, 0
.LBB149_14:                             ;   in Loop: Header=BB149_4 Depth=1
	s_delay_alu instid0(SALU_CYCLE_1) | instskip(SKIP_1) | instid1(SALU_CYCLE_1)
	s_and_not1_b32 s18, s18, exec_lo
	s_and_b32 s19, s1, exec_lo
	s_or_b32 s18, s18, s19
.LBB149_15:                             ;   in Loop: Header=BB149_4 Depth=1
	s_delay_alu instid0(SALU_CYCLE_1)
	s_and_saveexec_b32 s19, s18
; %bb.16:                               ;   in Loop: Header=BB149_4 Depth=1
	ds_store_b32 v17, v3
; %bb.17:                               ;   in Loop: Header=BB149_4 Depth=1
	s_or_b32 exec_lo, exec_lo, s19
	s_wait_dscnt 0x0
	s_barrier_signal -1
	s_barrier_wait -1
	s_and_saveexec_b32 s18, s27
	s_cbranch_execz .LBB149_2
; %bb.18:                               ;   in Loop: Header=BB149_4 Depth=1
	ds_load_2addr_b32 v[28:29], v15 offset1:32
	ds_load_b128 v[10:13], v16
	ds_load_2addr_b32 v[30:31], v15 offset0:64 offset1:96
	ds_load_b128 v[24:27], v16 offset:16
	ds_load_2addr_b32 v[32:33], v15 offset0:128 offset1:160
	v_add_nc_u64_e32 v[8:9], s[10:11], v[8:9]
	s_delay_alu instid0(VALU_DEP_1) | instskip(NEXT) | instid1(VALU_DEP_1)
	v_add_nc_u64_e32 v[8:9], s[12:13], v[8:9]
	v_lshl_add_u64 v[8:9], v[6:7], 2, v[8:9]
	s_wait_dscnt 0x3
	v_fma_f32 v23, v28, v10, 0
	s_delay_alu instid0(VALU_DEP_2) | instskip(NEXT) | instid1(VALU_DEP_2)
	v_add_nc_u64_e32 v[8:9], v[8:9], v[2:3]
	v_fmac_f32_e32 v23, v29, v11
	ds_load_2addr_b32 v[28:29], v15 offset0:192 offset1:224
	s_wait_dscnt 0x3
	v_fmac_f32_e32 v23, v30, v12
	s_delay_alu instid0(VALU_DEP_1) | instskip(SKIP_4) | instid1(VALU_DEP_1)
	v_fmac_f32_e32 v23, v31, v13
	ds_load_b128 v[10:13], v16 offset:32
	ds_load_2addr_b32 v[30:31], v20 offset1:32
	s_wait_dscnt 0x3
	v_fmac_f32_e32 v23, v32, v24
	v_fmac_f32_e32 v23, v33, v25
	ds_load_2addr_b32 v[32:33], v20 offset0:64 offset1:96
	s_wait_dscnt 0x3
	v_fmac_f32_e32 v23, v28, v26
	s_delay_alu instid0(VALU_DEP_1)
	v_fmac_f32_e32 v23, v29, v27
	ds_load_b128 v[24:27], v16 offset:48
	ds_load_2addr_b32 v[28:29], v20 offset0:128 offset1:160
	ds_load_2addr_b32 v[34:35], v20 offset0:192 offset1:224
	s_wait_dscnt 0x4
	v_fmac_f32_e32 v23, v30, v10
	s_delay_alu instid0(VALU_DEP_1) | instskip(SKIP_1) | instid1(VALU_DEP_1)
	v_fmac_f32_e32 v23, v31, v11
	s_wait_dscnt 0x3
	v_fmac_f32_e32 v23, v32, v12
	s_delay_alu instid0(VALU_DEP_1)
	v_fmac_f32_e32 v23, v33, v13
	ds_load_2addr_b32 v[32:33], v21 offset1:32
	ds_load_b128 v[10:13], v16 offset:64
	ds_load_2addr_b32 v[36:37], v21 offset0:64 offset1:96
	s_wait_dscnt 0x4
	v_fmac_f32_e32 v23, v28, v24
	s_delay_alu instid0(VALU_DEP_1) | instskip(SKIP_4) | instid1(VALU_DEP_1)
	v_fmac_f32_e32 v23, v29, v25
	ds_load_2addr_b32 v[38:39], v21 offset0:128 offset1:160
	ds_load_b128 v[28:31], v16 offset:80
	s_wait_dscnt 0x5
	v_fmac_f32_e32 v23, v34, v26
	v_fmac_f32_e32 v23, v35, v27
	ds_load_2addr_b32 v[34:35], v21 offset0:192 offset1:224
	s_wait_dscnt 0x4
	v_fmac_f32_e32 v23, v32, v10
	s_delay_alu instid0(VALU_DEP_1)
	v_fmac_f32_e32 v23, v33, v11
	ds_load_2addr_b32 v[32:33], v22 offset1:32
	ds_load_b128 v[24:27], v16 offset:96
	s_wait_dscnt 0x3
	v_pk_mul_f32 v[10:11], v[38:39], v[28:29]
	ds_load_2addr_b32 v[28:29], v22 offset0:64 offset1:96
	v_fmac_f32_e32 v23, v36, v12
	s_delay_alu instid0(VALU_DEP_1) | instskip(SKIP_2) | instid1(VALU_DEP_2)
	v_fmac_f32_e32 v23, v37, v13
	s_wait_dscnt 0x3
	v_pk_mul_f32 v[30:31], v[34:35], v[30:31]
	v_add_f32_e32 v10, v23, v10
	s_delay_alu instid0(VALU_DEP_1)
	v_add_f32_e32 v10, v10, v11
	s_wait_dscnt 0x1
	v_pk_mul_f32 v[24:25], v[32:33], v[24:25]
	s_wait_dscnt 0x0
	v_pk_mul_f32 v[26:27], v[28:29], v[26:27]
	v_add_f32_e32 v23, v10, v30
	ds_load_2addr_b32 v[34:35], v22 offset0:128 offset1:160
	ds_load_b128 v[10:13], v16 offset:112
	v_add_f32_e32 v23, v23, v31
	s_delay_alu instid0(VALU_DEP_1) | instskip(NEXT) | instid1(VALU_DEP_1)
	v_add_f32_e32 v23, v23, v24
	v_add_f32_e32 v23, v23, v25
	ds_load_2addr_b32 v[24:25], v22 offset0:192 offset1:224
	v_add_f32_e32 v23, v23, v26
	s_wait_dscnt 0x1
	v_pk_mul_f32 v[10:11], v[34:35], v[10:11]
	s_delay_alu instid0(VALU_DEP_2) | instskip(NEXT) | instid1(VALU_DEP_1)
	v_add_f32_e32 v23, v23, v27
	v_add_f32_e32 v10, v23, v10
	s_delay_alu instid0(VALU_DEP_1) | instskip(SKIP_2) | instid1(VALU_DEP_1)
	v_add_f32_e32 v23, v10, v11
	s_wait_dscnt 0x0
	v_pk_mul_f32 v[10:11], v[24:25], v[12:13]
	v_add_f32_e32 v10, v23, v10
	s_delay_alu instid0(VALU_DEP_1) | instskip(NEXT) | instid1(VALU_DEP_1)
	v_add_f32_e32 v10, v10, v11
	v_mul_f32_e32 v10, s33, v10
	flat_store_b32 v[8:9], v10
	s_branch .LBB149_2
.LBB149_19:
	s_endpgm
	.section	.rodata,"a",@progbits
	.p2align	6, 0x0
	.amdhsa_kernel _ZL23rocblas_trmm_lTx_kernelILi32ELb1EffKPKfKPfEv13rocblas_fill_17rocblas_diagonal_iiT2_lPT3_llS9_llPT4_lli
		.amdhsa_group_segment_fixed_size 8192
		.amdhsa_private_segment_fixed_size 0
		.amdhsa_kernarg_size 108
		.amdhsa_user_sgpr_count 2
		.amdhsa_user_sgpr_dispatch_ptr 0
		.amdhsa_user_sgpr_queue_ptr 0
		.amdhsa_user_sgpr_kernarg_segment_ptr 1
		.amdhsa_user_sgpr_dispatch_id 0
		.amdhsa_user_sgpr_kernarg_preload_length 0
		.amdhsa_user_sgpr_kernarg_preload_offset 0
		.amdhsa_user_sgpr_private_segment_size 0
		.amdhsa_wavefront_size32 1
		.amdhsa_uses_dynamic_stack 0
		.amdhsa_enable_private_segment 0
		.amdhsa_system_sgpr_workgroup_id_x 1
		.amdhsa_system_sgpr_workgroup_id_y 0
		.amdhsa_system_sgpr_workgroup_id_z 1
		.amdhsa_system_sgpr_workgroup_info 0
		.amdhsa_system_vgpr_workitem_id 1
		.amdhsa_next_free_vgpr 40
		.amdhsa_next_free_sgpr 35
		.amdhsa_named_barrier_count 0
		.amdhsa_reserve_vcc 1
		.amdhsa_float_round_mode_32 0
		.amdhsa_float_round_mode_16_64 0
		.amdhsa_float_denorm_mode_32 3
		.amdhsa_float_denorm_mode_16_64 3
		.amdhsa_fp16_overflow 0
		.amdhsa_memory_ordered 1
		.amdhsa_forward_progress 1
		.amdhsa_inst_pref_size 11
		.amdhsa_round_robin_scheduling 0
		.amdhsa_exception_fp_ieee_invalid_op 0
		.amdhsa_exception_fp_denorm_src 0
		.amdhsa_exception_fp_ieee_div_zero 0
		.amdhsa_exception_fp_ieee_overflow 0
		.amdhsa_exception_fp_ieee_underflow 0
		.amdhsa_exception_fp_ieee_inexact 0
		.amdhsa_exception_int_div_zero 0
	.end_amdhsa_kernel
	.section	.text._ZL23rocblas_trmm_lTx_kernelILi32ELb1EffKPKfKPfEv13rocblas_fill_17rocblas_diagonal_iiT2_lPT3_llS9_llPT4_lli,"axG",@progbits,_ZL23rocblas_trmm_lTx_kernelILi32ELb1EffKPKfKPfEv13rocblas_fill_17rocblas_diagonal_iiT2_lPT3_llS9_llPT4_lli,comdat
.Lfunc_end149:
	.size	_ZL23rocblas_trmm_lTx_kernelILi32ELb1EffKPKfKPfEv13rocblas_fill_17rocblas_diagonal_iiT2_lPT3_llS9_llPT4_lli, .Lfunc_end149-_ZL23rocblas_trmm_lTx_kernelILi32ELb1EffKPKfKPfEv13rocblas_fill_17rocblas_diagonal_iiT2_lPT3_llS9_llPT4_lli
                                        ; -- End function
	.set _ZL23rocblas_trmm_lTx_kernelILi32ELb1EffKPKfKPfEv13rocblas_fill_17rocblas_diagonal_iiT2_lPT3_llS9_llPT4_lli.num_vgpr, 40
	.set _ZL23rocblas_trmm_lTx_kernelILi32ELb1EffKPKfKPfEv13rocblas_fill_17rocblas_diagonal_iiT2_lPT3_llS9_llPT4_lli.num_agpr, 0
	.set _ZL23rocblas_trmm_lTx_kernelILi32ELb1EffKPKfKPfEv13rocblas_fill_17rocblas_diagonal_iiT2_lPT3_llS9_llPT4_lli.numbered_sgpr, 35
	.set _ZL23rocblas_trmm_lTx_kernelILi32ELb1EffKPKfKPfEv13rocblas_fill_17rocblas_diagonal_iiT2_lPT3_llS9_llPT4_lli.num_named_barrier, 0
	.set _ZL23rocblas_trmm_lTx_kernelILi32ELb1EffKPKfKPfEv13rocblas_fill_17rocblas_diagonal_iiT2_lPT3_llS9_llPT4_lli.private_seg_size, 0
	.set _ZL23rocblas_trmm_lTx_kernelILi32ELb1EffKPKfKPfEv13rocblas_fill_17rocblas_diagonal_iiT2_lPT3_llS9_llPT4_lli.uses_vcc, 1
	.set _ZL23rocblas_trmm_lTx_kernelILi32ELb1EffKPKfKPfEv13rocblas_fill_17rocblas_diagonal_iiT2_lPT3_llS9_llPT4_lli.uses_flat_scratch, 0
	.set _ZL23rocblas_trmm_lTx_kernelILi32ELb1EffKPKfKPfEv13rocblas_fill_17rocblas_diagonal_iiT2_lPT3_llS9_llPT4_lli.has_dyn_sized_stack, 0
	.set _ZL23rocblas_trmm_lTx_kernelILi32ELb1EffKPKfKPfEv13rocblas_fill_17rocblas_diagonal_iiT2_lPT3_llS9_llPT4_lli.has_recursion, 0
	.set _ZL23rocblas_trmm_lTx_kernelILi32ELb1EffKPKfKPfEv13rocblas_fill_17rocblas_diagonal_iiT2_lPT3_llS9_llPT4_lli.has_indirect_call, 0
	.section	.AMDGPU.csdata,"",@progbits
; Kernel info:
; codeLenInByte = 1348
; TotalNumSgprs: 37
; NumVgprs: 40
; ScratchSize: 0
; MemoryBound: 0
; FloatMode: 240
; IeeeMode: 1
; LDSByteSize: 8192 bytes/workgroup (compile time only)
; SGPRBlocks: 0
; VGPRBlocks: 2
; NumSGPRsForWavesPerEU: 37
; NumVGPRsForWavesPerEU: 40
; NamedBarCnt: 0
; Occupancy: 16
; WaveLimiterHint : 1
; COMPUTE_PGM_RSRC2:SCRATCH_EN: 0
; COMPUTE_PGM_RSRC2:USER_SGPR: 2
; COMPUTE_PGM_RSRC2:TRAP_HANDLER: 0
; COMPUTE_PGM_RSRC2:TGID_X_EN: 1
; COMPUTE_PGM_RSRC2:TGID_Y_EN: 0
; COMPUTE_PGM_RSRC2:TGID_Z_EN: 1
; COMPUTE_PGM_RSRC2:TIDIG_COMP_CNT: 1
	.section	.text._ZL23rocblas_trmm_rNx_kernelILi32EfPKfKS1_KPfEv13rocblas_fill_17rocblas_diagonal_iiT1_lPT2_llS9_llPT3_lli,"axG",@progbits,_ZL23rocblas_trmm_rNx_kernelILi32EfPKfKS1_KPfEv13rocblas_fill_17rocblas_diagonal_iiT1_lPT2_llS9_llPT3_lli,comdat
	.globl	_ZL23rocblas_trmm_rNx_kernelILi32EfPKfKS1_KPfEv13rocblas_fill_17rocblas_diagonal_iiT1_lPT2_llS9_llPT3_lli ; -- Begin function _ZL23rocblas_trmm_rNx_kernelILi32EfPKfKS1_KPfEv13rocblas_fill_17rocblas_diagonal_iiT1_lPT2_llS9_llPT3_lli
	.p2align	8
	.type	_ZL23rocblas_trmm_rNx_kernelILi32EfPKfKS1_KPfEv13rocblas_fill_17rocblas_diagonal_iiT1_lPT2_llS9_llPT3_lli,@function
_ZL23rocblas_trmm_rNx_kernelILi32EfPKfKS1_KPfEv13rocblas_fill_17rocblas_diagonal_iiT1_lPT2_llS9_llPT3_lli: ; @_ZL23rocblas_trmm_rNx_kernelILi32EfPKfKS1_KPfEv13rocblas_fill_17rocblas_diagonal_iiT1_lPT2_llS9_llPT3_lli
; %bb.0:
	s_load_b32 s33, s[0:1], 0x68
	s_bfe_u32 s2, ttmp6, 0x40014
	s_lshr_b32 s3, ttmp7, 16
	s_add_co_i32 s2, s2, 1
	s_bfe_u32 s5, ttmp6, 0x40008
	s_mul_i32 s4, s3, s2
	s_getreg_b32 s2, hwreg(HW_REG_IB_STS2, 6, 4)
	s_add_co_i32 s5, s5, s4
	s_cmp_eq_u32 s2, 0
	s_mov_b32 s7, 0
	s_cselect_b32 s6, s3, s5
	s_wait_kmcnt 0x0
	s_cmp_ge_u32 s6, s33
	s_cbranch_scc1 .LBB150_19
; %bb.1:
	s_clause 0x3
	s_load_b128 s[28:31], s[0:1], 0x0
	s_load_b512 s[8:23], s[0:1], 0x10
	s_load_b64 s[34:35], s[0:1], 0x60
	s_load_b128 s[24:27], s[0:1], 0x50
	v_bfe_u32 v2, v0, 10, 10
	v_dual_mov_b32 v3, 0 :: v_dual_mov_b32 v12, 1.0
	s_wait_xcnt 0x0
	s_bfe_u32 s0, ttmp6, 0x4000c
	v_and_b32_e32 v8, 0x3ff, v0
	s_add_co_i32 s0, s0, 1
	s_and_b32 s3, ttmp6, 15
	s_mul_i32 s4, ttmp9, s0
	v_dual_lshlrev_b32 v9, 5, v2 :: v_dual_lshlrev_b32 v14, 7, v2
	s_add_co_i32 s3, s3, s4
	v_cmp_eq_u32_e32 vcc_lo, v2, v8
	v_lshl_add_u32 v13, v8, 2, 0x1000
	s_delay_alu instid0(VALU_DEP_3)
	v_add_lshl_u32 v15, v9, v8, 2
	v_cmp_lt_u32_e64 s0, v8, v2
	v_cmp_gt_u32_e64 s1, v8, v2
	s_wait_kmcnt 0x0
	s_add_co_i32 s5, s30, -1
	v_mul_u64_e32 v[0:1], s[14:15], v[2:3]
	s_ashr_i32 s14, s5, 31
	v_mul_u64_e32 v[4:5], s[20:21], v[2:3]
	v_mul_u64_e32 v[6:7], s[26:27], v[2:3]
	s_lshr_b32 s14, s14, 27
	v_add_nc_u32_e32 v16, 0x400, v13
	s_add_co_i32 s5, s5, s14
	v_add_nc_u32_e32 v17, 0x800, v13
	s_and_b32 s4, s5, 0xffffffe0
	s_ashr_i32 s5, s5, 5
	s_sub_co_i32 s4, s30, s4
	s_cmp_eq_u32 s2, 0
	v_cmp_gt_i32_e64 s2, s31, v2
	s_cselect_b32 s14, ttmp9, s3
	v_cmp_gt_i32_e64 s3, s31, v8
	s_cmp_ge_i32 s14, s5
	v_add_nc_u32_e32 v18, 0xc00, v13
	s_cselect_b32 s4, s4, 32
	s_lshl_b32 s14, s14, 5
	v_cmp_gt_i32_e64 s4, s4, v8
	s_and_b32 s26, s2, s3
	s_ashr_i32 s15, s14, 31
	v_add_nc_u32_e32 v19, 0x1000, v15
	v_lshlrev_b32_e32 v2, 2, v8
	s_and_b32 s27, s2, s4
	s_cmp_eq_u32 s29, 0x84
	s_cselect_b32 s2, -1, 0
	s_delay_alu instid0(SALU_CYCLE_1)
	s_and_b32 s29, vcc_lo, s2
	s_cmp_lg_u32 s28, 0x79
	s_cselect_b32 s28, -1, 0
	s_lshl_b64 s[2:3], s[16:17], 2
	s_lshl_b64 s[4:5], s[22:23], 2
	;; [unrolled: 1-line block ×4, first 2 shown]
	s_branch .LBB150_4
.LBB150_2:                              ;   in Loop: Header=BB150_4 Depth=1
	s_wait_xcnt 0x0
	s_or_b32 exec_lo, exec_lo, s20
.LBB150_3:                              ;   in Loop: Header=BB150_4 Depth=1
	s_add_co_i32 s6, s6, 0x10000
	s_delay_alu instid0(SALU_CYCLE_1)
	s_cmp_lt_u32 s6, s33
	s_cbranch_scc0 .LBB150_19
.LBB150_4:                              ; =>This Inner Loop Header: Depth=1
	s_wait_xcnt 0x0
	s_mul_u64 s[20:21], s[10:11], s[6:7]
	s_delay_alu instid0(SALU_CYCLE_1) | instskip(NEXT) | instid1(SALU_CYCLE_1)
	s_lshl_b64 s[20:21], s[20:21], 2
	s_add_nc_u64 s[20:21], s[8:9], s[20:21]
	global_load_b32 v20, v3, s[20:21]
	s_wait_loadcnt 0x0
	v_cmp_eq_f32_e32 vcc_lo, 0, v20
	s_cbranch_vccnz .LBB150_3
; %bb.5:                                ;   in Loop: Header=BB150_4 Depth=1
	s_wait_xcnt 0x0
	s_lshl_b64 s[20:21], s[6:7], 3
	s_delay_alu instid0(SALU_CYCLE_1)
	s_add_nc_u64 s[22:23], s[18:19], s[20:21]
	s_add_nc_u64 s[30:31], s[24:25], s[20:21]
	s_clause 0x1
	global_load_b64 v[10:11], v3, s[22:23]
	global_load_b64 v[8:9], v3, s[30:31]
	ds_store_b32 v15, v3
	ds_store_b32 v19, v3
	s_wait_xcnt 0x0
	s_and_saveexec_b32 s22, s26
	s_cbranch_execnz .LBB150_10
; %bb.6:                                ;   in Loop: Header=BB150_4 Depth=1
	s_or_b32 exec_lo, exec_lo, s22
	s_and_saveexec_b32 s20, s27
	s_cbranch_execnz .LBB150_11
.LBB150_7:                              ;   in Loop: Header=BB150_4 Depth=1
	s_or_b32 exec_lo, exec_lo, s20
	s_and_saveexec_b32 s20, s29
	s_cbranch_execnz .LBB150_12
.LBB150_8:                              ;   in Loop: Header=BB150_4 Depth=1
	s_or_b32 exec_lo, exec_lo, s20
	s_delay_alu instid0(SALU_CYCLE_1)
	s_and_b32 vcc_lo, exec_lo, s28
	s_cbranch_vccz .LBB150_13
.LBB150_9:                              ;   in Loop: Header=BB150_4 Depth=1
	s_and_b32 s20, s0, exec_lo
	s_cbranch_execz .LBB150_14
	s_branch .LBB150_15
.LBB150_10:                             ;   in Loop: Header=BB150_4 Depth=1
	s_add_nc_u64 s[20:21], s[12:13], s[20:21]
	global_load_b64 v[22:23], v3, s[20:21]
	s_wait_loadcnt 0x0
	v_add_nc_u64_e32 v[22:23], s[2:3], v[22:23]
	s_delay_alu instid0(VALU_DEP_1) | instskip(NEXT) | instid1(VALU_DEP_1)
	v_lshl_add_u64 v[22:23], v[0:1], 2, v[22:23]
	v_add_nc_u64_e32 v[22:23], v[22:23], v[2:3]
	flat_load_b32 v21, v[22:23]
	s_wait_loadcnt_dscnt 0x0
	ds_store_b32 v15, v21
	s_wait_xcnt 0x0
	s_or_b32 exec_lo, exec_lo, s22
	s_and_saveexec_b32 s20, s27
	s_cbranch_execz .LBB150_7
.LBB150_11:                             ;   in Loop: Header=BB150_4 Depth=1
	s_wait_loadcnt 0x1
	v_add_nc_u64_e32 v[10:11], s[4:5], v[10:11]
	s_delay_alu instid0(VALU_DEP_1) | instskip(NEXT) | instid1(VALU_DEP_1)
	v_add_nc_u64_e32 v[10:11], s[14:15], v[10:11]
	v_lshl_add_u64 v[10:11], v[4:5], 2, v[10:11]
	s_delay_alu instid0(VALU_DEP_1)
	v_add_nc_u64_e32 v[10:11], v[10:11], v[2:3]
	flat_load_b32 v10, v[10:11]
	s_wait_loadcnt_dscnt 0x0
	ds_store_b32 v19, v10
	s_wait_xcnt 0x0
	s_or_b32 exec_lo, exec_lo, s20
	s_and_saveexec_b32 s20, s29
	s_cbranch_execz .LBB150_8
.LBB150_12:                             ;   in Loop: Header=BB150_4 Depth=1
	ds_store_b32 v15, v12
	s_or_b32 exec_lo, exec_lo, s20
	s_delay_alu instid0(SALU_CYCLE_1)
	s_and_b32 vcc_lo, exec_lo, s28
	s_cbranch_vccnz .LBB150_9
.LBB150_13:                             ;   in Loop: Header=BB150_4 Depth=1
	s_mov_b32 s20, 0
.LBB150_14:                             ;   in Loop: Header=BB150_4 Depth=1
	s_delay_alu instid0(SALU_CYCLE_1) | instskip(SKIP_1) | instid1(SALU_CYCLE_1)
	s_and_not1_b32 s20, s20, exec_lo
	s_and_b32 s21, s1, exec_lo
	s_or_b32 s20, s20, s21
.LBB150_15:                             ;   in Loop: Header=BB150_4 Depth=1
	s_delay_alu instid0(SALU_CYCLE_1)
	s_and_saveexec_b32 s21, s20
; %bb.16:                               ;   in Loop: Header=BB150_4 Depth=1
	ds_store_b32 v15, v3
; %bb.17:                               ;   in Loop: Header=BB150_4 Depth=1
	s_or_b32 exec_lo, exec_lo, s21
	s_wait_loadcnt_dscnt 0x0
	s_barrier_signal -1
	s_barrier_wait -1
	s_and_saveexec_b32 s20, s27
	s_cbranch_execz .LBB150_2
; %bb.18:                               ;   in Loop: Header=BB150_4 Depth=1
	ds_load_2addr_b32 v[10:11], v13 offset1:32
	ds_load_b128 v[22:25], v14
	ds_load_2addr_b32 v[30:31], v13 offset0:64 offset1:96
	ds_load_b128 v[26:29], v14 offset:16
	ds_load_2addr_b32 v[32:33], v13 offset0:128 offset1:160
	v_add_nc_u64_e32 v[8:9], s[16:17], v[8:9]
	s_delay_alu instid0(VALU_DEP_1) | instskip(NEXT) | instid1(VALU_DEP_1)
	v_add_nc_u64_e32 v[8:9], s[14:15], v[8:9]
	v_lshl_add_u64 v[8:9], v[6:7], 2, v[8:9]
	s_wait_dscnt 0x3
	v_fma_f32 v21, v10, v22, 0
	s_delay_alu instid0(VALU_DEP_2) | instskip(NEXT) | instid1(VALU_DEP_2)
	v_add_nc_u64_e32 v[8:9], v[8:9], v[2:3]
	v_fmac_f32_e32 v21, v11, v23
	ds_load_2addr_b32 v[10:11], v13 offset0:192 offset1:224
	s_wait_dscnt 0x3
	v_fmac_f32_e32 v21, v30, v24
	s_delay_alu instid0(VALU_DEP_1) | instskip(SKIP_4) | instid1(VALU_DEP_1)
	v_fmac_f32_e32 v21, v31, v25
	ds_load_b128 v[22:25], v14 offset:32
	ds_load_2addr_b32 v[30:31], v16 offset1:32
	s_wait_dscnt 0x3
	v_fmac_f32_e32 v21, v32, v26
	v_fmac_f32_e32 v21, v33, v27
	ds_load_2addr_b32 v[32:33], v16 offset0:64 offset1:96
	s_wait_dscnt 0x3
	v_fmac_f32_e32 v21, v10, v28
	s_delay_alu instid0(VALU_DEP_1)
	v_fmac_f32_e32 v21, v11, v29
	ds_load_b128 v[26:29], v14 offset:48
	ds_load_2addr_b32 v[10:11], v16 offset0:128 offset1:160
	ds_load_2addr_b32 v[34:35], v16 offset0:192 offset1:224
	s_wait_dscnt 0x4
	v_fmac_f32_e32 v21, v30, v22
	s_delay_alu instid0(VALU_DEP_1) | instskip(SKIP_1) | instid1(VALU_DEP_1)
	v_fmac_f32_e32 v21, v31, v23
	s_wait_dscnt 0x3
	v_fmac_f32_e32 v21, v32, v24
	s_delay_alu instid0(VALU_DEP_1) | instskip(SKIP_4) | instid1(VALU_DEP_1)
	v_fmac_f32_e32 v21, v33, v25
	ds_load_2addr_b32 v[36:37], v17 offset1:32
	ds_load_b128 v[22:25], v14 offset:64
	s_wait_dscnt 0x3
	v_fmac_f32_e32 v21, v10, v26
	v_fmac_f32_e32 v21, v11, v27
	ds_load_2addr_b32 v[10:11], v17 offset0:64 offset1:96
	ds_load_2addr_b32 v[38:39], v17 offset0:128 offset1:160
	ds_load_b128 v[30:33], v14 offset:80
	s_wait_dscnt 0x5
	v_fmac_f32_e32 v21, v34, v28
	s_delay_alu instid0(VALU_DEP_1) | instskip(SKIP_3) | instid1(VALU_DEP_1)
	v_fmac_f32_e32 v21, v35, v29
	ds_load_2addr_b32 v[34:35], v17 offset0:192 offset1:224
	s_wait_dscnt 0x4
	v_fmac_f32_e32 v21, v36, v22
	v_fmac_f32_e32 v21, v37, v23
	ds_load_2addr_b32 v[36:37], v18 offset1:32
	ds_load_b128 v[26:29], v14 offset:96
	s_wait_dscnt 0x3
	v_pk_mul_f32 v[22:23], v[38:39], v[30:31]
	v_fmac_f32_e32 v21, v10, v24
	s_delay_alu instid0(VALU_DEP_1) | instskip(SKIP_4) | instid1(VALU_DEP_1)
	v_fmac_f32_e32 v21, v11, v25
	ds_load_2addr_b32 v[10:11], v18 offset0:64 offset1:96
	s_wait_dscnt 0x3
	v_pk_mul_f32 v[30:31], v[34:35], v[32:33]
	v_add_f32_e32 v21, v21, v22
	v_add_f32_e32 v21, v21, v23
	ds_load_2addr_b32 v[32:33], v18 offset0:128 offset1:160
	ds_load_b128 v[22:25], v14 offset:112
	s_wait_dscnt 0x3
	v_pk_mul_f32 v[26:27], v[36:37], v[26:27]
	v_add_f32_e32 v21, v21, v30
	s_delay_alu instid0(VALU_DEP_1) | instskip(SKIP_2) | instid1(VALU_DEP_2)
	v_add_f32_e32 v21, v21, v31
	s_wait_dscnt 0x2
	v_pk_mul_f32 v[10:11], v[10:11], v[28:29]
	v_add_f32_e32 v21, v21, v26
	s_delay_alu instid0(VALU_DEP_1) | instskip(SKIP_4) | instid1(VALU_DEP_1)
	v_add_f32_e32 v21, v21, v27
	ds_load_2addr_b32 v[26:27], v18 offset0:192 offset1:224
	s_wait_dscnt 0x1
	v_pk_mul_f32 v[22:23], v[32:33], v[22:23]
	v_add_f32_e32 v10, v21, v10
	v_add_f32_e32 v10, v10, v11
	s_delay_alu instid0(VALU_DEP_1) | instskip(NEXT) | instid1(VALU_DEP_1)
	v_add_f32_e32 v10, v10, v22
	v_add_f32_e32 v21, v10, v23
	s_wait_dscnt 0x0
	v_pk_mul_f32 v[10:11], v[26:27], v[24:25]
	s_delay_alu instid0(VALU_DEP_1) | instskip(NEXT) | instid1(VALU_DEP_1)
	v_add_f32_e32 v10, v21, v10
	v_add_f32_e32 v10, v10, v11
	s_delay_alu instid0(VALU_DEP_1)
	v_mul_f32_e32 v10, v20, v10
	flat_store_b32 v[8:9], v10
	s_branch .LBB150_2
.LBB150_19:
	s_endpgm
	.section	.rodata,"a",@progbits
	.p2align	6, 0x0
	.amdhsa_kernel _ZL23rocblas_trmm_rNx_kernelILi32EfPKfKS1_KPfEv13rocblas_fill_17rocblas_diagonal_iiT1_lPT2_llS9_llPT3_lli
		.amdhsa_group_segment_fixed_size 8192
		.amdhsa_private_segment_fixed_size 0
		.amdhsa_kernarg_size 108
		.amdhsa_user_sgpr_count 2
		.amdhsa_user_sgpr_dispatch_ptr 0
		.amdhsa_user_sgpr_queue_ptr 0
		.amdhsa_user_sgpr_kernarg_segment_ptr 1
		.amdhsa_user_sgpr_dispatch_id 0
		.amdhsa_user_sgpr_kernarg_preload_length 0
		.amdhsa_user_sgpr_kernarg_preload_offset 0
		.amdhsa_user_sgpr_private_segment_size 0
		.amdhsa_wavefront_size32 1
		.amdhsa_uses_dynamic_stack 0
		.amdhsa_enable_private_segment 0
		.amdhsa_system_sgpr_workgroup_id_x 1
		.amdhsa_system_sgpr_workgroup_id_y 0
		.amdhsa_system_sgpr_workgroup_id_z 1
		.amdhsa_system_sgpr_workgroup_info 0
		.amdhsa_system_vgpr_workitem_id 1
		.amdhsa_next_free_vgpr 40
		.amdhsa_next_free_sgpr 36
		.amdhsa_named_barrier_count 0
		.amdhsa_reserve_vcc 1
		.amdhsa_float_round_mode_32 0
		.amdhsa_float_round_mode_16_64 0
		.amdhsa_float_denorm_mode_32 3
		.amdhsa_float_denorm_mode_16_64 3
		.amdhsa_fp16_overflow 0
		.amdhsa_memory_ordered 1
		.amdhsa_forward_progress 1
		.amdhsa_inst_pref_size 11
		.amdhsa_round_robin_scheduling 0
		.amdhsa_exception_fp_ieee_invalid_op 0
		.amdhsa_exception_fp_denorm_src 0
		.amdhsa_exception_fp_ieee_div_zero 0
		.amdhsa_exception_fp_ieee_overflow 0
		.amdhsa_exception_fp_ieee_underflow 0
		.amdhsa_exception_fp_ieee_inexact 0
		.amdhsa_exception_int_div_zero 0
	.end_amdhsa_kernel
	.section	.text._ZL23rocblas_trmm_rNx_kernelILi32EfPKfKS1_KPfEv13rocblas_fill_17rocblas_diagonal_iiT1_lPT2_llS9_llPT3_lli,"axG",@progbits,_ZL23rocblas_trmm_rNx_kernelILi32EfPKfKS1_KPfEv13rocblas_fill_17rocblas_diagonal_iiT1_lPT2_llS9_llPT3_lli,comdat
.Lfunc_end150:
	.size	_ZL23rocblas_trmm_rNx_kernelILi32EfPKfKS1_KPfEv13rocblas_fill_17rocblas_diagonal_iiT1_lPT2_llS9_llPT3_lli, .Lfunc_end150-_ZL23rocblas_trmm_rNx_kernelILi32EfPKfKS1_KPfEv13rocblas_fill_17rocblas_diagonal_iiT1_lPT2_llS9_llPT3_lli
                                        ; -- End function
	.set _ZL23rocblas_trmm_rNx_kernelILi32EfPKfKS1_KPfEv13rocblas_fill_17rocblas_diagonal_iiT1_lPT2_llS9_llPT3_lli.num_vgpr, 40
	.set _ZL23rocblas_trmm_rNx_kernelILi32EfPKfKS1_KPfEv13rocblas_fill_17rocblas_diagonal_iiT1_lPT2_llS9_llPT3_lli.num_agpr, 0
	.set _ZL23rocblas_trmm_rNx_kernelILi32EfPKfKS1_KPfEv13rocblas_fill_17rocblas_diagonal_iiT1_lPT2_llS9_llPT3_lli.numbered_sgpr, 36
	.set _ZL23rocblas_trmm_rNx_kernelILi32EfPKfKS1_KPfEv13rocblas_fill_17rocblas_diagonal_iiT1_lPT2_llS9_llPT3_lli.num_named_barrier, 0
	.set _ZL23rocblas_trmm_rNx_kernelILi32EfPKfKS1_KPfEv13rocblas_fill_17rocblas_diagonal_iiT1_lPT2_llS9_llPT3_lli.private_seg_size, 0
	.set _ZL23rocblas_trmm_rNx_kernelILi32EfPKfKS1_KPfEv13rocblas_fill_17rocblas_diagonal_iiT1_lPT2_llS9_llPT3_lli.uses_vcc, 1
	.set _ZL23rocblas_trmm_rNx_kernelILi32EfPKfKS1_KPfEv13rocblas_fill_17rocblas_diagonal_iiT1_lPT2_llS9_llPT3_lli.uses_flat_scratch, 0
	.set _ZL23rocblas_trmm_rNx_kernelILi32EfPKfKS1_KPfEv13rocblas_fill_17rocblas_diagonal_iiT1_lPT2_llS9_llPT3_lli.has_dyn_sized_stack, 0
	.set _ZL23rocblas_trmm_rNx_kernelILi32EfPKfKS1_KPfEv13rocblas_fill_17rocblas_diagonal_iiT1_lPT2_llS9_llPT3_lli.has_recursion, 0
	.set _ZL23rocblas_trmm_rNx_kernelILi32EfPKfKS1_KPfEv13rocblas_fill_17rocblas_diagonal_iiT1_lPT2_llS9_llPT3_lli.has_indirect_call, 0
	.section	.AMDGPU.csdata,"",@progbits
; Kernel info:
; codeLenInByte = 1368
; TotalNumSgprs: 38
; NumVgprs: 40
; ScratchSize: 0
; MemoryBound: 0
; FloatMode: 240
; IeeeMode: 1
; LDSByteSize: 8192 bytes/workgroup (compile time only)
; SGPRBlocks: 0
; VGPRBlocks: 2
; NumSGPRsForWavesPerEU: 38
; NumVGPRsForWavesPerEU: 40
; NamedBarCnt: 0
; Occupancy: 16
; WaveLimiterHint : 1
; COMPUTE_PGM_RSRC2:SCRATCH_EN: 0
; COMPUTE_PGM_RSRC2:USER_SGPR: 2
; COMPUTE_PGM_RSRC2:TRAP_HANDLER: 0
; COMPUTE_PGM_RSRC2:TGID_X_EN: 1
; COMPUTE_PGM_RSRC2:TGID_Y_EN: 0
; COMPUTE_PGM_RSRC2:TGID_Z_EN: 1
; COMPUTE_PGM_RSRC2:TIDIG_COMP_CNT: 1
	.section	.text._ZL23rocblas_trmm_rNx_kernelILi32EffKPKfKPfEv13rocblas_fill_17rocblas_diagonal_iiT1_lPT2_llS9_llPT3_lli,"axG",@progbits,_ZL23rocblas_trmm_rNx_kernelILi32EffKPKfKPfEv13rocblas_fill_17rocblas_diagonal_iiT1_lPT2_llS9_llPT3_lli,comdat
	.globl	_ZL23rocblas_trmm_rNx_kernelILi32EffKPKfKPfEv13rocblas_fill_17rocblas_diagonal_iiT1_lPT2_llS9_llPT3_lli ; -- Begin function _ZL23rocblas_trmm_rNx_kernelILi32EffKPKfKPfEv13rocblas_fill_17rocblas_diagonal_iiT1_lPT2_llS9_llPT3_lli
	.p2align	8
	.type	_ZL23rocblas_trmm_rNx_kernelILi32EffKPKfKPfEv13rocblas_fill_17rocblas_diagonal_iiT1_lPT2_llS9_llPT3_lli,@function
_ZL23rocblas_trmm_rNx_kernelILi32EffKPKfKPfEv13rocblas_fill_17rocblas_diagonal_iiT1_lPT2_llS9_llPT3_lli: ; @_ZL23rocblas_trmm_rNx_kernelILi32EffKPKfKPfEv13rocblas_fill_17rocblas_diagonal_iiT1_lPT2_llS9_llPT3_lli
; %bb.0:
	s_load_b32 s28, s[0:1], 0x68
	s_bfe_u32 s2, ttmp6, 0x40014
	s_lshr_b32 s3, ttmp7, 16
	s_add_co_i32 s2, s2, 1
	s_bfe_u32 s5, ttmp6, 0x40008
	s_mul_i32 s4, s3, s2
	s_getreg_b32 s2, hwreg(HW_REG_IB_STS2, 6, 4)
	s_add_co_i32 s5, s5, s4
	s_cmp_eq_u32 s2, 0
	s_mov_b32 s7, 0
	s_cselect_b32 s6, s3, s5
	s_wait_kmcnt 0x0
	s_cmp_ge_u32 s6, s28
	s_cbranch_scc1 .LBB151_19
; %bb.1:
	s_clause 0x2
	s_load_b32 s29, s[0:1], 0x10
	s_load_b512 s[8:23], s[0:1], 0x20
	s_load_b128 s[24:27], s[0:1], 0x0
	v_bfe_u32 v2, v0, 10, 10
	v_dual_mov_b32 v3, 0 :: v_dual_mov_b32 v12, 1.0
	v_and_b32_e32 v8, 0x3ff, v0
	s_load_b64 s[30:31], s[0:1], 0x60
	s_delay_alu instid0(VALU_DEP_3) | instskip(NEXT) | instid1(VALU_DEP_2)
	v_dual_lshlrev_b32 v0, 5, v2 :: v_dual_lshlrev_b32 v14, 7, v2
	v_cmp_eq_u32_e32 vcc_lo, v2, v8
	v_lshl_add_u32 v13, v8, 2, 0x1000
	s_delay_alu instid0(VALU_DEP_3)
	v_add_lshl_u32 v15, v0, v8, 2
	s_wait_xcnt 0x0
	v_cmp_lt_u32_e64 s0, v8, v2
	v_cmp_gt_u32_e64 s1, v8, v2
	v_add_nc_u32_e32 v16, 0x400, v13
	v_add_nc_u32_e32 v17, 0x800, v13
	;; [unrolled: 1-line block ×3, first 2 shown]
	s_wait_kmcnt 0x0
	s_cmp_neq_f32 s29, 0
	v_mul_u64_e32 v[4:5], s[16:17], v[2:3]
	v_mul_u64_e32 v[0:1], s[10:11], v[2:3]
	v_mul_u64_e32 v[6:7], s[22:23], v[2:3]
	s_cselect_b32 s16, -1, 0
	s_add_co_i32 s3, s26, -1
	s_bfe_u32 s5, ttmp6, 0x4000c
	s_ashr_i32 s10, s3, 31
	s_add_co_i32 s5, s5, 1
	s_lshr_b32 s10, s10, 27
	s_and_b32 s4, ttmp6, 15
	s_mul_i32 s5, ttmp9, s5
	s_add_co_i32 s3, s3, s10
	s_add_co_i32 s4, s4, s5
	s_and_b32 s5, s3, 0xffffffe0
	s_ashr_i32 s3, s3, 5
	s_sub_co_i32 s5, s26, s5
	s_cmp_eq_u32 s2, 0
	v_cmp_gt_i32_e64 s2, s27, v2
	s_cselect_b32 s10, ttmp9, s4
	v_add_nc_u32_e32 v19, 0x1000, v15
	s_cmp_ge_i32 s10, s3
	v_cmp_gt_i32_e64 s3, s27, v8
	s_cselect_b32 s4, s5, 32
	s_lshl_b32 s10, s10, 5
	v_cmp_gt_i32_e64 s4, s4, v8
	s_ashr_i32 s11, s10, 31
	s_and_b32 s17, s2, s3
	v_lshlrev_b32_e32 v2, 2, v8
	s_and_b32 s22, s2, s4
	s_cmp_eq_u32 s25, 0x84
	s_cselect_b32 s2, -1, 0
	s_delay_alu instid0(SALU_CYCLE_1)
	s_and_b32 s23, vcc_lo, s2
	s_cmp_lg_u32 s24, 0x79
	s_cselect_b32 s24, -1, 0
	s_lshl_b64 s[2:3], s[12:13], 2
	s_lshl_b64 s[4:5], s[18:19], 2
	;; [unrolled: 1-line block ×4, first 2 shown]
	s_branch .LBB151_4
.LBB151_2:                              ;   in Loop: Header=BB151_4 Depth=1
	s_wait_xcnt 0x0
	s_or_b32 exec_lo, exec_lo, s18
.LBB151_3:                              ;   in Loop: Header=BB151_4 Depth=1
	s_add_co_i32 s6, s6, 0x10000
	s_delay_alu instid0(SALU_CYCLE_1)
	s_cmp_lt_u32 s6, s28
	s_cbranch_scc0 .LBB151_19
.LBB151_4:                              ; =>This Inner Loop Header: Depth=1
	s_and_not1_b32 vcc_lo, exec_lo, s16
	s_cbranch_vccnz .LBB151_3
; %bb.5:                                ;   in Loop: Header=BB151_4 Depth=1
	v_mov_b32_e32 v20, s6
	s_clause 0x1
	global_load_b64 v[10:11], v20, s[14:15] scale_offset
	global_load_b64 v[8:9], v20, s[20:21] scale_offset
	ds_store_b32 v15, v3
	ds_store_b32 v19, v3
	s_wait_xcnt 0x0
	s_and_saveexec_b32 s18, s17
	s_cbranch_execnz .LBB151_10
; %bb.6:                                ;   in Loop: Header=BB151_4 Depth=1
	s_or_b32 exec_lo, exec_lo, s18
	s_and_saveexec_b32 s18, s22
	s_cbranch_execnz .LBB151_11
.LBB151_7:                              ;   in Loop: Header=BB151_4 Depth=1
	s_or_b32 exec_lo, exec_lo, s18
	s_and_saveexec_b32 s18, s23
	s_cbranch_execnz .LBB151_12
.LBB151_8:                              ;   in Loop: Header=BB151_4 Depth=1
	s_or_b32 exec_lo, exec_lo, s18
	s_delay_alu instid0(SALU_CYCLE_1)
	s_and_b32 vcc_lo, exec_lo, s24
	s_cbranch_vccz .LBB151_13
.LBB151_9:                              ;   in Loop: Header=BB151_4 Depth=1
	s_and_b32 s18, s0, exec_lo
	s_cbranch_execz .LBB151_14
	s_branch .LBB151_15
.LBB151_10:                             ;   in Loop: Header=BB151_4 Depth=1
	s_lshl_b64 s[26:27], s[6:7], 3
	s_delay_alu instid0(SALU_CYCLE_1) | instskip(SKIP_3) | instid1(VALU_DEP_1)
	s_add_nc_u64 s[26:27], s[8:9], s[26:27]
	global_load_b64 v[20:21], v3, s[26:27]
	s_wait_loadcnt 0x0
	v_add_nc_u64_e32 v[20:21], s[2:3], v[20:21]
	v_lshl_add_u64 v[20:21], v[0:1], 2, v[20:21]
	s_delay_alu instid0(VALU_DEP_1)
	v_add_nc_u64_e32 v[20:21], v[20:21], v[2:3]
	flat_load_b32 v20, v[20:21]
	s_wait_loadcnt_dscnt 0x0
	ds_store_b32 v15, v20
	s_wait_xcnt 0x0
	s_or_b32 exec_lo, exec_lo, s18
	s_and_saveexec_b32 s18, s22
	s_cbranch_execz .LBB151_7
.LBB151_11:                             ;   in Loop: Header=BB151_4 Depth=1
	s_wait_loadcnt 0x1
	v_add_nc_u64_e32 v[10:11], s[4:5], v[10:11]
	s_delay_alu instid0(VALU_DEP_1) | instskip(NEXT) | instid1(VALU_DEP_1)
	v_add_nc_u64_e32 v[10:11], s[10:11], v[10:11]
	v_lshl_add_u64 v[10:11], v[4:5], 2, v[10:11]
	s_delay_alu instid0(VALU_DEP_1)
	v_add_nc_u64_e32 v[10:11], v[10:11], v[2:3]
	flat_load_b32 v10, v[10:11]
	s_wait_loadcnt_dscnt 0x0
	ds_store_b32 v19, v10
	s_wait_xcnt 0x0
	s_or_b32 exec_lo, exec_lo, s18
	s_and_saveexec_b32 s18, s23
	s_cbranch_execz .LBB151_8
.LBB151_12:                             ;   in Loop: Header=BB151_4 Depth=1
	ds_store_b32 v15, v12
	s_or_b32 exec_lo, exec_lo, s18
	s_delay_alu instid0(SALU_CYCLE_1)
	s_and_b32 vcc_lo, exec_lo, s24
	s_cbranch_vccnz .LBB151_9
.LBB151_13:                             ;   in Loop: Header=BB151_4 Depth=1
	s_mov_b32 s18, 0
.LBB151_14:                             ;   in Loop: Header=BB151_4 Depth=1
	s_delay_alu instid0(SALU_CYCLE_1) | instskip(SKIP_1) | instid1(SALU_CYCLE_1)
	s_and_not1_b32 s18, s18, exec_lo
	s_and_b32 s19, s1, exec_lo
	s_or_b32 s18, s18, s19
.LBB151_15:                             ;   in Loop: Header=BB151_4 Depth=1
	s_delay_alu instid0(SALU_CYCLE_1)
	s_and_saveexec_b32 s19, s18
; %bb.16:                               ;   in Loop: Header=BB151_4 Depth=1
	ds_store_b32 v15, v3
; %bb.17:                               ;   in Loop: Header=BB151_4 Depth=1
	s_or_b32 exec_lo, exec_lo, s19
	s_wait_loadcnt_dscnt 0x0
	s_barrier_signal -1
	s_barrier_wait -1
	s_and_saveexec_b32 s18, s22
	s_cbranch_execz .LBB151_2
; %bb.18:                               ;   in Loop: Header=BB151_4 Depth=1
	ds_load_2addr_b32 v[10:11], v13 offset1:32
	ds_load_b128 v[20:23], v14
	ds_load_2addr_b32 v[28:29], v13 offset0:64 offset1:96
	ds_load_b128 v[24:27], v14 offset:16
	ds_load_2addr_b32 v[30:31], v13 offset0:128 offset1:160
	v_add_nc_u64_e32 v[8:9], s[12:13], v[8:9]
	s_delay_alu instid0(VALU_DEP_1) | instskip(NEXT) | instid1(VALU_DEP_1)
	v_add_nc_u64_e32 v[8:9], s[10:11], v[8:9]
	v_lshl_add_u64 v[8:9], v[6:7], 2, v[8:9]
	s_wait_dscnt 0x3
	v_fma_f32 v38, v10, v20, 0
	s_delay_alu instid0(VALU_DEP_2) | instskip(NEXT) | instid1(VALU_DEP_2)
	v_add_nc_u64_e32 v[8:9], v[8:9], v[2:3]
	v_fmac_f32_e32 v38, v11, v21
	ds_load_2addr_b32 v[10:11], v13 offset0:192 offset1:224
	s_wait_dscnt 0x3
	v_fmac_f32_e32 v38, v28, v22
	s_delay_alu instid0(VALU_DEP_1) | instskip(SKIP_4) | instid1(VALU_DEP_1)
	v_fmac_f32_e32 v38, v29, v23
	ds_load_b128 v[20:23], v14 offset:32
	ds_load_2addr_b32 v[28:29], v16 offset1:32
	s_wait_dscnt 0x3
	v_fmac_f32_e32 v38, v30, v24
	v_fmac_f32_e32 v38, v31, v25
	ds_load_2addr_b32 v[30:31], v16 offset0:64 offset1:96
	s_wait_dscnt 0x3
	v_fmac_f32_e32 v38, v10, v26
	s_delay_alu instid0(VALU_DEP_1)
	v_fmac_f32_e32 v38, v11, v27
	ds_load_b128 v[24:27], v14 offset:48
	ds_load_2addr_b32 v[10:11], v16 offset0:128 offset1:160
	ds_load_2addr_b32 v[32:33], v16 offset0:192 offset1:224
	s_wait_dscnt 0x4
	v_fmac_f32_e32 v38, v28, v20
	s_delay_alu instid0(VALU_DEP_1) | instskip(SKIP_1) | instid1(VALU_DEP_1)
	v_fmac_f32_e32 v38, v29, v21
	s_wait_dscnt 0x3
	v_fmac_f32_e32 v38, v30, v22
	s_delay_alu instid0(VALU_DEP_1) | instskip(SKIP_4) | instid1(VALU_DEP_1)
	v_fmac_f32_e32 v38, v31, v23
	ds_load_2addr_b32 v[34:35], v17 offset1:32
	ds_load_b128 v[20:23], v14 offset:64
	s_wait_dscnt 0x3
	v_fmac_f32_e32 v38, v10, v24
	v_fmac_f32_e32 v38, v11, v25
	ds_load_2addr_b32 v[10:11], v17 offset0:64 offset1:96
	ds_load_2addr_b32 v[36:37], v17 offset0:128 offset1:160
	ds_load_b128 v[28:31], v14 offset:80
	s_wait_dscnt 0x5
	v_fmac_f32_e32 v38, v32, v26
	s_delay_alu instid0(VALU_DEP_1) | instskip(SKIP_3) | instid1(VALU_DEP_1)
	v_fmac_f32_e32 v38, v33, v27
	ds_load_2addr_b32 v[32:33], v17 offset0:192 offset1:224
	s_wait_dscnt 0x4
	v_fmac_f32_e32 v38, v34, v20
	v_fmac_f32_e32 v38, v35, v21
	ds_load_2addr_b32 v[34:35], v18 offset1:32
	ds_load_b128 v[24:27], v14 offset:96
	s_wait_dscnt 0x3
	v_pk_mul_f32 v[20:21], v[36:37], v[28:29]
	v_fmac_f32_e32 v38, v10, v22
	s_delay_alu instid0(VALU_DEP_1) | instskip(SKIP_4) | instid1(VALU_DEP_1)
	v_fmac_f32_e32 v38, v11, v23
	ds_load_2addr_b32 v[10:11], v18 offset0:64 offset1:96
	s_wait_dscnt 0x3
	v_pk_mul_f32 v[28:29], v[32:33], v[30:31]
	v_add_f32_e32 v20, v38, v20
	v_add_f32_e32 v20, v20, v21
	s_wait_dscnt 0x1
	v_pk_mul_f32 v[24:25], v[34:35], v[24:25]
	s_delay_alu instid0(VALU_DEP_2)
	v_add_f32_e32 v28, v20, v28
	ds_load_2addr_b32 v[30:31], v18 offset0:128 offset1:160
	ds_load_b128 v[20:23], v14 offset:112
	v_add_f32_e32 v28, v28, v29
	s_wait_dscnt 0x2
	v_pk_mul_f32 v[10:11], v[10:11], v[26:27]
	s_delay_alu instid0(VALU_DEP_2) | instskip(NEXT) | instid1(VALU_DEP_1)
	v_add_f32_e32 v24, v28, v24
	v_add_f32_e32 v26, v24, v25
	ds_load_2addr_b32 v[24:25], v18 offset0:192 offset1:224
	v_add_f32_e32 v10, v26, v10
	s_wait_dscnt 0x1
	v_pk_mul_f32 v[20:21], v[30:31], v[20:21]
	s_delay_alu instid0(VALU_DEP_2) | instskip(NEXT) | instid1(VALU_DEP_1)
	v_add_f32_e32 v10, v10, v11
	v_add_f32_e32 v10, v10, v20
	s_delay_alu instid0(VALU_DEP_1) | instskip(SKIP_2) | instid1(VALU_DEP_1)
	v_add_f32_e32 v20, v10, v21
	s_wait_dscnt 0x0
	v_pk_mul_f32 v[10:11], v[24:25], v[22:23]
	v_add_f32_e32 v10, v20, v10
	s_delay_alu instid0(VALU_DEP_1) | instskip(NEXT) | instid1(VALU_DEP_1)
	v_add_f32_e32 v10, v10, v11
	v_mul_f32_e32 v10, s29, v10
	flat_store_b32 v[8:9], v10
	s_branch .LBB151_2
.LBB151_19:
	s_endpgm
	.section	.rodata,"a",@progbits
	.p2align	6, 0x0
	.amdhsa_kernel _ZL23rocblas_trmm_rNx_kernelILi32EffKPKfKPfEv13rocblas_fill_17rocblas_diagonal_iiT1_lPT2_llS9_llPT3_lli
		.amdhsa_group_segment_fixed_size 8192
		.amdhsa_private_segment_fixed_size 0
		.amdhsa_kernarg_size 108
		.amdhsa_user_sgpr_count 2
		.amdhsa_user_sgpr_dispatch_ptr 0
		.amdhsa_user_sgpr_queue_ptr 0
		.amdhsa_user_sgpr_kernarg_segment_ptr 1
		.amdhsa_user_sgpr_dispatch_id 0
		.amdhsa_user_sgpr_kernarg_preload_length 0
		.amdhsa_user_sgpr_kernarg_preload_offset 0
		.amdhsa_user_sgpr_private_segment_size 0
		.amdhsa_wavefront_size32 1
		.amdhsa_uses_dynamic_stack 0
		.amdhsa_enable_private_segment 0
		.amdhsa_system_sgpr_workgroup_id_x 1
		.amdhsa_system_sgpr_workgroup_id_y 0
		.amdhsa_system_sgpr_workgroup_id_z 1
		.amdhsa_system_sgpr_workgroup_info 0
		.amdhsa_system_vgpr_workitem_id 1
		.amdhsa_next_free_vgpr 39
		.amdhsa_next_free_sgpr 32
		.amdhsa_named_barrier_count 0
		.amdhsa_reserve_vcc 1
		.amdhsa_float_round_mode_32 0
		.amdhsa_float_round_mode_16_64 0
		.amdhsa_float_denorm_mode_32 3
		.amdhsa_float_denorm_mode_16_64 3
		.amdhsa_fp16_overflow 0
		.amdhsa_memory_ordered 1
		.amdhsa_forward_progress 1
		.amdhsa_inst_pref_size 11
		.amdhsa_round_robin_scheduling 0
		.amdhsa_exception_fp_ieee_invalid_op 0
		.amdhsa_exception_fp_denorm_src 0
		.amdhsa_exception_fp_ieee_div_zero 0
		.amdhsa_exception_fp_ieee_overflow 0
		.amdhsa_exception_fp_ieee_underflow 0
		.amdhsa_exception_fp_ieee_inexact 0
		.amdhsa_exception_int_div_zero 0
	.end_amdhsa_kernel
	.section	.text._ZL23rocblas_trmm_rNx_kernelILi32EffKPKfKPfEv13rocblas_fill_17rocblas_diagonal_iiT1_lPT2_llS9_llPT3_lli,"axG",@progbits,_ZL23rocblas_trmm_rNx_kernelILi32EffKPKfKPfEv13rocblas_fill_17rocblas_diagonal_iiT1_lPT2_llS9_llPT3_lli,comdat
.Lfunc_end151:
	.size	_ZL23rocblas_trmm_rNx_kernelILi32EffKPKfKPfEv13rocblas_fill_17rocblas_diagonal_iiT1_lPT2_llS9_llPT3_lli, .Lfunc_end151-_ZL23rocblas_trmm_rNx_kernelILi32EffKPKfKPfEv13rocblas_fill_17rocblas_diagonal_iiT1_lPT2_llS9_llPT3_lli
                                        ; -- End function
	.set _ZL23rocblas_trmm_rNx_kernelILi32EffKPKfKPfEv13rocblas_fill_17rocblas_diagonal_iiT1_lPT2_llS9_llPT3_lli.num_vgpr, 39
	.set _ZL23rocblas_trmm_rNx_kernelILi32EffKPKfKPfEv13rocblas_fill_17rocblas_diagonal_iiT1_lPT2_llS9_llPT3_lli.num_agpr, 0
	.set _ZL23rocblas_trmm_rNx_kernelILi32EffKPKfKPfEv13rocblas_fill_17rocblas_diagonal_iiT1_lPT2_llS9_llPT3_lli.numbered_sgpr, 32
	.set _ZL23rocblas_trmm_rNx_kernelILi32EffKPKfKPfEv13rocblas_fill_17rocblas_diagonal_iiT1_lPT2_llS9_llPT3_lli.num_named_barrier, 0
	.set _ZL23rocblas_trmm_rNx_kernelILi32EffKPKfKPfEv13rocblas_fill_17rocblas_diagonal_iiT1_lPT2_llS9_llPT3_lli.private_seg_size, 0
	.set _ZL23rocblas_trmm_rNx_kernelILi32EffKPKfKPfEv13rocblas_fill_17rocblas_diagonal_iiT1_lPT2_llS9_llPT3_lli.uses_vcc, 1
	.set _ZL23rocblas_trmm_rNx_kernelILi32EffKPKfKPfEv13rocblas_fill_17rocblas_diagonal_iiT1_lPT2_llS9_llPT3_lli.uses_flat_scratch, 0
	.set _ZL23rocblas_trmm_rNx_kernelILi32EffKPKfKPfEv13rocblas_fill_17rocblas_diagonal_iiT1_lPT2_llS9_llPT3_lli.has_dyn_sized_stack, 0
	.set _ZL23rocblas_trmm_rNx_kernelILi32EffKPKfKPfEv13rocblas_fill_17rocblas_diagonal_iiT1_lPT2_llS9_llPT3_lli.has_recursion, 0
	.set _ZL23rocblas_trmm_rNx_kernelILi32EffKPKfKPfEv13rocblas_fill_17rocblas_diagonal_iiT1_lPT2_llS9_llPT3_lli.has_indirect_call, 0
	.section	.AMDGPU.csdata,"",@progbits
; Kernel info:
; codeLenInByte = 1336
; TotalNumSgprs: 34
; NumVgprs: 39
; ScratchSize: 0
; MemoryBound: 0
; FloatMode: 240
; IeeeMode: 1
; LDSByteSize: 8192 bytes/workgroup (compile time only)
; SGPRBlocks: 0
; VGPRBlocks: 2
; NumSGPRsForWavesPerEU: 34
; NumVGPRsForWavesPerEU: 39
; NamedBarCnt: 0
; Occupancy: 16
; WaveLimiterHint : 1
; COMPUTE_PGM_RSRC2:SCRATCH_EN: 0
; COMPUTE_PGM_RSRC2:USER_SGPR: 2
; COMPUTE_PGM_RSRC2:TRAP_HANDLER: 0
; COMPUTE_PGM_RSRC2:TGID_X_EN: 1
; COMPUTE_PGM_RSRC2:TGID_Y_EN: 0
; COMPUTE_PGM_RSRC2:TGID_Z_EN: 1
; COMPUTE_PGM_RSRC2:TIDIG_COMP_CNT: 1
	.section	.text._ZL23rocblas_trmm_rTx_kernelILi32ELb0EfPKfKS1_KPfEv13rocblas_fill_17rocblas_diagonal_iiT2_lPT3_llS9_llPT4_lli,"axG",@progbits,_ZL23rocblas_trmm_rTx_kernelILi32ELb0EfPKfKS1_KPfEv13rocblas_fill_17rocblas_diagonal_iiT2_lPT3_llS9_llPT4_lli,comdat
	.globl	_ZL23rocblas_trmm_rTx_kernelILi32ELb0EfPKfKS1_KPfEv13rocblas_fill_17rocblas_diagonal_iiT2_lPT3_llS9_llPT4_lli ; -- Begin function _ZL23rocblas_trmm_rTx_kernelILi32ELb0EfPKfKS1_KPfEv13rocblas_fill_17rocblas_diagonal_iiT2_lPT3_llS9_llPT4_lli
	.p2align	8
	.type	_ZL23rocblas_trmm_rTx_kernelILi32ELb0EfPKfKS1_KPfEv13rocblas_fill_17rocblas_diagonal_iiT2_lPT3_llS9_llPT4_lli,@function
_ZL23rocblas_trmm_rTx_kernelILi32ELb0EfPKfKS1_KPfEv13rocblas_fill_17rocblas_diagonal_iiT2_lPT3_llS9_llPT4_lli: ; @_ZL23rocblas_trmm_rTx_kernelILi32ELb0EfPKfKS1_KPfEv13rocblas_fill_17rocblas_diagonal_iiT2_lPT3_llS9_llPT4_lli
; %bb.0:
	s_load_b32 s33, s[0:1], 0x68
	s_bfe_u32 s2, ttmp6, 0x40014
	s_lshr_b32 s3, ttmp7, 16
	s_add_co_i32 s2, s2, 1
	s_bfe_u32 s5, ttmp6, 0x40008
	s_mul_i32 s4, s3, s2
	s_getreg_b32 s2, hwreg(HW_REG_IB_STS2, 6, 4)
	s_add_co_i32 s5, s5, s4
	s_cmp_eq_u32 s2, 0
	s_mov_b32 s7, 0
	s_cselect_b32 s6, s3, s5
	s_wait_kmcnt 0x0
	s_cmp_ge_u32 s6, s33
	s_cbranch_scc1 .LBB152_19
; %bb.1:
	s_clause 0x3
	s_load_b128 s[28:31], s[0:1], 0x0
	s_load_b512 s[8:23], s[0:1], 0x10
	s_load_b64 s[34:35], s[0:1], 0x60
	s_load_b128 s[24:27], s[0:1], 0x50
	v_bfe_u32 v2, v0, 10, 10
	s_wait_xcnt 0x0
	s_bfe_u32 s0, ttmp6, 0x4000c
	v_and_b32_e32 v8, 0x3ff, v0
	s_add_co_i32 s0, s0, 1
	v_dual_mov_b32 v3, 0 :: v_dual_mov_b32 v12, 1.0
	v_dual_lshlrev_b32 v0, 5, v2 :: v_dual_lshlrev_b32 v14, 2, v2
	s_and_b32 s3, ttmp6, 15
	s_mul_i32 s4, ttmp9, s0
	v_cmp_eq_u32_e32 vcc_lo, v2, v8
	s_add_co_i32 s3, s3, s4
	v_add_lshl_u32 v15, v0, v8, 2
	v_lshl_add_u32 v13, v8, 2, 0x1000
	v_cmp_lt_u32_e64 s0, v8, v2
	v_cmp_gt_u32_e64 s1, v8, v2
	s_wait_kmcnt 0x0
	s_add_co_i32 s4, s30, -1
	v_mul_u64_e32 v[0:1], s[14:15], v[2:3]
	s_ashr_i32 s5, s4, 31
	v_mul_u64_e32 v[4:5], s[20:21], v[2:3]
	v_mul_u64_e32 v[6:7], s[26:27], v[2:3]
	s_lshr_b32 s5, s5, 27
	v_add_nc_u32_e32 v16, 0x400, v13
	s_add_co_i32 s4, s4, s5
	v_add_nc_u32_e32 v17, 0x400, v14
	s_and_b32 s5, s4, 0xffffffe0
	s_ashr_i32 s4, s4, 5
	s_sub_co_i32 s5, s30, s5
	s_cmp_eq_u32 s2, 0
	v_cmp_gt_i32_e64 s2, s31, v2
	s_cselect_b32 s14, ttmp9, s3
	v_cmp_gt_i32_e64 s3, s31, v8
	s_cmp_ge_i32 s14, s4
	v_add_nc_u32_e32 v18, 0x800, v13
	s_cselect_b32 s4, s5, 32
	s_lshl_b32 s14, s14, 5
	v_cmp_gt_i32_e64 s4, s4, v8
	s_and_b32 s26, s2, s3
	s_ashr_i32 s15, s14, 31
	v_add_nc_u32_e32 v19, 0x800, v14
	v_add_nc_u32_e32 v20, 0x1000, v15
	s_and_b32 s27, s2, s4
	s_cmp_eq_u32 s29, 0x84
	v_lshlrev_b32_e32 v2, 2, v8
	s_cselect_b32 s2, -1, 0
	v_add_nc_u32_e32 v21, 0xc00, v13
	s_and_b32 s29, vcc_lo, s2
	v_add_nc_u32_e32 v22, 0xc00, v14
	s_cmp_lg_u32 s28, 0x79
	s_cselect_b32 s28, -1, 0
	s_lshl_b64 s[2:3], s[16:17], 2
	s_lshl_b64 s[4:5], s[22:23], 2
	s_lshl_b64 s[14:15], s[14:15], 2
	s_lshl_b64 s[16:17], s[34:35], 2
	s_branch .LBB152_4
.LBB152_2:                              ;   in Loop: Header=BB152_4 Depth=1
	s_wait_xcnt 0x0
	s_or_b32 exec_lo, exec_lo, s20
.LBB152_3:                              ;   in Loop: Header=BB152_4 Depth=1
	s_add_co_i32 s6, s6, 0x10000
	s_delay_alu instid0(SALU_CYCLE_1)
	s_cmp_lt_u32 s6, s33
	s_cbranch_scc0 .LBB152_19
.LBB152_4:                              ; =>This Inner Loop Header: Depth=1
	s_wait_xcnt 0x0
	s_mul_u64 s[20:21], s[10:11], s[6:7]
	s_delay_alu instid0(SALU_CYCLE_1) | instskip(NEXT) | instid1(SALU_CYCLE_1)
	s_lshl_b64 s[20:21], s[20:21], 2
	s_add_nc_u64 s[20:21], s[8:9], s[20:21]
	global_load_b32 v23, v3, s[20:21]
	s_wait_loadcnt 0x0
	v_cmp_eq_f32_e32 vcc_lo, 0, v23
	s_cbranch_vccnz .LBB152_3
; %bb.5:                                ;   in Loop: Header=BB152_4 Depth=1
	s_wait_xcnt 0x0
	s_lshl_b64 s[20:21], s[6:7], 3
	s_delay_alu instid0(SALU_CYCLE_1)
	s_add_nc_u64 s[22:23], s[18:19], s[20:21]
	s_add_nc_u64 s[30:31], s[24:25], s[20:21]
	s_clause 0x1
	global_load_b64 v[10:11], v3, s[22:23]
	global_load_b64 v[8:9], v3, s[30:31]
	ds_store_b32 v15, v3
	ds_store_b32 v20, v3
	s_wait_xcnt 0x0
	s_and_saveexec_b32 s22, s26
	s_cbranch_execnz .LBB152_10
; %bb.6:                                ;   in Loop: Header=BB152_4 Depth=1
	s_or_b32 exec_lo, exec_lo, s22
	s_and_saveexec_b32 s20, s27
	s_cbranch_execnz .LBB152_11
.LBB152_7:                              ;   in Loop: Header=BB152_4 Depth=1
	s_or_b32 exec_lo, exec_lo, s20
	s_and_saveexec_b32 s20, s29
	s_cbranch_execnz .LBB152_12
.LBB152_8:                              ;   in Loop: Header=BB152_4 Depth=1
	s_or_b32 exec_lo, exec_lo, s20
	s_delay_alu instid0(SALU_CYCLE_1)
	s_and_b32 vcc_lo, exec_lo, s28
	s_cbranch_vccz .LBB152_13
.LBB152_9:                              ;   in Loop: Header=BB152_4 Depth=1
	s_and_b32 s20, s0, exec_lo
	s_cbranch_execz .LBB152_14
	s_branch .LBB152_15
.LBB152_10:                             ;   in Loop: Header=BB152_4 Depth=1
	s_add_nc_u64 s[20:21], s[12:13], s[20:21]
	global_load_b64 v[24:25], v3, s[20:21]
	s_wait_loadcnt 0x0
	v_add_nc_u64_e32 v[24:25], s[2:3], v[24:25]
	s_delay_alu instid0(VALU_DEP_1) | instskip(NEXT) | instid1(VALU_DEP_1)
	v_lshl_add_u64 v[24:25], v[0:1], 2, v[24:25]
	v_add_nc_u64_e32 v[24:25], v[24:25], v[2:3]
	flat_load_b32 v24, v[24:25]
	s_wait_loadcnt_dscnt 0x0
	ds_store_b32 v15, v24
	s_wait_xcnt 0x0
	s_or_b32 exec_lo, exec_lo, s22
	s_and_saveexec_b32 s20, s27
	s_cbranch_execz .LBB152_7
.LBB152_11:                             ;   in Loop: Header=BB152_4 Depth=1
	s_wait_loadcnt 0x1
	v_add_nc_u64_e32 v[10:11], s[4:5], v[10:11]
	s_delay_alu instid0(VALU_DEP_1) | instskip(NEXT) | instid1(VALU_DEP_1)
	v_add_nc_u64_e32 v[10:11], s[14:15], v[10:11]
	v_lshl_add_u64 v[10:11], v[4:5], 2, v[10:11]
	s_delay_alu instid0(VALU_DEP_1)
	v_add_nc_u64_e32 v[10:11], v[10:11], v[2:3]
	flat_load_b32 v10, v[10:11]
	s_wait_loadcnt_dscnt 0x0
	ds_store_b32 v20, v10
	s_wait_xcnt 0x0
	s_or_b32 exec_lo, exec_lo, s20
	s_and_saveexec_b32 s20, s29
	s_cbranch_execz .LBB152_8
.LBB152_12:                             ;   in Loop: Header=BB152_4 Depth=1
	ds_store_b32 v15, v12
	s_or_b32 exec_lo, exec_lo, s20
	s_delay_alu instid0(SALU_CYCLE_1)
	s_and_b32 vcc_lo, exec_lo, s28
	s_cbranch_vccnz .LBB152_9
.LBB152_13:                             ;   in Loop: Header=BB152_4 Depth=1
	s_mov_b32 s20, 0
.LBB152_14:                             ;   in Loop: Header=BB152_4 Depth=1
	s_delay_alu instid0(SALU_CYCLE_1) | instskip(SKIP_1) | instid1(SALU_CYCLE_1)
	s_and_not1_b32 s20, s20, exec_lo
	s_and_b32 s21, s1, exec_lo
	s_or_b32 s20, s20, s21
.LBB152_15:                             ;   in Loop: Header=BB152_4 Depth=1
	s_delay_alu instid0(SALU_CYCLE_1)
	s_and_saveexec_b32 s21, s20
; %bb.16:                               ;   in Loop: Header=BB152_4 Depth=1
	ds_store_b32 v15, v3
; %bb.17:                               ;   in Loop: Header=BB152_4 Depth=1
	s_or_b32 exec_lo, exec_lo, s21
	s_wait_loadcnt_dscnt 0x0
	s_barrier_signal -1
	s_barrier_wait -1
	s_and_saveexec_b32 s20, s27
	s_cbranch_execz .LBB152_2
; %bb.18:                               ;   in Loop: Header=BB152_4 Depth=1
	ds_load_2addr_b32 v[10:11], v13 offset1:32
	ds_load_2addr_b32 v[24:25], v14 offset1:32
	ds_load_2addr_b32 v[26:27], v13 offset0:64 offset1:96
	ds_load_2addr_b32 v[28:29], v14 offset0:64 offset1:96
	;; [unrolled: 1-line block ×4, first 2 shown]
	v_add_nc_u64_e32 v[8:9], s[16:17], v[8:9]
	s_delay_alu instid0(VALU_DEP_1) | instskip(NEXT) | instid1(VALU_DEP_1)
	v_add_nc_u64_e32 v[8:9], s[14:15], v[8:9]
	v_lshl_add_u64 v[8:9], v[6:7], 2, v[8:9]
	s_wait_dscnt 0x4
	v_fma_f32 v38, v10, v24, 0
	s_delay_alu instid0(VALU_DEP_2) | instskip(NEXT) | instid1(VALU_DEP_2)
	v_add_nc_u64_e32 v[8:9], v[8:9], v[2:3]
	v_fmac_f32_e32 v38, v11, v25
	ds_load_2addr_b32 v[10:11], v13 offset0:192 offset1:224
	ds_load_2addr_b32 v[24:25], v14 offset0:192 offset1:224
	s_wait_dscnt 0x4
	v_fmac_f32_e32 v38, v26, v28
	s_delay_alu instid0(VALU_DEP_1) | instskip(SKIP_4) | instid1(VALU_DEP_1)
	v_fmac_f32_e32 v38, v27, v29
	ds_load_2addr_b32 v[26:27], v16 offset1:32
	ds_load_2addr_b32 v[28:29], v17 offset1:32
	s_wait_dscnt 0x4
	v_fmac_f32_e32 v38, v30, v32
	v_fmac_f32_e32 v38, v31, v33
	ds_load_2addr_b32 v[30:31], v16 offset0:64 offset1:96
	ds_load_2addr_b32 v[32:33], v17 offset0:64 offset1:96
	s_wait_dscnt 0x4
	v_fmac_f32_e32 v38, v10, v24
	s_delay_alu instid0(VALU_DEP_1) | instskip(SKIP_4) | instid1(VALU_DEP_1)
	v_fmac_f32_e32 v38, v11, v25
	ds_load_2addr_b32 v[10:11], v16 offset0:128 offset1:160
	ds_load_2addr_b32 v[24:25], v17 offset0:128 offset1:160
	s_wait_dscnt 0x4
	v_fmac_f32_e32 v38, v26, v28
	v_fmac_f32_e32 v38, v27, v29
	ds_load_2addr_b32 v[26:27], v16 offset0:192 offset1:224
	ds_load_2addr_b32 v[28:29], v17 offset0:192 offset1:224
	s_wait_dscnt 0x4
	v_fmac_f32_e32 v38, v30, v32
	s_delay_alu instid0(VALU_DEP_1) | instskip(SKIP_4) | instid1(VALU_DEP_1)
	v_fmac_f32_e32 v38, v31, v33
	ds_load_2addr_b32 v[30:31], v18 offset1:32
	ds_load_2addr_b32 v[32:33], v19 offset1:32
	s_wait_dscnt 0x4
	v_fmac_f32_e32 v38, v10, v24
	v_fmac_f32_e32 v38, v11, v25
	ds_load_2addr_b32 v[10:11], v18 offset0:64 offset1:96
	ds_load_2addr_b32 v[24:25], v19 offset0:64 offset1:96
	;; [unrolled: 1-line block ×4, first 2 shown]
	s_wait_dscnt 0x6
	v_fmac_f32_e32 v38, v26, v28
	s_delay_alu instid0(VALU_DEP_1) | instskip(SKIP_4) | instid1(VALU_DEP_1)
	v_fmac_f32_e32 v38, v27, v29
	ds_load_2addr_b32 v[26:27], v18 offset0:192 offset1:224
	ds_load_2addr_b32 v[28:29], v19 offset0:192 offset1:224
	s_wait_dscnt 0x6
	v_fmac_f32_e32 v38, v30, v32
	v_fmac_f32_e32 v38, v31, v33
	ds_load_2addr_b32 v[30:31], v21 offset1:32
	ds_load_2addr_b32 v[32:33], v22 offset1:32
	s_wait_dscnt 0x4
	v_pk_mul_f32 v[34:35], v[34:35], v[36:37]
	v_fmac_f32_e32 v38, v10, v24
	s_delay_alu instid0(VALU_DEP_1)
	v_fmac_f32_e32 v38, v11, v25
	ds_load_2addr_b32 v[10:11], v21 offset0:64 offset1:96
	ds_load_2addr_b32 v[24:25], v22 offset0:64 offset1:96
	s_wait_dscnt 0x4
	v_pk_mul_f32 v[26:27], v[26:27], v[28:29]
	v_add_f32_e32 v34, v38, v34
	s_delay_alu instid0(VALU_DEP_1) | instskip(SKIP_2) | instid1(VALU_DEP_2)
	v_add_f32_e32 v28, v34, v35
	s_wait_dscnt 0x2
	v_pk_mul_f32 v[30:31], v[30:31], v[32:33]
	v_add_f32_e32 v26, v28, v26
	ds_load_2addr_b32 v[28:29], v21 offset0:128 offset1:160
	ds_load_2addr_b32 v[34:35], v22 offset0:128 offset1:160
	v_add_f32_e32 v26, v26, v27
	s_wait_dscnt 0x2
	v_pk_mul_f32 v[10:11], v[10:11], v[24:25]
	ds_load_2addr_b32 v[24:25], v22 offset0:192 offset1:224
	v_add_f32_e32 v30, v26, v30
	ds_load_2addr_b32 v[26:27], v21 offset0:192 offset1:224
	v_add_f32_e32 v30, v30, v31
	s_delay_alu instid0(VALU_DEP_1) | instskip(SKIP_2) | instid1(VALU_DEP_2)
	v_add_f32_e32 v10, v30, v10
	s_wait_dscnt 0x2
	v_pk_mul_f32 v[28:29], v[28:29], v[34:35]
	v_add_f32_e32 v10, v10, v11
	s_delay_alu instid0(VALU_DEP_1) | instskip(NEXT) | instid1(VALU_DEP_1)
	v_add_f32_e32 v10, v10, v28
	v_add_f32_e32 v28, v10, v29
	s_wait_dscnt 0x0
	v_pk_mul_f32 v[10:11], v[26:27], v[24:25]
	s_delay_alu instid0(VALU_DEP_1) | instskip(NEXT) | instid1(VALU_DEP_1)
	v_add_f32_e32 v10, v28, v10
	v_add_f32_e32 v10, v10, v11
	s_delay_alu instid0(VALU_DEP_1)
	v_mul_f32_e32 v10, v23, v10
	flat_store_b32 v[8:9], v10
	s_branch .LBB152_2
.LBB152_19:
	s_endpgm
	.section	.rodata,"a",@progbits
	.p2align	6, 0x0
	.amdhsa_kernel _ZL23rocblas_trmm_rTx_kernelILi32ELb0EfPKfKS1_KPfEv13rocblas_fill_17rocblas_diagonal_iiT2_lPT3_llS9_llPT4_lli
		.amdhsa_group_segment_fixed_size 8192
		.amdhsa_private_segment_fixed_size 0
		.amdhsa_kernarg_size 108
		.amdhsa_user_sgpr_count 2
		.amdhsa_user_sgpr_dispatch_ptr 0
		.amdhsa_user_sgpr_queue_ptr 0
		.amdhsa_user_sgpr_kernarg_segment_ptr 1
		.amdhsa_user_sgpr_dispatch_id 0
		.amdhsa_user_sgpr_kernarg_preload_length 0
		.amdhsa_user_sgpr_kernarg_preload_offset 0
		.amdhsa_user_sgpr_private_segment_size 0
		.amdhsa_wavefront_size32 1
		.amdhsa_uses_dynamic_stack 0
		.amdhsa_enable_private_segment 0
		.amdhsa_system_sgpr_workgroup_id_x 1
		.amdhsa_system_sgpr_workgroup_id_y 0
		.amdhsa_system_sgpr_workgroup_id_z 1
		.amdhsa_system_sgpr_workgroup_info 0
		.amdhsa_system_vgpr_workitem_id 1
		.amdhsa_next_free_vgpr 39
		.amdhsa_next_free_sgpr 36
		.amdhsa_named_barrier_count 0
		.amdhsa_reserve_vcc 1
		.amdhsa_float_round_mode_32 0
		.amdhsa_float_round_mode_16_64 0
		.amdhsa_float_denorm_mode_32 3
		.amdhsa_float_denorm_mode_16_64 3
		.amdhsa_fp16_overflow 0
		.amdhsa_memory_ordered 1
		.amdhsa_forward_progress 1
		.amdhsa_inst_pref_size 12
		.amdhsa_round_robin_scheduling 0
		.amdhsa_exception_fp_ieee_invalid_op 0
		.amdhsa_exception_fp_denorm_src 0
		.amdhsa_exception_fp_ieee_div_zero 0
		.amdhsa_exception_fp_ieee_overflow 0
		.amdhsa_exception_fp_ieee_underflow 0
		.amdhsa_exception_fp_ieee_inexact 0
		.amdhsa_exception_int_div_zero 0
	.end_amdhsa_kernel
	.section	.text._ZL23rocblas_trmm_rTx_kernelILi32ELb0EfPKfKS1_KPfEv13rocblas_fill_17rocblas_diagonal_iiT2_lPT3_llS9_llPT4_lli,"axG",@progbits,_ZL23rocblas_trmm_rTx_kernelILi32ELb0EfPKfKS1_KPfEv13rocblas_fill_17rocblas_diagonal_iiT2_lPT3_llS9_llPT4_lli,comdat
.Lfunc_end152:
	.size	_ZL23rocblas_trmm_rTx_kernelILi32ELb0EfPKfKS1_KPfEv13rocblas_fill_17rocblas_diagonal_iiT2_lPT3_llS9_llPT4_lli, .Lfunc_end152-_ZL23rocblas_trmm_rTx_kernelILi32ELb0EfPKfKS1_KPfEv13rocblas_fill_17rocblas_diagonal_iiT2_lPT3_llS9_llPT4_lli
                                        ; -- End function
	.set _ZL23rocblas_trmm_rTx_kernelILi32ELb0EfPKfKS1_KPfEv13rocblas_fill_17rocblas_diagonal_iiT2_lPT3_llS9_llPT4_lli.num_vgpr, 39
	.set _ZL23rocblas_trmm_rTx_kernelILi32ELb0EfPKfKS1_KPfEv13rocblas_fill_17rocblas_diagonal_iiT2_lPT3_llS9_llPT4_lli.num_agpr, 0
	.set _ZL23rocblas_trmm_rTx_kernelILi32ELb0EfPKfKS1_KPfEv13rocblas_fill_17rocblas_diagonal_iiT2_lPT3_llS9_llPT4_lli.numbered_sgpr, 36
	.set _ZL23rocblas_trmm_rTx_kernelILi32ELb0EfPKfKS1_KPfEv13rocblas_fill_17rocblas_diagonal_iiT2_lPT3_llS9_llPT4_lli.num_named_barrier, 0
	.set _ZL23rocblas_trmm_rTx_kernelILi32ELb0EfPKfKS1_KPfEv13rocblas_fill_17rocblas_diagonal_iiT2_lPT3_llS9_llPT4_lli.private_seg_size, 0
	.set _ZL23rocblas_trmm_rTx_kernelILi32ELb0EfPKfKS1_KPfEv13rocblas_fill_17rocblas_diagonal_iiT2_lPT3_llS9_llPT4_lli.uses_vcc, 1
	.set _ZL23rocblas_trmm_rTx_kernelILi32ELb0EfPKfKS1_KPfEv13rocblas_fill_17rocblas_diagonal_iiT2_lPT3_llS9_llPT4_lli.uses_flat_scratch, 0
	.set _ZL23rocblas_trmm_rTx_kernelILi32ELb0EfPKfKS1_KPfEv13rocblas_fill_17rocblas_diagonal_iiT2_lPT3_llS9_llPT4_lli.has_dyn_sized_stack, 0
	.set _ZL23rocblas_trmm_rTx_kernelILi32ELb0EfPKfKS1_KPfEv13rocblas_fill_17rocblas_diagonal_iiT2_lPT3_llS9_llPT4_lli.has_recursion, 0
	.set _ZL23rocblas_trmm_rTx_kernelILi32ELb0EfPKfKS1_KPfEv13rocblas_fill_17rocblas_diagonal_iiT2_lPT3_llS9_llPT4_lli.has_indirect_call, 0
	.section	.AMDGPU.csdata,"",@progbits
; Kernel info:
; codeLenInByte = 1444
; TotalNumSgprs: 38
; NumVgprs: 39
; ScratchSize: 0
; MemoryBound: 0
; FloatMode: 240
; IeeeMode: 1
; LDSByteSize: 8192 bytes/workgroup (compile time only)
; SGPRBlocks: 0
; VGPRBlocks: 2
; NumSGPRsForWavesPerEU: 38
; NumVGPRsForWavesPerEU: 39
; NamedBarCnt: 0
; Occupancy: 16
; WaveLimiterHint : 1
; COMPUTE_PGM_RSRC2:SCRATCH_EN: 0
; COMPUTE_PGM_RSRC2:USER_SGPR: 2
; COMPUTE_PGM_RSRC2:TRAP_HANDLER: 0
; COMPUTE_PGM_RSRC2:TGID_X_EN: 1
; COMPUTE_PGM_RSRC2:TGID_Y_EN: 0
; COMPUTE_PGM_RSRC2:TGID_Z_EN: 1
; COMPUTE_PGM_RSRC2:TIDIG_COMP_CNT: 1
	.section	.text._ZL23rocblas_trmm_rTx_kernelILi32ELb0EffKPKfKPfEv13rocblas_fill_17rocblas_diagonal_iiT2_lPT3_llS9_llPT4_lli,"axG",@progbits,_ZL23rocblas_trmm_rTx_kernelILi32ELb0EffKPKfKPfEv13rocblas_fill_17rocblas_diagonal_iiT2_lPT3_llS9_llPT4_lli,comdat
	.globl	_ZL23rocblas_trmm_rTx_kernelILi32ELb0EffKPKfKPfEv13rocblas_fill_17rocblas_diagonal_iiT2_lPT3_llS9_llPT4_lli ; -- Begin function _ZL23rocblas_trmm_rTx_kernelILi32ELb0EffKPKfKPfEv13rocblas_fill_17rocblas_diagonal_iiT2_lPT3_llS9_llPT4_lli
	.p2align	8
	.type	_ZL23rocblas_trmm_rTx_kernelILi32ELb0EffKPKfKPfEv13rocblas_fill_17rocblas_diagonal_iiT2_lPT3_llS9_llPT4_lli,@function
_ZL23rocblas_trmm_rTx_kernelILi32ELb0EffKPKfKPfEv13rocblas_fill_17rocblas_diagonal_iiT2_lPT3_llS9_llPT4_lli: ; @_ZL23rocblas_trmm_rTx_kernelILi32ELb0EffKPKfKPfEv13rocblas_fill_17rocblas_diagonal_iiT2_lPT3_llS9_llPT4_lli
; %bb.0:
	s_load_b32 s28, s[0:1], 0x68
	s_bfe_u32 s2, ttmp6, 0x40014
	s_lshr_b32 s3, ttmp7, 16
	s_add_co_i32 s2, s2, 1
	s_bfe_u32 s5, ttmp6, 0x40008
	s_mul_i32 s4, s3, s2
	s_getreg_b32 s2, hwreg(HW_REG_IB_STS2, 6, 4)
	s_add_co_i32 s5, s5, s4
	s_cmp_eq_u32 s2, 0
	s_mov_b32 s7, 0
	s_cselect_b32 s6, s3, s5
	s_wait_kmcnt 0x0
	s_cmp_ge_u32 s6, s28
	s_cbranch_scc1 .LBB153_19
; %bb.1:
	s_clause 0x2
	s_load_b32 s29, s[0:1], 0x10
	s_load_b512 s[8:23], s[0:1], 0x20
	s_load_b128 s[24:27], s[0:1], 0x0
	v_bfe_u32 v2, v0, 10, 10
	v_dual_mov_b32 v3, 0 :: v_dual_mov_b32 v12, 1.0
	v_and_b32_e32 v8, 0x3ff, v0
	s_load_b64 s[30:31], s[0:1], 0x60
	s_delay_alu instid0(VALU_DEP_3) | instskip(NEXT) | instid1(VALU_DEP_2)
	v_dual_lshlrev_b32 v0, 5, v2 :: v_dual_lshlrev_b32 v14, 2, v2
	v_cmp_eq_u32_e32 vcc_lo, v2, v8
	v_lshl_add_u32 v13, v8, 2, 0x1000
	s_delay_alu instid0(VALU_DEP_3)
	v_add_lshl_u32 v15, v0, v8, 2
	s_wait_xcnt 0x0
	v_cmp_lt_u32_e64 s0, v8, v2
	v_cmp_gt_u32_e64 s1, v8, v2
	v_add_nc_u32_e32 v17, 0x400, v14
	v_add_nc_u32_e32 v16, 0x400, v13
	;; [unrolled: 1-line block ×4, first 2 shown]
	s_wait_kmcnt 0x0
	s_cmp_neq_f32 s29, 0
	v_mul_u64_e32 v[4:5], s[16:17], v[2:3]
	v_mul_u64_e32 v[0:1], s[10:11], v[2:3]
	;; [unrolled: 1-line block ×3, first 2 shown]
	s_cselect_b32 s16, -1, 0
	s_add_co_i32 s3, s26, -1
	s_bfe_u32 s5, ttmp6, 0x4000c
	s_ashr_i32 s10, s3, 31
	s_add_co_i32 s5, s5, 1
	s_lshr_b32 s10, s10, 27
	s_and_b32 s4, ttmp6, 15
	s_mul_i32 s5, ttmp9, s5
	s_add_co_i32 s3, s3, s10
	s_add_co_i32 s4, s4, s5
	s_and_b32 s5, s3, 0xffffffe0
	s_ashr_i32 s3, s3, 5
	s_sub_co_i32 s5, s26, s5
	s_cmp_eq_u32 s2, 0
	v_cmp_gt_i32_e64 s2, s27, v2
	s_cselect_b32 s10, ttmp9, s4
	v_add_nc_u32_e32 v20, 0xc00, v13
	s_cmp_ge_i32 s10, s3
	v_cmp_gt_i32_e64 s3, s27, v8
	s_cselect_b32 s4, s5, 32
	s_lshl_b32 s10, s10, 5
	v_cmp_gt_i32_e64 s4, s4, v8
	s_ashr_i32 s11, s10, 31
	s_and_b32 s17, s2, s3
	v_add_nc_u32_e32 v21, 0x1000, v15
	v_lshlrev_b32_e32 v2, 2, v8
	s_and_b32 s22, s2, s4
	s_cmp_eq_u32 s25, 0x84
	v_add_nc_u32_e32 v22, 0xc00, v14
	s_cselect_b32 s2, -1, 0
	s_delay_alu instid0(SALU_CYCLE_1)
	s_and_b32 s23, vcc_lo, s2
	s_cmp_lg_u32 s24, 0x79
	s_cselect_b32 s24, -1, 0
	s_lshl_b64 s[2:3], s[12:13], 2
	s_lshl_b64 s[4:5], s[18:19], 2
	;; [unrolled: 1-line block ×4, first 2 shown]
	s_branch .LBB153_4
.LBB153_2:                              ;   in Loop: Header=BB153_4 Depth=1
	s_wait_xcnt 0x0
	s_or_b32 exec_lo, exec_lo, s18
.LBB153_3:                              ;   in Loop: Header=BB153_4 Depth=1
	s_add_co_i32 s6, s6, 0x10000
	s_delay_alu instid0(SALU_CYCLE_1)
	s_cmp_lt_u32 s6, s28
	s_cbranch_scc0 .LBB153_19
.LBB153_4:                              ; =>This Inner Loop Header: Depth=1
	s_and_not1_b32 vcc_lo, exec_lo, s16
	s_cbranch_vccnz .LBB153_3
; %bb.5:                                ;   in Loop: Header=BB153_4 Depth=1
	v_mov_b32_e32 v23, s6
	s_clause 0x1
	global_load_b64 v[10:11], v23, s[14:15] scale_offset
	global_load_b64 v[8:9], v23, s[20:21] scale_offset
	ds_store_b32 v15, v3
	ds_store_b32 v21, v3
	s_wait_xcnt 0x0
	s_and_saveexec_b32 s18, s17
	s_cbranch_execnz .LBB153_10
; %bb.6:                                ;   in Loop: Header=BB153_4 Depth=1
	s_or_b32 exec_lo, exec_lo, s18
	s_and_saveexec_b32 s18, s22
	s_cbranch_execnz .LBB153_11
.LBB153_7:                              ;   in Loop: Header=BB153_4 Depth=1
	s_or_b32 exec_lo, exec_lo, s18
	s_and_saveexec_b32 s18, s23
	s_cbranch_execnz .LBB153_12
.LBB153_8:                              ;   in Loop: Header=BB153_4 Depth=1
	s_or_b32 exec_lo, exec_lo, s18
	s_delay_alu instid0(SALU_CYCLE_1)
	s_and_b32 vcc_lo, exec_lo, s24
	s_cbranch_vccz .LBB153_13
.LBB153_9:                              ;   in Loop: Header=BB153_4 Depth=1
	s_and_b32 s18, s0, exec_lo
	s_cbranch_execz .LBB153_14
	s_branch .LBB153_15
.LBB153_10:                             ;   in Loop: Header=BB153_4 Depth=1
	s_lshl_b64 s[26:27], s[6:7], 3
	s_delay_alu instid0(SALU_CYCLE_1) | instskip(SKIP_3) | instid1(VALU_DEP_1)
	s_add_nc_u64 s[26:27], s[8:9], s[26:27]
	global_load_b64 v[24:25], v3, s[26:27]
	s_wait_loadcnt 0x0
	v_add_nc_u64_e32 v[24:25], s[2:3], v[24:25]
	v_lshl_add_u64 v[24:25], v[0:1], 2, v[24:25]
	s_delay_alu instid0(VALU_DEP_1)
	v_add_nc_u64_e32 v[24:25], v[24:25], v[2:3]
	flat_load_b32 v23, v[24:25]
	s_wait_loadcnt_dscnt 0x0
	ds_store_b32 v15, v23
	s_wait_xcnt 0x0
	s_or_b32 exec_lo, exec_lo, s18
	s_and_saveexec_b32 s18, s22
	s_cbranch_execz .LBB153_7
.LBB153_11:                             ;   in Loop: Header=BB153_4 Depth=1
	s_wait_loadcnt 0x1
	v_add_nc_u64_e32 v[10:11], s[4:5], v[10:11]
	s_delay_alu instid0(VALU_DEP_1) | instskip(NEXT) | instid1(VALU_DEP_1)
	v_add_nc_u64_e32 v[10:11], s[10:11], v[10:11]
	v_lshl_add_u64 v[10:11], v[4:5], 2, v[10:11]
	s_delay_alu instid0(VALU_DEP_1)
	v_add_nc_u64_e32 v[10:11], v[10:11], v[2:3]
	flat_load_b32 v10, v[10:11]
	s_wait_loadcnt_dscnt 0x0
	ds_store_b32 v21, v10
	s_wait_xcnt 0x0
	s_or_b32 exec_lo, exec_lo, s18
	s_and_saveexec_b32 s18, s23
	s_cbranch_execz .LBB153_8
.LBB153_12:                             ;   in Loop: Header=BB153_4 Depth=1
	ds_store_b32 v15, v12
	s_or_b32 exec_lo, exec_lo, s18
	s_delay_alu instid0(SALU_CYCLE_1)
	s_and_b32 vcc_lo, exec_lo, s24
	s_cbranch_vccnz .LBB153_9
.LBB153_13:                             ;   in Loop: Header=BB153_4 Depth=1
	s_mov_b32 s18, 0
.LBB153_14:                             ;   in Loop: Header=BB153_4 Depth=1
	s_delay_alu instid0(SALU_CYCLE_1) | instskip(SKIP_1) | instid1(SALU_CYCLE_1)
	s_and_not1_b32 s18, s18, exec_lo
	s_and_b32 s19, s1, exec_lo
	s_or_b32 s18, s18, s19
.LBB153_15:                             ;   in Loop: Header=BB153_4 Depth=1
	s_delay_alu instid0(SALU_CYCLE_1)
	s_and_saveexec_b32 s19, s18
; %bb.16:                               ;   in Loop: Header=BB153_4 Depth=1
	ds_store_b32 v15, v3
; %bb.17:                               ;   in Loop: Header=BB153_4 Depth=1
	s_or_b32 exec_lo, exec_lo, s19
	s_wait_loadcnt_dscnt 0x0
	s_barrier_signal -1
	s_barrier_wait -1
	s_and_saveexec_b32 s18, s22
	s_cbranch_execz .LBB153_2
; %bb.18:                               ;   in Loop: Header=BB153_4 Depth=1
	ds_load_2addr_b32 v[10:11], v13 offset1:32
	ds_load_2addr_b32 v[24:25], v14 offset1:32
	ds_load_2addr_b32 v[26:27], v13 offset0:64 offset1:96
	ds_load_2addr_b32 v[28:29], v14 offset0:64 offset1:96
	;; [unrolled: 1-line block ×4, first 2 shown]
	v_add_nc_u64_e32 v[8:9], s[12:13], v[8:9]
	s_delay_alu instid0(VALU_DEP_1) | instskip(NEXT) | instid1(VALU_DEP_1)
	v_add_nc_u64_e32 v[8:9], s[10:11], v[8:9]
	v_lshl_add_u64 v[8:9], v[6:7], 2, v[8:9]
	s_wait_dscnt 0x4
	v_fma_f32 v23, v10, v24, 0
	s_delay_alu instid0(VALU_DEP_2) | instskip(NEXT) | instid1(VALU_DEP_2)
	v_add_nc_u64_e32 v[8:9], v[8:9], v[2:3]
	v_fmac_f32_e32 v23, v11, v25
	ds_load_2addr_b32 v[10:11], v13 offset0:192 offset1:224
	ds_load_2addr_b32 v[24:25], v14 offset0:192 offset1:224
	s_wait_dscnt 0x4
	v_fmac_f32_e32 v23, v26, v28
	s_delay_alu instid0(VALU_DEP_1) | instskip(SKIP_4) | instid1(VALU_DEP_1)
	v_fmac_f32_e32 v23, v27, v29
	ds_load_2addr_b32 v[26:27], v16 offset1:32
	ds_load_2addr_b32 v[28:29], v17 offset1:32
	s_wait_dscnt 0x4
	v_fmac_f32_e32 v23, v30, v32
	v_fmac_f32_e32 v23, v31, v33
	ds_load_2addr_b32 v[30:31], v16 offset0:64 offset1:96
	ds_load_2addr_b32 v[32:33], v17 offset0:64 offset1:96
	s_wait_dscnt 0x4
	v_fmac_f32_e32 v23, v10, v24
	s_delay_alu instid0(VALU_DEP_1) | instskip(SKIP_4) | instid1(VALU_DEP_1)
	v_fmac_f32_e32 v23, v11, v25
	ds_load_2addr_b32 v[10:11], v16 offset0:128 offset1:160
	ds_load_2addr_b32 v[24:25], v17 offset0:128 offset1:160
	s_wait_dscnt 0x4
	v_fmac_f32_e32 v23, v26, v28
	v_fmac_f32_e32 v23, v27, v29
	ds_load_2addr_b32 v[26:27], v16 offset0:192 offset1:224
	ds_load_2addr_b32 v[28:29], v17 offset0:192 offset1:224
	s_wait_dscnt 0x4
	v_fmac_f32_e32 v23, v30, v32
	s_delay_alu instid0(VALU_DEP_1) | instskip(SKIP_4) | instid1(VALU_DEP_1)
	v_fmac_f32_e32 v23, v31, v33
	ds_load_2addr_b32 v[30:31], v18 offset1:32
	ds_load_2addr_b32 v[32:33], v19 offset1:32
	s_wait_dscnt 0x4
	v_fmac_f32_e32 v23, v10, v24
	v_fmac_f32_e32 v23, v11, v25
	ds_load_2addr_b32 v[10:11], v18 offset0:64 offset1:96
	ds_load_2addr_b32 v[24:25], v19 offset0:64 offset1:96
	;; [unrolled: 1-line block ×4, first 2 shown]
	s_wait_dscnt 0x6
	v_fmac_f32_e32 v23, v26, v28
	s_delay_alu instid0(VALU_DEP_1) | instskip(SKIP_4) | instid1(VALU_DEP_1)
	v_fmac_f32_e32 v23, v27, v29
	ds_load_2addr_b32 v[26:27], v18 offset0:192 offset1:224
	ds_load_2addr_b32 v[28:29], v19 offset0:192 offset1:224
	s_wait_dscnt 0x6
	v_fmac_f32_e32 v23, v30, v32
	v_fmac_f32_e32 v23, v31, v33
	ds_load_2addr_b32 v[30:31], v20 offset1:32
	ds_load_2addr_b32 v[32:33], v22 offset1:32
	s_wait_dscnt 0x4
	v_pk_mul_f32 v[34:35], v[34:35], v[36:37]
	v_fmac_f32_e32 v23, v10, v24
	s_delay_alu instid0(VALU_DEP_1)
	v_fmac_f32_e32 v23, v11, v25
	ds_load_2addr_b32 v[10:11], v20 offset0:64 offset1:96
	ds_load_2addr_b32 v[24:25], v22 offset0:64 offset1:96
	s_wait_dscnt 0x4
	v_pk_mul_f32 v[26:27], v[26:27], v[28:29]
	v_add_f32_e32 v23, v23, v34
	s_delay_alu instid0(VALU_DEP_1)
	v_add_f32_e32 v23, v23, v35
	ds_load_2addr_b32 v[28:29], v20 offset0:128 offset1:160
	ds_load_2addr_b32 v[34:35], v22 offset0:128 offset1:160
	s_wait_dscnt 0x4
	v_pk_mul_f32 v[30:31], v[30:31], v[32:33]
	v_add_f32_e32 v23, v23, v26
	s_delay_alu instid0(VALU_DEP_1)
	v_add_f32_e32 v23, v23, v27
	ds_load_2addr_b32 v[26:27], v20 offset0:192 offset1:224
	s_wait_dscnt 0x3
	v_pk_mul_f32 v[10:11], v[10:11], v[24:25]
	ds_load_2addr_b32 v[24:25], v22 offset0:192 offset1:224
	v_add_f32_e32 v23, v23, v30
	s_delay_alu instid0(VALU_DEP_1) | instskip(SKIP_2) | instid1(VALU_DEP_2)
	v_add_f32_e32 v23, v23, v31
	s_wait_dscnt 0x2
	v_pk_mul_f32 v[28:29], v[28:29], v[34:35]
	v_add_f32_e32 v10, v23, v10
	s_delay_alu instid0(VALU_DEP_1) | instskip(NEXT) | instid1(VALU_DEP_1)
	v_add_f32_e32 v10, v10, v11
	v_add_f32_e32 v10, v10, v28
	s_delay_alu instid0(VALU_DEP_1) | instskip(SKIP_2) | instid1(VALU_DEP_1)
	v_add_f32_e32 v23, v10, v29
	s_wait_dscnt 0x0
	v_pk_mul_f32 v[10:11], v[26:27], v[24:25]
	v_add_f32_e32 v10, v23, v10
	s_delay_alu instid0(VALU_DEP_1) | instskip(NEXT) | instid1(VALU_DEP_1)
	v_add_f32_e32 v10, v10, v11
	v_mul_f32_e32 v10, s29, v10
	flat_store_b32 v[8:9], v10
	s_branch .LBB153_2
.LBB153_19:
	s_endpgm
	.section	.rodata,"a",@progbits
	.p2align	6, 0x0
	.amdhsa_kernel _ZL23rocblas_trmm_rTx_kernelILi32ELb0EffKPKfKPfEv13rocblas_fill_17rocblas_diagonal_iiT2_lPT3_llS9_llPT4_lli
		.amdhsa_group_segment_fixed_size 8192
		.amdhsa_private_segment_fixed_size 0
		.amdhsa_kernarg_size 108
		.amdhsa_user_sgpr_count 2
		.amdhsa_user_sgpr_dispatch_ptr 0
		.amdhsa_user_sgpr_queue_ptr 0
		.amdhsa_user_sgpr_kernarg_segment_ptr 1
		.amdhsa_user_sgpr_dispatch_id 0
		.amdhsa_user_sgpr_kernarg_preload_length 0
		.amdhsa_user_sgpr_kernarg_preload_offset 0
		.amdhsa_user_sgpr_private_segment_size 0
		.amdhsa_wavefront_size32 1
		.amdhsa_uses_dynamic_stack 0
		.amdhsa_enable_private_segment 0
		.amdhsa_system_sgpr_workgroup_id_x 1
		.amdhsa_system_sgpr_workgroup_id_y 0
		.amdhsa_system_sgpr_workgroup_id_z 1
		.amdhsa_system_sgpr_workgroup_info 0
		.amdhsa_system_vgpr_workitem_id 1
		.amdhsa_next_free_vgpr 38
		.amdhsa_next_free_sgpr 32
		.amdhsa_named_barrier_count 0
		.amdhsa_reserve_vcc 1
		.amdhsa_float_round_mode_32 0
		.amdhsa_float_round_mode_16_64 0
		.amdhsa_float_denorm_mode_32 3
		.amdhsa_float_denorm_mode_16_64 3
		.amdhsa_fp16_overflow 0
		.amdhsa_memory_ordered 1
		.amdhsa_forward_progress 1
		.amdhsa_inst_pref_size 12
		.amdhsa_round_robin_scheduling 0
		.amdhsa_exception_fp_ieee_invalid_op 0
		.amdhsa_exception_fp_denorm_src 0
		.amdhsa_exception_fp_ieee_div_zero 0
		.amdhsa_exception_fp_ieee_overflow 0
		.amdhsa_exception_fp_ieee_underflow 0
		.amdhsa_exception_fp_ieee_inexact 0
		.amdhsa_exception_int_div_zero 0
	.end_amdhsa_kernel
	.section	.text._ZL23rocblas_trmm_rTx_kernelILi32ELb0EffKPKfKPfEv13rocblas_fill_17rocblas_diagonal_iiT2_lPT3_llS9_llPT4_lli,"axG",@progbits,_ZL23rocblas_trmm_rTx_kernelILi32ELb0EffKPKfKPfEv13rocblas_fill_17rocblas_diagonal_iiT2_lPT3_llS9_llPT4_lli,comdat
.Lfunc_end153:
	.size	_ZL23rocblas_trmm_rTx_kernelILi32ELb0EffKPKfKPfEv13rocblas_fill_17rocblas_diagonal_iiT2_lPT3_llS9_llPT4_lli, .Lfunc_end153-_ZL23rocblas_trmm_rTx_kernelILi32ELb0EffKPKfKPfEv13rocblas_fill_17rocblas_diagonal_iiT2_lPT3_llS9_llPT4_lli
                                        ; -- End function
	.set _ZL23rocblas_trmm_rTx_kernelILi32ELb0EffKPKfKPfEv13rocblas_fill_17rocblas_diagonal_iiT2_lPT3_llS9_llPT4_lli.num_vgpr, 38
	.set _ZL23rocblas_trmm_rTx_kernelILi32ELb0EffKPKfKPfEv13rocblas_fill_17rocblas_diagonal_iiT2_lPT3_llS9_llPT4_lli.num_agpr, 0
	.set _ZL23rocblas_trmm_rTx_kernelILi32ELb0EffKPKfKPfEv13rocblas_fill_17rocblas_diagonal_iiT2_lPT3_llS9_llPT4_lli.numbered_sgpr, 32
	.set _ZL23rocblas_trmm_rTx_kernelILi32ELb0EffKPKfKPfEv13rocblas_fill_17rocblas_diagonal_iiT2_lPT3_llS9_llPT4_lli.num_named_barrier, 0
	.set _ZL23rocblas_trmm_rTx_kernelILi32ELb0EffKPKfKPfEv13rocblas_fill_17rocblas_diagonal_iiT2_lPT3_llS9_llPT4_lli.private_seg_size, 0
	.set _ZL23rocblas_trmm_rTx_kernelILi32ELb0EffKPKfKPfEv13rocblas_fill_17rocblas_diagonal_iiT2_lPT3_llS9_llPT4_lli.uses_vcc, 1
	.set _ZL23rocblas_trmm_rTx_kernelILi32ELb0EffKPKfKPfEv13rocblas_fill_17rocblas_diagonal_iiT2_lPT3_llS9_llPT4_lli.uses_flat_scratch, 0
	.set _ZL23rocblas_trmm_rTx_kernelILi32ELb0EffKPKfKPfEv13rocblas_fill_17rocblas_diagonal_iiT2_lPT3_llS9_llPT4_lli.has_dyn_sized_stack, 0
	.set _ZL23rocblas_trmm_rTx_kernelILi32ELb0EffKPKfKPfEv13rocblas_fill_17rocblas_diagonal_iiT2_lPT3_llS9_llPT4_lli.has_recursion, 0
	.set _ZL23rocblas_trmm_rTx_kernelILi32ELb0EffKPKfKPfEv13rocblas_fill_17rocblas_diagonal_iiT2_lPT3_llS9_llPT4_lli.has_indirect_call, 0
	.section	.AMDGPU.csdata,"",@progbits
; Kernel info:
; codeLenInByte = 1424
; TotalNumSgprs: 34
; NumVgprs: 38
; ScratchSize: 0
; MemoryBound: 0
; FloatMode: 240
; IeeeMode: 1
; LDSByteSize: 8192 bytes/workgroup (compile time only)
; SGPRBlocks: 0
; VGPRBlocks: 2
; NumSGPRsForWavesPerEU: 34
; NumVGPRsForWavesPerEU: 38
; NamedBarCnt: 0
; Occupancy: 16
; WaveLimiterHint : 1
; COMPUTE_PGM_RSRC2:SCRATCH_EN: 0
; COMPUTE_PGM_RSRC2:USER_SGPR: 2
; COMPUTE_PGM_RSRC2:TRAP_HANDLER: 0
; COMPUTE_PGM_RSRC2:TGID_X_EN: 1
; COMPUTE_PGM_RSRC2:TGID_Y_EN: 0
; COMPUTE_PGM_RSRC2:TGID_Z_EN: 1
; COMPUTE_PGM_RSRC2:TIDIG_COMP_CNT: 1
	.section	.text._ZL23rocblas_trmm_rTx_kernelILi32ELb1EfPKfKS1_KPfEv13rocblas_fill_17rocblas_diagonal_iiT2_lPT3_llS9_llPT4_lli,"axG",@progbits,_ZL23rocblas_trmm_rTx_kernelILi32ELb1EfPKfKS1_KPfEv13rocblas_fill_17rocblas_diagonal_iiT2_lPT3_llS9_llPT4_lli,comdat
	.globl	_ZL23rocblas_trmm_rTx_kernelILi32ELb1EfPKfKS1_KPfEv13rocblas_fill_17rocblas_diagonal_iiT2_lPT3_llS9_llPT4_lli ; -- Begin function _ZL23rocblas_trmm_rTx_kernelILi32ELb1EfPKfKS1_KPfEv13rocblas_fill_17rocblas_diagonal_iiT2_lPT3_llS9_llPT4_lli
	.p2align	8
	.type	_ZL23rocblas_trmm_rTx_kernelILi32ELb1EfPKfKS1_KPfEv13rocblas_fill_17rocblas_diagonal_iiT2_lPT3_llS9_llPT4_lli,@function
_ZL23rocblas_trmm_rTx_kernelILi32ELb1EfPKfKS1_KPfEv13rocblas_fill_17rocblas_diagonal_iiT2_lPT3_llS9_llPT4_lli: ; @_ZL23rocblas_trmm_rTx_kernelILi32ELb1EfPKfKS1_KPfEv13rocblas_fill_17rocblas_diagonal_iiT2_lPT3_llS9_llPT4_lli
; %bb.0:
	s_load_b32 s33, s[0:1], 0x68
	s_bfe_u32 s2, ttmp6, 0x40014
	s_lshr_b32 s3, ttmp7, 16
	s_add_co_i32 s2, s2, 1
	s_bfe_u32 s5, ttmp6, 0x40008
	s_mul_i32 s4, s3, s2
	s_getreg_b32 s2, hwreg(HW_REG_IB_STS2, 6, 4)
	s_add_co_i32 s5, s5, s4
	s_cmp_eq_u32 s2, 0
	s_mov_b32 s7, 0
	s_cselect_b32 s6, s3, s5
	s_wait_kmcnt 0x0
	s_cmp_ge_u32 s6, s33
	s_cbranch_scc1 .LBB154_19
; %bb.1:
	s_clause 0x3
	s_load_b128 s[28:31], s[0:1], 0x0
	s_load_b512 s[8:23], s[0:1], 0x10
	s_load_b64 s[34:35], s[0:1], 0x60
	s_load_b128 s[24:27], s[0:1], 0x50
	v_bfe_u32 v2, v0, 10, 10
	s_wait_xcnt 0x0
	s_bfe_u32 s0, ttmp6, 0x4000c
	v_and_b32_e32 v8, 0x3ff, v0
	s_add_co_i32 s0, s0, 1
	v_dual_mov_b32 v3, 0 :: v_dual_mov_b32 v12, 1.0
	v_dual_lshlrev_b32 v0, 5, v2 :: v_dual_lshlrev_b32 v14, 2, v2
	s_and_b32 s3, ttmp6, 15
	s_mul_i32 s4, ttmp9, s0
	v_cmp_eq_u32_e32 vcc_lo, v2, v8
	s_add_co_i32 s3, s3, s4
	v_add_lshl_u32 v15, v0, v8, 2
	v_lshl_add_u32 v13, v8, 2, 0x1000
	v_cmp_lt_u32_e64 s0, v8, v2
	v_cmp_gt_u32_e64 s1, v8, v2
	s_wait_kmcnt 0x0
	s_add_co_i32 s4, s30, -1
	v_mul_u64_e32 v[0:1], s[14:15], v[2:3]
	s_ashr_i32 s5, s4, 31
	v_mul_u64_e32 v[4:5], s[20:21], v[2:3]
	v_mul_u64_e32 v[6:7], s[26:27], v[2:3]
	s_lshr_b32 s5, s5, 27
	v_add_nc_u32_e32 v16, 0x400, v13
	s_add_co_i32 s4, s4, s5
	v_add_nc_u32_e32 v17, 0x400, v14
	s_and_b32 s5, s4, 0xffffffe0
	s_ashr_i32 s4, s4, 5
	s_sub_co_i32 s5, s30, s5
	s_cmp_eq_u32 s2, 0
	v_cmp_gt_i32_e64 s2, s31, v2
	s_cselect_b32 s14, ttmp9, s3
	v_cmp_gt_i32_e64 s3, s31, v8
	s_cmp_ge_i32 s14, s4
	v_add_nc_u32_e32 v18, 0x800, v13
	s_cselect_b32 s4, s5, 32
	s_lshl_b32 s14, s14, 5
	v_cmp_gt_i32_e64 s4, s4, v8
	s_and_b32 s26, s2, s3
	s_ashr_i32 s15, s14, 31
	v_add_nc_u32_e32 v19, 0x800, v14
	v_add_nc_u32_e32 v20, 0x1000, v15
	s_and_b32 s27, s2, s4
	s_cmp_eq_u32 s29, 0x84
	v_lshlrev_b32_e32 v2, 2, v8
	s_cselect_b32 s2, -1, 0
	v_add_nc_u32_e32 v21, 0xc00, v13
	s_and_b32 s29, vcc_lo, s2
	v_add_nc_u32_e32 v22, 0xc00, v14
	s_cmp_lg_u32 s28, 0x79
	s_cselect_b32 s28, -1, 0
	s_lshl_b64 s[2:3], s[16:17], 2
	s_lshl_b64 s[4:5], s[22:23], 2
	;; [unrolled: 1-line block ×4, first 2 shown]
	s_branch .LBB154_4
.LBB154_2:                              ;   in Loop: Header=BB154_4 Depth=1
	s_wait_xcnt 0x0
	s_or_b32 exec_lo, exec_lo, s20
.LBB154_3:                              ;   in Loop: Header=BB154_4 Depth=1
	s_add_co_i32 s6, s6, 0x10000
	s_delay_alu instid0(SALU_CYCLE_1)
	s_cmp_lt_u32 s6, s33
	s_cbranch_scc0 .LBB154_19
.LBB154_4:                              ; =>This Inner Loop Header: Depth=1
	s_wait_xcnt 0x0
	s_mul_u64 s[20:21], s[10:11], s[6:7]
	s_delay_alu instid0(SALU_CYCLE_1) | instskip(NEXT) | instid1(SALU_CYCLE_1)
	s_lshl_b64 s[20:21], s[20:21], 2
	s_add_nc_u64 s[20:21], s[8:9], s[20:21]
	global_load_b32 v23, v3, s[20:21]
	s_wait_loadcnt 0x0
	v_cmp_eq_f32_e32 vcc_lo, 0, v23
	s_cbranch_vccnz .LBB154_3
; %bb.5:                                ;   in Loop: Header=BB154_4 Depth=1
	s_wait_xcnt 0x0
	s_lshl_b64 s[20:21], s[6:7], 3
	s_delay_alu instid0(SALU_CYCLE_1)
	s_add_nc_u64 s[22:23], s[18:19], s[20:21]
	s_add_nc_u64 s[30:31], s[24:25], s[20:21]
	s_clause 0x1
	global_load_b64 v[10:11], v3, s[22:23]
	global_load_b64 v[8:9], v3, s[30:31]
	ds_store_b32 v15, v3
	ds_store_b32 v20, v3
	s_wait_xcnt 0x0
	s_and_saveexec_b32 s22, s26
	s_cbranch_execnz .LBB154_10
; %bb.6:                                ;   in Loop: Header=BB154_4 Depth=1
	s_or_b32 exec_lo, exec_lo, s22
	s_and_saveexec_b32 s20, s27
	s_cbranch_execnz .LBB154_11
.LBB154_7:                              ;   in Loop: Header=BB154_4 Depth=1
	s_or_b32 exec_lo, exec_lo, s20
	s_and_saveexec_b32 s20, s29
	s_cbranch_execnz .LBB154_12
.LBB154_8:                              ;   in Loop: Header=BB154_4 Depth=1
	s_or_b32 exec_lo, exec_lo, s20
	s_delay_alu instid0(SALU_CYCLE_1)
	s_and_b32 vcc_lo, exec_lo, s28
	s_cbranch_vccz .LBB154_13
.LBB154_9:                              ;   in Loop: Header=BB154_4 Depth=1
	s_and_b32 s20, s0, exec_lo
	s_cbranch_execz .LBB154_14
	s_branch .LBB154_15
.LBB154_10:                             ;   in Loop: Header=BB154_4 Depth=1
	s_add_nc_u64 s[20:21], s[12:13], s[20:21]
	global_load_b64 v[24:25], v3, s[20:21]
	s_wait_loadcnt 0x0
	v_add_nc_u64_e32 v[24:25], s[2:3], v[24:25]
	s_delay_alu instid0(VALU_DEP_1) | instskip(NEXT) | instid1(VALU_DEP_1)
	v_lshl_add_u64 v[24:25], v[0:1], 2, v[24:25]
	v_add_nc_u64_e32 v[24:25], v[24:25], v[2:3]
	flat_load_b32 v24, v[24:25]
	s_wait_loadcnt_dscnt 0x0
	ds_store_b32 v15, v24
	s_wait_xcnt 0x0
	s_or_b32 exec_lo, exec_lo, s22
	s_and_saveexec_b32 s20, s27
	s_cbranch_execz .LBB154_7
.LBB154_11:                             ;   in Loop: Header=BB154_4 Depth=1
	s_wait_loadcnt 0x1
	v_add_nc_u64_e32 v[10:11], s[4:5], v[10:11]
	s_delay_alu instid0(VALU_DEP_1) | instskip(NEXT) | instid1(VALU_DEP_1)
	v_add_nc_u64_e32 v[10:11], s[14:15], v[10:11]
	v_lshl_add_u64 v[10:11], v[4:5], 2, v[10:11]
	s_delay_alu instid0(VALU_DEP_1)
	v_add_nc_u64_e32 v[10:11], v[10:11], v[2:3]
	flat_load_b32 v10, v[10:11]
	s_wait_loadcnt_dscnt 0x0
	ds_store_b32 v20, v10
	s_wait_xcnt 0x0
	s_or_b32 exec_lo, exec_lo, s20
	s_and_saveexec_b32 s20, s29
	s_cbranch_execz .LBB154_8
.LBB154_12:                             ;   in Loop: Header=BB154_4 Depth=1
	ds_store_b32 v15, v12
	s_or_b32 exec_lo, exec_lo, s20
	s_delay_alu instid0(SALU_CYCLE_1)
	s_and_b32 vcc_lo, exec_lo, s28
	s_cbranch_vccnz .LBB154_9
.LBB154_13:                             ;   in Loop: Header=BB154_4 Depth=1
	s_mov_b32 s20, 0
.LBB154_14:                             ;   in Loop: Header=BB154_4 Depth=1
	s_delay_alu instid0(SALU_CYCLE_1) | instskip(SKIP_1) | instid1(SALU_CYCLE_1)
	s_and_not1_b32 s20, s20, exec_lo
	s_and_b32 s21, s1, exec_lo
	s_or_b32 s20, s20, s21
.LBB154_15:                             ;   in Loop: Header=BB154_4 Depth=1
	s_delay_alu instid0(SALU_CYCLE_1)
	s_and_saveexec_b32 s21, s20
; %bb.16:                               ;   in Loop: Header=BB154_4 Depth=1
	ds_store_b32 v15, v3
; %bb.17:                               ;   in Loop: Header=BB154_4 Depth=1
	s_or_b32 exec_lo, exec_lo, s21
	s_wait_loadcnt_dscnt 0x0
	s_barrier_signal -1
	s_barrier_wait -1
	s_and_saveexec_b32 s20, s27
	s_cbranch_execz .LBB154_2
; %bb.18:                               ;   in Loop: Header=BB154_4 Depth=1
	ds_load_2addr_b32 v[10:11], v13 offset1:32
	ds_load_2addr_b32 v[24:25], v14 offset1:32
	ds_load_2addr_b32 v[26:27], v13 offset0:64 offset1:96
	ds_load_2addr_b32 v[28:29], v14 offset0:64 offset1:96
	;; [unrolled: 1-line block ×4, first 2 shown]
	v_add_nc_u64_e32 v[8:9], s[16:17], v[8:9]
	s_delay_alu instid0(VALU_DEP_1) | instskip(NEXT) | instid1(VALU_DEP_1)
	v_add_nc_u64_e32 v[8:9], s[14:15], v[8:9]
	v_lshl_add_u64 v[8:9], v[6:7], 2, v[8:9]
	s_wait_dscnt 0x4
	v_fma_f32 v38, v10, v24, 0
	s_delay_alu instid0(VALU_DEP_2) | instskip(NEXT) | instid1(VALU_DEP_2)
	v_add_nc_u64_e32 v[8:9], v[8:9], v[2:3]
	v_fmac_f32_e32 v38, v11, v25
	ds_load_2addr_b32 v[10:11], v13 offset0:192 offset1:224
	ds_load_2addr_b32 v[24:25], v14 offset0:192 offset1:224
	s_wait_dscnt 0x4
	v_fmac_f32_e32 v38, v26, v28
	s_delay_alu instid0(VALU_DEP_1) | instskip(SKIP_4) | instid1(VALU_DEP_1)
	v_fmac_f32_e32 v38, v27, v29
	ds_load_2addr_b32 v[26:27], v16 offset1:32
	ds_load_2addr_b32 v[28:29], v17 offset1:32
	s_wait_dscnt 0x4
	v_fmac_f32_e32 v38, v30, v32
	v_fmac_f32_e32 v38, v31, v33
	ds_load_2addr_b32 v[30:31], v16 offset0:64 offset1:96
	ds_load_2addr_b32 v[32:33], v17 offset0:64 offset1:96
	s_wait_dscnt 0x4
	v_fmac_f32_e32 v38, v10, v24
	s_delay_alu instid0(VALU_DEP_1) | instskip(SKIP_4) | instid1(VALU_DEP_1)
	v_fmac_f32_e32 v38, v11, v25
	ds_load_2addr_b32 v[10:11], v16 offset0:128 offset1:160
	ds_load_2addr_b32 v[24:25], v17 offset0:128 offset1:160
	s_wait_dscnt 0x4
	v_fmac_f32_e32 v38, v26, v28
	v_fmac_f32_e32 v38, v27, v29
	ds_load_2addr_b32 v[26:27], v16 offset0:192 offset1:224
	ds_load_2addr_b32 v[28:29], v17 offset0:192 offset1:224
	s_wait_dscnt 0x4
	v_fmac_f32_e32 v38, v30, v32
	s_delay_alu instid0(VALU_DEP_1) | instskip(SKIP_4) | instid1(VALU_DEP_1)
	v_fmac_f32_e32 v38, v31, v33
	ds_load_2addr_b32 v[30:31], v18 offset1:32
	ds_load_2addr_b32 v[32:33], v19 offset1:32
	s_wait_dscnt 0x4
	v_fmac_f32_e32 v38, v10, v24
	v_fmac_f32_e32 v38, v11, v25
	ds_load_2addr_b32 v[10:11], v18 offset0:64 offset1:96
	ds_load_2addr_b32 v[24:25], v19 offset0:64 offset1:96
	;; [unrolled: 1-line block ×4, first 2 shown]
	s_wait_dscnt 0x6
	v_fmac_f32_e32 v38, v26, v28
	s_delay_alu instid0(VALU_DEP_1) | instskip(SKIP_4) | instid1(VALU_DEP_1)
	v_fmac_f32_e32 v38, v27, v29
	ds_load_2addr_b32 v[26:27], v18 offset0:192 offset1:224
	ds_load_2addr_b32 v[28:29], v19 offset0:192 offset1:224
	s_wait_dscnt 0x6
	v_fmac_f32_e32 v38, v30, v32
	v_fmac_f32_e32 v38, v31, v33
	ds_load_2addr_b32 v[30:31], v21 offset1:32
	ds_load_2addr_b32 v[32:33], v22 offset1:32
	s_wait_dscnt 0x4
	v_pk_mul_f32 v[34:35], v[34:35], v[36:37]
	v_fmac_f32_e32 v38, v10, v24
	s_delay_alu instid0(VALU_DEP_1)
	v_fmac_f32_e32 v38, v11, v25
	ds_load_2addr_b32 v[10:11], v21 offset0:64 offset1:96
	ds_load_2addr_b32 v[24:25], v22 offset0:64 offset1:96
	s_wait_dscnt 0x4
	v_pk_mul_f32 v[26:27], v[26:27], v[28:29]
	v_add_f32_e32 v34, v38, v34
	s_delay_alu instid0(VALU_DEP_1) | instskip(SKIP_2) | instid1(VALU_DEP_2)
	v_add_f32_e32 v28, v34, v35
	s_wait_dscnt 0x2
	v_pk_mul_f32 v[30:31], v[30:31], v[32:33]
	v_add_f32_e32 v26, v28, v26
	ds_load_2addr_b32 v[28:29], v21 offset0:128 offset1:160
	ds_load_2addr_b32 v[34:35], v22 offset0:128 offset1:160
	v_add_f32_e32 v26, v26, v27
	s_wait_dscnt 0x2
	v_pk_mul_f32 v[10:11], v[10:11], v[24:25]
	ds_load_2addr_b32 v[24:25], v22 offset0:192 offset1:224
	v_add_f32_e32 v30, v26, v30
	ds_load_2addr_b32 v[26:27], v21 offset0:192 offset1:224
	v_add_f32_e32 v30, v30, v31
	s_delay_alu instid0(VALU_DEP_1) | instskip(SKIP_2) | instid1(VALU_DEP_2)
	v_add_f32_e32 v10, v30, v10
	s_wait_dscnt 0x2
	v_pk_mul_f32 v[28:29], v[28:29], v[34:35]
	v_add_f32_e32 v10, v10, v11
	s_delay_alu instid0(VALU_DEP_1) | instskip(NEXT) | instid1(VALU_DEP_1)
	v_add_f32_e32 v10, v10, v28
	v_add_f32_e32 v28, v10, v29
	s_wait_dscnt 0x0
	v_pk_mul_f32 v[10:11], v[26:27], v[24:25]
	s_delay_alu instid0(VALU_DEP_1) | instskip(NEXT) | instid1(VALU_DEP_1)
	v_add_f32_e32 v10, v28, v10
	v_add_f32_e32 v10, v10, v11
	s_delay_alu instid0(VALU_DEP_1)
	v_mul_f32_e32 v10, v23, v10
	flat_store_b32 v[8:9], v10
	s_branch .LBB154_2
.LBB154_19:
	s_endpgm
	.section	.rodata,"a",@progbits
	.p2align	6, 0x0
	.amdhsa_kernel _ZL23rocblas_trmm_rTx_kernelILi32ELb1EfPKfKS1_KPfEv13rocblas_fill_17rocblas_diagonal_iiT2_lPT3_llS9_llPT4_lli
		.amdhsa_group_segment_fixed_size 8192
		.amdhsa_private_segment_fixed_size 0
		.amdhsa_kernarg_size 108
		.amdhsa_user_sgpr_count 2
		.amdhsa_user_sgpr_dispatch_ptr 0
		.amdhsa_user_sgpr_queue_ptr 0
		.amdhsa_user_sgpr_kernarg_segment_ptr 1
		.amdhsa_user_sgpr_dispatch_id 0
		.amdhsa_user_sgpr_kernarg_preload_length 0
		.amdhsa_user_sgpr_kernarg_preload_offset 0
		.amdhsa_user_sgpr_private_segment_size 0
		.amdhsa_wavefront_size32 1
		.amdhsa_uses_dynamic_stack 0
		.amdhsa_enable_private_segment 0
		.amdhsa_system_sgpr_workgroup_id_x 1
		.amdhsa_system_sgpr_workgroup_id_y 0
		.amdhsa_system_sgpr_workgroup_id_z 1
		.amdhsa_system_sgpr_workgroup_info 0
		.amdhsa_system_vgpr_workitem_id 1
		.amdhsa_next_free_vgpr 39
		.amdhsa_next_free_sgpr 36
		.amdhsa_named_barrier_count 0
		.amdhsa_reserve_vcc 1
		.amdhsa_float_round_mode_32 0
		.amdhsa_float_round_mode_16_64 0
		.amdhsa_float_denorm_mode_32 3
		.amdhsa_float_denorm_mode_16_64 3
		.amdhsa_fp16_overflow 0
		.amdhsa_memory_ordered 1
		.amdhsa_forward_progress 1
		.amdhsa_inst_pref_size 12
		.amdhsa_round_robin_scheduling 0
		.amdhsa_exception_fp_ieee_invalid_op 0
		.amdhsa_exception_fp_denorm_src 0
		.amdhsa_exception_fp_ieee_div_zero 0
		.amdhsa_exception_fp_ieee_overflow 0
		.amdhsa_exception_fp_ieee_underflow 0
		.amdhsa_exception_fp_ieee_inexact 0
		.amdhsa_exception_int_div_zero 0
	.end_amdhsa_kernel
	.section	.text._ZL23rocblas_trmm_rTx_kernelILi32ELb1EfPKfKS1_KPfEv13rocblas_fill_17rocblas_diagonal_iiT2_lPT3_llS9_llPT4_lli,"axG",@progbits,_ZL23rocblas_trmm_rTx_kernelILi32ELb1EfPKfKS1_KPfEv13rocblas_fill_17rocblas_diagonal_iiT2_lPT3_llS9_llPT4_lli,comdat
.Lfunc_end154:
	.size	_ZL23rocblas_trmm_rTx_kernelILi32ELb1EfPKfKS1_KPfEv13rocblas_fill_17rocblas_diagonal_iiT2_lPT3_llS9_llPT4_lli, .Lfunc_end154-_ZL23rocblas_trmm_rTx_kernelILi32ELb1EfPKfKS1_KPfEv13rocblas_fill_17rocblas_diagonal_iiT2_lPT3_llS9_llPT4_lli
                                        ; -- End function
	.set _ZL23rocblas_trmm_rTx_kernelILi32ELb1EfPKfKS1_KPfEv13rocblas_fill_17rocblas_diagonal_iiT2_lPT3_llS9_llPT4_lli.num_vgpr, 39
	.set _ZL23rocblas_trmm_rTx_kernelILi32ELb1EfPKfKS1_KPfEv13rocblas_fill_17rocblas_diagonal_iiT2_lPT3_llS9_llPT4_lli.num_agpr, 0
	.set _ZL23rocblas_trmm_rTx_kernelILi32ELb1EfPKfKS1_KPfEv13rocblas_fill_17rocblas_diagonal_iiT2_lPT3_llS9_llPT4_lli.numbered_sgpr, 36
	.set _ZL23rocblas_trmm_rTx_kernelILi32ELb1EfPKfKS1_KPfEv13rocblas_fill_17rocblas_diagonal_iiT2_lPT3_llS9_llPT4_lli.num_named_barrier, 0
	.set _ZL23rocblas_trmm_rTx_kernelILi32ELb1EfPKfKS1_KPfEv13rocblas_fill_17rocblas_diagonal_iiT2_lPT3_llS9_llPT4_lli.private_seg_size, 0
	.set _ZL23rocblas_trmm_rTx_kernelILi32ELb1EfPKfKS1_KPfEv13rocblas_fill_17rocblas_diagonal_iiT2_lPT3_llS9_llPT4_lli.uses_vcc, 1
	.set _ZL23rocblas_trmm_rTx_kernelILi32ELb1EfPKfKS1_KPfEv13rocblas_fill_17rocblas_diagonal_iiT2_lPT3_llS9_llPT4_lli.uses_flat_scratch, 0
	.set _ZL23rocblas_trmm_rTx_kernelILi32ELb1EfPKfKS1_KPfEv13rocblas_fill_17rocblas_diagonal_iiT2_lPT3_llS9_llPT4_lli.has_dyn_sized_stack, 0
	.set _ZL23rocblas_trmm_rTx_kernelILi32ELb1EfPKfKS1_KPfEv13rocblas_fill_17rocblas_diagonal_iiT2_lPT3_llS9_llPT4_lli.has_recursion, 0
	.set _ZL23rocblas_trmm_rTx_kernelILi32ELb1EfPKfKS1_KPfEv13rocblas_fill_17rocblas_diagonal_iiT2_lPT3_llS9_llPT4_lli.has_indirect_call, 0
	.section	.AMDGPU.csdata,"",@progbits
; Kernel info:
; codeLenInByte = 1444
; TotalNumSgprs: 38
; NumVgprs: 39
; ScratchSize: 0
; MemoryBound: 0
; FloatMode: 240
; IeeeMode: 1
; LDSByteSize: 8192 bytes/workgroup (compile time only)
; SGPRBlocks: 0
; VGPRBlocks: 2
; NumSGPRsForWavesPerEU: 38
; NumVGPRsForWavesPerEU: 39
; NamedBarCnt: 0
; Occupancy: 16
; WaveLimiterHint : 1
; COMPUTE_PGM_RSRC2:SCRATCH_EN: 0
; COMPUTE_PGM_RSRC2:USER_SGPR: 2
; COMPUTE_PGM_RSRC2:TRAP_HANDLER: 0
; COMPUTE_PGM_RSRC2:TGID_X_EN: 1
; COMPUTE_PGM_RSRC2:TGID_Y_EN: 0
; COMPUTE_PGM_RSRC2:TGID_Z_EN: 1
; COMPUTE_PGM_RSRC2:TIDIG_COMP_CNT: 1
	.section	.text._ZL23rocblas_trmm_rTx_kernelILi32ELb1EffKPKfKPfEv13rocblas_fill_17rocblas_diagonal_iiT2_lPT3_llS9_llPT4_lli,"axG",@progbits,_ZL23rocblas_trmm_rTx_kernelILi32ELb1EffKPKfKPfEv13rocblas_fill_17rocblas_diagonal_iiT2_lPT3_llS9_llPT4_lli,comdat
	.globl	_ZL23rocblas_trmm_rTx_kernelILi32ELb1EffKPKfKPfEv13rocblas_fill_17rocblas_diagonal_iiT2_lPT3_llS9_llPT4_lli ; -- Begin function _ZL23rocblas_trmm_rTx_kernelILi32ELb1EffKPKfKPfEv13rocblas_fill_17rocblas_diagonal_iiT2_lPT3_llS9_llPT4_lli
	.p2align	8
	.type	_ZL23rocblas_trmm_rTx_kernelILi32ELb1EffKPKfKPfEv13rocblas_fill_17rocblas_diagonal_iiT2_lPT3_llS9_llPT4_lli,@function
_ZL23rocblas_trmm_rTx_kernelILi32ELb1EffKPKfKPfEv13rocblas_fill_17rocblas_diagonal_iiT2_lPT3_llS9_llPT4_lli: ; @_ZL23rocblas_trmm_rTx_kernelILi32ELb1EffKPKfKPfEv13rocblas_fill_17rocblas_diagonal_iiT2_lPT3_llS9_llPT4_lli
; %bb.0:
	s_load_b32 s28, s[0:1], 0x68
	s_bfe_u32 s2, ttmp6, 0x40014
	s_lshr_b32 s3, ttmp7, 16
	s_add_co_i32 s2, s2, 1
	s_bfe_u32 s5, ttmp6, 0x40008
	s_mul_i32 s4, s3, s2
	s_getreg_b32 s2, hwreg(HW_REG_IB_STS2, 6, 4)
	s_add_co_i32 s5, s5, s4
	s_cmp_eq_u32 s2, 0
	s_mov_b32 s7, 0
	s_cselect_b32 s6, s3, s5
	s_wait_kmcnt 0x0
	s_cmp_ge_u32 s6, s28
	s_cbranch_scc1 .LBB155_19
; %bb.1:
	s_clause 0x2
	s_load_b32 s29, s[0:1], 0x10
	s_load_b512 s[8:23], s[0:1], 0x20
	s_load_b128 s[24:27], s[0:1], 0x0
	v_bfe_u32 v2, v0, 10, 10
	v_dual_mov_b32 v3, 0 :: v_dual_mov_b32 v12, 1.0
	v_and_b32_e32 v8, 0x3ff, v0
	s_load_b64 s[30:31], s[0:1], 0x60
	s_delay_alu instid0(VALU_DEP_3) | instskip(NEXT) | instid1(VALU_DEP_2)
	v_dual_lshlrev_b32 v0, 5, v2 :: v_dual_lshlrev_b32 v14, 2, v2
	v_cmp_eq_u32_e32 vcc_lo, v2, v8
	v_lshl_add_u32 v13, v8, 2, 0x1000
	s_delay_alu instid0(VALU_DEP_3)
	v_add_lshl_u32 v15, v0, v8, 2
	s_wait_xcnt 0x0
	v_cmp_lt_u32_e64 s0, v8, v2
	v_cmp_gt_u32_e64 s1, v8, v2
	v_add_nc_u32_e32 v17, 0x400, v14
	v_add_nc_u32_e32 v16, 0x400, v13
	;; [unrolled: 1-line block ×4, first 2 shown]
	s_wait_kmcnt 0x0
	s_cmp_neq_f32 s29, 0
	v_mul_u64_e32 v[4:5], s[16:17], v[2:3]
	v_mul_u64_e32 v[0:1], s[10:11], v[2:3]
	;; [unrolled: 1-line block ×3, first 2 shown]
	s_cselect_b32 s16, -1, 0
	s_add_co_i32 s3, s26, -1
	s_bfe_u32 s5, ttmp6, 0x4000c
	s_ashr_i32 s10, s3, 31
	s_add_co_i32 s5, s5, 1
	s_lshr_b32 s10, s10, 27
	s_and_b32 s4, ttmp6, 15
	s_mul_i32 s5, ttmp9, s5
	s_add_co_i32 s3, s3, s10
	s_add_co_i32 s4, s4, s5
	s_and_b32 s5, s3, 0xffffffe0
	s_ashr_i32 s3, s3, 5
	s_sub_co_i32 s5, s26, s5
	s_cmp_eq_u32 s2, 0
	v_cmp_gt_i32_e64 s2, s27, v2
	s_cselect_b32 s10, ttmp9, s4
	v_add_nc_u32_e32 v20, 0xc00, v13
	s_cmp_ge_i32 s10, s3
	v_cmp_gt_i32_e64 s3, s27, v8
	s_cselect_b32 s4, s5, 32
	s_lshl_b32 s10, s10, 5
	v_cmp_gt_i32_e64 s4, s4, v8
	s_ashr_i32 s11, s10, 31
	s_and_b32 s17, s2, s3
	v_add_nc_u32_e32 v21, 0x1000, v15
	v_lshlrev_b32_e32 v2, 2, v8
	s_and_b32 s22, s2, s4
	s_cmp_eq_u32 s25, 0x84
	v_add_nc_u32_e32 v22, 0xc00, v14
	s_cselect_b32 s2, -1, 0
	s_delay_alu instid0(SALU_CYCLE_1)
	s_and_b32 s23, vcc_lo, s2
	s_cmp_lg_u32 s24, 0x79
	s_cselect_b32 s24, -1, 0
	s_lshl_b64 s[2:3], s[12:13], 2
	s_lshl_b64 s[4:5], s[18:19], 2
	;; [unrolled: 1-line block ×4, first 2 shown]
	s_branch .LBB155_4
.LBB155_2:                              ;   in Loop: Header=BB155_4 Depth=1
	s_wait_xcnt 0x0
	s_or_b32 exec_lo, exec_lo, s18
.LBB155_3:                              ;   in Loop: Header=BB155_4 Depth=1
	s_add_co_i32 s6, s6, 0x10000
	s_delay_alu instid0(SALU_CYCLE_1)
	s_cmp_lt_u32 s6, s28
	s_cbranch_scc0 .LBB155_19
.LBB155_4:                              ; =>This Inner Loop Header: Depth=1
	s_and_not1_b32 vcc_lo, exec_lo, s16
	s_cbranch_vccnz .LBB155_3
; %bb.5:                                ;   in Loop: Header=BB155_4 Depth=1
	v_mov_b32_e32 v23, s6
	s_clause 0x1
	global_load_b64 v[10:11], v23, s[14:15] scale_offset
	global_load_b64 v[8:9], v23, s[20:21] scale_offset
	ds_store_b32 v15, v3
	ds_store_b32 v21, v3
	s_wait_xcnt 0x0
	s_and_saveexec_b32 s18, s17
	s_cbranch_execnz .LBB155_10
; %bb.6:                                ;   in Loop: Header=BB155_4 Depth=1
	s_or_b32 exec_lo, exec_lo, s18
	s_and_saveexec_b32 s18, s22
	s_cbranch_execnz .LBB155_11
.LBB155_7:                              ;   in Loop: Header=BB155_4 Depth=1
	s_or_b32 exec_lo, exec_lo, s18
	s_and_saveexec_b32 s18, s23
	s_cbranch_execnz .LBB155_12
.LBB155_8:                              ;   in Loop: Header=BB155_4 Depth=1
	s_or_b32 exec_lo, exec_lo, s18
	s_delay_alu instid0(SALU_CYCLE_1)
	s_and_b32 vcc_lo, exec_lo, s24
	s_cbranch_vccz .LBB155_13
.LBB155_9:                              ;   in Loop: Header=BB155_4 Depth=1
	s_and_b32 s18, s0, exec_lo
	s_cbranch_execz .LBB155_14
	s_branch .LBB155_15
.LBB155_10:                             ;   in Loop: Header=BB155_4 Depth=1
	s_lshl_b64 s[26:27], s[6:7], 3
	s_delay_alu instid0(SALU_CYCLE_1) | instskip(SKIP_3) | instid1(VALU_DEP_1)
	s_add_nc_u64 s[26:27], s[8:9], s[26:27]
	global_load_b64 v[24:25], v3, s[26:27]
	s_wait_loadcnt 0x0
	v_add_nc_u64_e32 v[24:25], s[2:3], v[24:25]
	v_lshl_add_u64 v[24:25], v[0:1], 2, v[24:25]
	s_delay_alu instid0(VALU_DEP_1)
	v_add_nc_u64_e32 v[24:25], v[24:25], v[2:3]
	flat_load_b32 v23, v[24:25]
	s_wait_loadcnt_dscnt 0x0
	ds_store_b32 v15, v23
	s_wait_xcnt 0x0
	s_or_b32 exec_lo, exec_lo, s18
	s_and_saveexec_b32 s18, s22
	s_cbranch_execz .LBB155_7
.LBB155_11:                             ;   in Loop: Header=BB155_4 Depth=1
	s_wait_loadcnt 0x1
	v_add_nc_u64_e32 v[10:11], s[4:5], v[10:11]
	s_delay_alu instid0(VALU_DEP_1) | instskip(NEXT) | instid1(VALU_DEP_1)
	v_add_nc_u64_e32 v[10:11], s[10:11], v[10:11]
	v_lshl_add_u64 v[10:11], v[4:5], 2, v[10:11]
	s_delay_alu instid0(VALU_DEP_1)
	v_add_nc_u64_e32 v[10:11], v[10:11], v[2:3]
	flat_load_b32 v10, v[10:11]
	s_wait_loadcnt_dscnt 0x0
	ds_store_b32 v21, v10
	s_wait_xcnt 0x0
	s_or_b32 exec_lo, exec_lo, s18
	s_and_saveexec_b32 s18, s23
	s_cbranch_execz .LBB155_8
.LBB155_12:                             ;   in Loop: Header=BB155_4 Depth=1
	ds_store_b32 v15, v12
	s_or_b32 exec_lo, exec_lo, s18
	s_delay_alu instid0(SALU_CYCLE_1)
	s_and_b32 vcc_lo, exec_lo, s24
	s_cbranch_vccnz .LBB155_9
.LBB155_13:                             ;   in Loop: Header=BB155_4 Depth=1
	s_mov_b32 s18, 0
.LBB155_14:                             ;   in Loop: Header=BB155_4 Depth=1
	s_delay_alu instid0(SALU_CYCLE_1) | instskip(SKIP_1) | instid1(SALU_CYCLE_1)
	s_and_not1_b32 s18, s18, exec_lo
	s_and_b32 s19, s1, exec_lo
	s_or_b32 s18, s18, s19
.LBB155_15:                             ;   in Loop: Header=BB155_4 Depth=1
	s_delay_alu instid0(SALU_CYCLE_1)
	s_and_saveexec_b32 s19, s18
; %bb.16:                               ;   in Loop: Header=BB155_4 Depth=1
	ds_store_b32 v15, v3
; %bb.17:                               ;   in Loop: Header=BB155_4 Depth=1
	s_or_b32 exec_lo, exec_lo, s19
	s_wait_loadcnt_dscnt 0x0
	s_barrier_signal -1
	s_barrier_wait -1
	s_and_saveexec_b32 s18, s22
	s_cbranch_execz .LBB155_2
; %bb.18:                               ;   in Loop: Header=BB155_4 Depth=1
	ds_load_2addr_b32 v[10:11], v13 offset1:32
	ds_load_2addr_b32 v[24:25], v14 offset1:32
	ds_load_2addr_b32 v[26:27], v13 offset0:64 offset1:96
	ds_load_2addr_b32 v[28:29], v14 offset0:64 offset1:96
	;; [unrolled: 1-line block ×4, first 2 shown]
	v_add_nc_u64_e32 v[8:9], s[12:13], v[8:9]
	s_delay_alu instid0(VALU_DEP_1) | instskip(NEXT) | instid1(VALU_DEP_1)
	v_add_nc_u64_e32 v[8:9], s[10:11], v[8:9]
	v_lshl_add_u64 v[8:9], v[6:7], 2, v[8:9]
	s_wait_dscnt 0x4
	v_fma_f32 v23, v10, v24, 0
	s_delay_alu instid0(VALU_DEP_2) | instskip(NEXT) | instid1(VALU_DEP_2)
	v_add_nc_u64_e32 v[8:9], v[8:9], v[2:3]
	v_fmac_f32_e32 v23, v11, v25
	ds_load_2addr_b32 v[10:11], v13 offset0:192 offset1:224
	ds_load_2addr_b32 v[24:25], v14 offset0:192 offset1:224
	s_wait_dscnt 0x4
	v_fmac_f32_e32 v23, v26, v28
	s_delay_alu instid0(VALU_DEP_1) | instskip(SKIP_4) | instid1(VALU_DEP_1)
	v_fmac_f32_e32 v23, v27, v29
	ds_load_2addr_b32 v[26:27], v16 offset1:32
	ds_load_2addr_b32 v[28:29], v17 offset1:32
	s_wait_dscnt 0x4
	v_fmac_f32_e32 v23, v30, v32
	v_fmac_f32_e32 v23, v31, v33
	ds_load_2addr_b32 v[30:31], v16 offset0:64 offset1:96
	ds_load_2addr_b32 v[32:33], v17 offset0:64 offset1:96
	s_wait_dscnt 0x4
	v_fmac_f32_e32 v23, v10, v24
	s_delay_alu instid0(VALU_DEP_1) | instskip(SKIP_4) | instid1(VALU_DEP_1)
	v_fmac_f32_e32 v23, v11, v25
	ds_load_2addr_b32 v[10:11], v16 offset0:128 offset1:160
	ds_load_2addr_b32 v[24:25], v17 offset0:128 offset1:160
	s_wait_dscnt 0x4
	v_fmac_f32_e32 v23, v26, v28
	v_fmac_f32_e32 v23, v27, v29
	ds_load_2addr_b32 v[26:27], v16 offset0:192 offset1:224
	ds_load_2addr_b32 v[28:29], v17 offset0:192 offset1:224
	s_wait_dscnt 0x4
	v_fmac_f32_e32 v23, v30, v32
	s_delay_alu instid0(VALU_DEP_1) | instskip(SKIP_4) | instid1(VALU_DEP_1)
	v_fmac_f32_e32 v23, v31, v33
	ds_load_2addr_b32 v[30:31], v18 offset1:32
	ds_load_2addr_b32 v[32:33], v19 offset1:32
	s_wait_dscnt 0x4
	v_fmac_f32_e32 v23, v10, v24
	v_fmac_f32_e32 v23, v11, v25
	ds_load_2addr_b32 v[10:11], v18 offset0:64 offset1:96
	ds_load_2addr_b32 v[24:25], v19 offset0:64 offset1:96
	;; [unrolled: 1-line block ×4, first 2 shown]
	s_wait_dscnt 0x6
	v_fmac_f32_e32 v23, v26, v28
	s_delay_alu instid0(VALU_DEP_1) | instskip(SKIP_4) | instid1(VALU_DEP_1)
	v_fmac_f32_e32 v23, v27, v29
	ds_load_2addr_b32 v[26:27], v18 offset0:192 offset1:224
	ds_load_2addr_b32 v[28:29], v19 offset0:192 offset1:224
	s_wait_dscnt 0x6
	v_fmac_f32_e32 v23, v30, v32
	v_fmac_f32_e32 v23, v31, v33
	ds_load_2addr_b32 v[30:31], v20 offset1:32
	ds_load_2addr_b32 v[32:33], v22 offset1:32
	s_wait_dscnt 0x4
	v_pk_mul_f32 v[34:35], v[34:35], v[36:37]
	v_fmac_f32_e32 v23, v10, v24
	s_delay_alu instid0(VALU_DEP_1)
	v_fmac_f32_e32 v23, v11, v25
	ds_load_2addr_b32 v[10:11], v20 offset0:64 offset1:96
	ds_load_2addr_b32 v[24:25], v22 offset0:64 offset1:96
	s_wait_dscnt 0x4
	v_pk_mul_f32 v[26:27], v[26:27], v[28:29]
	v_add_f32_e32 v23, v23, v34
	s_delay_alu instid0(VALU_DEP_1)
	v_add_f32_e32 v23, v23, v35
	ds_load_2addr_b32 v[28:29], v20 offset0:128 offset1:160
	ds_load_2addr_b32 v[34:35], v22 offset0:128 offset1:160
	s_wait_dscnt 0x4
	v_pk_mul_f32 v[30:31], v[30:31], v[32:33]
	v_add_f32_e32 v23, v23, v26
	s_delay_alu instid0(VALU_DEP_1)
	v_add_f32_e32 v23, v23, v27
	ds_load_2addr_b32 v[26:27], v20 offset0:192 offset1:224
	s_wait_dscnt 0x3
	v_pk_mul_f32 v[10:11], v[10:11], v[24:25]
	ds_load_2addr_b32 v[24:25], v22 offset0:192 offset1:224
	v_add_f32_e32 v23, v23, v30
	s_delay_alu instid0(VALU_DEP_1) | instskip(SKIP_2) | instid1(VALU_DEP_2)
	v_add_f32_e32 v23, v23, v31
	s_wait_dscnt 0x2
	v_pk_mul_f32 v[28:29], v[28:29], v[34:35]
	v_add_f32_e32 v10, v23, v10
	s_delay_alu instid0(VALU_DEP_1) | instskip(NEXT) | instid1(VALU_DEP_1)
	v_add_f32_e32 v10, v10, v11
	v_add_f32_e32 v10, v10, v28
	s_delay_alu instid0(VALU_DEP_1) | instskip(SKIP_2) | instid1(VALU_DEP_1)
	v_add_f32_e32 v23, v10, v29
	s_wait_dscnt 0x0
	v_pk_mul_f32 v[10:11], v[26:27], v[24:25]
	v_add_f32_e32 v10, v23, v10
	s_delay_alu instid0(VALU_DEP_1) | instskip(NEXT) | instid1(VALU_DEP_1)
	v_add_f32_e32 v10, v10, v11
	v_mul_f32_e32 v10, s29, v10
	flat_store_b32 v[8:9], v10
	s_branch .LBB155_2
.LBB155_19:
	s_endpgm
	.section	.rodata,"a",@progbits
	.p2align	6, 0x0
	.amdhsa_kernel _ZL23rocblas_trmm_rTx_kernelILi32ELb1EffKPKfKPfEv13rocblas_fill_17rocblas_diagonal_iiT2_lPT3_llS9_llPT4_lli
		.amdhsa_group_segment_fixed_size 8192
		.amdhsa_private_segment_fixed_size 0
		.amdhsa_kernarg_size 108
		.amdhsa_user_sgpr_count 2
		.amdhsa_user_sgpr_dispatch_ptr 0
		.amdhsa_user_sgpr_queue_ptr 0
		.amdhsa_user_sgpr_kernarg_segment_ptr 1
		.amdhsa_user_sgpr_dispatch_id 0
		.amdhsa_user_sgpr_kernarg_preload_length 0
		.amdhsa_user_sgpr_kernarg_preload_offset 0
		.amdhsa_user_sgpr_private_segment_size 0
		.amdhsa_wavefront_size32 1
		.amdhsa_uses_dynamic_stack 0
		.amdhsa_enable_private_segment 0
		.amdhsa_system_sgpr_workgroup_id_x 1
		.amdhsa_system_sgpr_workgroup_id_y 0
		.amdhsa_system_sgpr_workgroup_id_z 1
		.amdhsa_system_sgpr_workgroup_info 0
		.amdhsa_system_vgpr_workitem_id 1
		.amdhsa_next_free_vgpr 38
		.amdhsa_next_free_sgpr 32
		.amdhsa_named_barrier_count 0
		.amdhsa_reserve_vcc 1
		.amdhsa_float_round_mode_32 0
		.amdhsa_float_round_mode_16_64 0
		.amdhsa_float_denorm_mode_32 3
		.amdhsa_float_denorm_mode_16_64 3
		.amdhsa_fp16_overflow 0
		.amdhsa_memory_ordered 1
		.amdhsa_forward_progress 1
		.amdhsa_inst_pref_size 12
		.amdhsa_round_robin_scheduling 0
		.amdhsa_exception_fp_ieee_invalid_op 0
		.amdhsa_exception_fp_denorm_src 0
		.amdhsa_exception_fp_ieee_div_zero 0
		.amdhsa_exception_fp_ieee_overflow 0
		.amdhsa_exception_fp_ieee_underflow 0
		.amdhsa_exception_fp_ieee_inexact 0
		.amdhsa_exception_int_div_zero 0
	.end_amdhsa_kernel
	.section	.text._ZL23rocblas_trmm_rTx_kernelILi32ELb1EffKPKfKPfEv13rocblas_fill_17rocblas_diagonal_iiT2_lPT3_llS9_llPT4_lli,"axG",@progbits,_ZL23rocblas_trmm_rTx_kernelILi32ELb1EffKPKfKPfEv13rocblas_fill_17rocblas_diagonal_iiT2_lPT3_llS9_llPT4_lli,comdat
.Lfunc_end155:
	.size	_ZL23rocblas_trmm_rTx_kernelILi32ELb1EffKPKfKPfEv13rocblas_fill_17rocblas_diagonal_iiT2_lPT3_llS9_llPT4_lli, .Lfunc_end155-_ZL23rocblas_trmm_rTx_kernelILi32ELb1EffKPKfKPfEv13rocblas_fill_17rocblas_diagonal_iiT2_lPT3_llS9_llPT4_lli
                                        ; -- End function
	.set _ZL23rocblas_trmm_rTx_kernelILi32ELb1EffKPKfKPfEv13rocblas_fill_17rocblas_diagonal_iiT2_lPT3_llS9_llPT4_lli.num_vgpr, 38
	.set _ZL23rocblas_trmm_rTx_kernelILi32ELb1EffKPKfKPfEv13rocblas_fill_17rocblas_diagonal_iiT2_lPT3_llS9_llPT4_lli.num_agpr, 0
	.set _ZL23rocblas_trmm_rTx_kernelILi32ELb1EffKPKfKPfEv13rocblas_fill_17rocblas_diagonal_iiT2_lPT3_llS9_llPT4_lli.numbered_sgpr, 32
	.set _ZL23rocblas_trmm_rTx_kernelILi32ELb1EffKPKfKPfEv13rocblas_fill_17rocblas_diagonal_iiT2_lPT3_llS9_llPT4_lli.num_named_barrier, 0
	.set _ZL23rocblas_trmm_rTx_kernelILi32ELb1EffKPKfKPfEv13rocblas_fill_17rocblas_diagonal_iiT2_lPT3_llS9_llPT4_lli.private_seg_size, 0
	.set _ZL23rocblas_trmm_rTx_kernelILi32ELb1EffKPKfKPfEv13rocblas_fill_17rocblas_diagonal_iiT2_lPT3_llS9_llPT4_lli.uses_vcc, 1
	.set _ZL23rocblas_trmm_rTx_kernelILi32ELb1EffKPKfKPfEv13rocblas_fill_17rocblas_diagonal_iiT2_lPT3_llS9_llPT4_lli.uses_flat_scratch, 0
	.set _ZL23rocblas_trmm_rTx_kernelILi32ELb1EffKPKfKPfEv13rocblas_fill_17rocblas_diagonal_iiT2_lPT3_llS9_llPT4_lli.has_dyn_sized_stack, 0
	.set _ZL23rocblas_trmm_rTx_kernelILi32ELb1EffKPKfKPfEv13rocblas_fill_17rocblas_diagonal_iiT2_lPT3_llS9_llPT4_lli.has_recursion, 0
	.set _ZL23rocblas_trmm_rTx_kernelILi32ELb1EffKPKfKPfEv13rocblas_fill_17rocblas_diagonal_iiT2_lPT3_llS9_llPT4_lli.has_indirect_call, 0
	.section	.AMDGPU.csdata,"",@progbits
; Kernel info:
; codeLenInByte = 1424
; TotalNumSgprs: 34
; NumVgprs: 38
; ScratchSize: 0
; MemoryBound: 0
; FloatMode: 240
; IeeeMode: 1
; LDSByteSize: 8192 bytes/workgroup (compile time only)
; SGPRBlocks: 0
; VGPRBlocks: 2
; NumSGPRsForWavesPerEU: 34
; NumVGPRsForWavesPerEU: 38
; NamedBarCnt: 0
; Occupancy: 16
; WaveLimiterHint : 1
; COMPUTE_PGM_RSRC2:SCRATCH_EN: 0
; COMPUTE_PGM_RSRC2:USER_SGPR: 2
; COMPUTE_PGM_RSRC2:TRAP_HANDLER: 0
; COMPUTE_PGM_RSRC2:TGID_X_EN: 1
; COMPUTE_PGM_RSRC2:TGID_Y_EN: 0
; COMPUTE_PGM_RSRC2:TGID_Z_EN: 1
; COMPUTE_PGM_RSRC2:TIDIG_COMP_CNT: 1
	.section	.text._ZL23rocblas_trmm_lNx_kernelILi32EdPKdKS1_KPdEv13rocblas_fill_17rocblas_diagonal_iiT1_lPT2_llS9_llPT3_lli,"axG",@progbits,_ZL23rocblas_trmm_lNx_kernelILi32EdPKdKS1_KPdEv13rocblas_fill_17rocblas_diagonal_iiT1_lPT2_llS9_llPT3_lli,comdat
	.globl	_ZL23rocblas_trmm_lNx_kernelILi32EdPKdKS1_KPdEv13rocblas_fill_17rocblas_diagonal_iiT1_lPT2_llS9_llPT3_lli ; -- Begin function _ZL23rocblas_trmm_lNx_kernelILi32EdPKdKS1_KPdEv13rocblas_fill_17rocblas_diagonal_iiT1_lPT2_llS9_llPT3_lli
	.p2align	8
	.type	_ZL23rocblas_trmm_lNx_kernelILi32EdPKdKS1_KPdEv13rocblas_fill_17rocblas_diagonal_iiT1_lPT2_llS9_llPT3_lli,@function
_ZL23rocblas_trmm_lNx_kernelILi32EdPKdKS1_KPdEv13rocblas_fill_17rocblas_diagonal_iiT1_lPT2_llS9_llPT3_lli: ; @_ZL23rocblas_trmm_lNx_kernelILi32EdPKdKS1_KPdEv13rocblas_fill_17rocblas_diagonal_iiT1_lPT2_llS9_llPT3_lli
; %bb.0:
	s_load_b32 s33, s[0:1], 0x68
	s_bfe_u32 s2, ttmp6, 0x40014
	s_lshr_b32 s3, ttmp7, 16
	s_add_co_i32 s2, s2, 1
	s_bfe_u32 s5, ttmp6, 0x40008
	s_mul_i32 s4, s3, s2
	s_getreg_b32 s2, hwreg(HW_REG_IB_STS2, 6, 4)
	s_add_co_i32 s5, s5, s4
	s_cmp_eq_u32 s2, 0
	s_mov_b32 s7, 0
	s_cselect_b32 s6, s3, s5
	s_wait_kmcnt 0x0
	s_cmp_ge_u32 s6, s33
	s_cbranch_scc1 .LBB156_19
; %bb.1:
	s_clause 0x3
	s_load_b128 s[28:31], s[0:1], 0x0
	s_load_b512 s[8:23], s[0:1], 0x10
	s_load_b64 s[34:35], s[0:1], 0x60
	s_load_b128 s[24:27], s[0:1], 0x50
	s_wait_xcnt 0x0
	s_bfe_u32 s0, ttmp6, 0x4000c
	v_bfe_u32 v2, v0, 10, 10
	v_mov_b32_e32 v3, 0
	s_add_co_i32 s0, s0, 1
	s_and_b32 s3, ttmp6, 15
	s_mul_i32 s4, ttmp9, s0
	v_lshlrev_b32_e32 v13, 5, v2
	s_add_co_i32 s3, s3, s4
	v_and_b32_e32 v12, 0x3ff, v0
	v_mov_b64_e32 v[0:1], 0
	v_mov_b64_e32 v[4:5], 1.0
	v_lshl_add_u32 v20, v2, 8, 0x2000
	s_delay_alu instid0(VALU_DEP_4)
	v_cmp_eq_u32_e32 vcc_lo, v2, v12
	v_lshlrev_b32_e32 v18, 3, v12
	v_add_lshl_u32 v19, v13, v12, 3
	s_wait_kmcnt 0x0
	s_add_co_i32 s5, s31, -1
	v_mul_u64_e32 v[6:7], s[14:15], v[2:3]
	s_ashr_i32 s4, s5, 31
	v_mul_u64_e32 v[8:9], s[20:21], v[2:3]
	v_mul_u64_e32 v[10:11], s[26:27], v[2:3]
	s_lshr_b32 s4, s4, 27
	v_cmp_lt_u32_e64 s0, v12, v2
	s_add_co_i32 s4, s5, s4
	v_cmp_gt_u32_e64 s1, v12, v2
	s_and_b32 s5, s4, 0xffffffe0
	s_ashr_i32 s4, s4, 5
	s_sub_co_i32 s5, s31, s5
	s_cmp_eq_u32 s2, 0
	v_cmp_gt_i32_e64 s2, s30, v2
	s_cselect_b32 s14, ttmp9, s3
	v_cmp_gt_i32_e64 s3, s30, v12
	s_cmp_ge_i32 s14, s4
	v_add_nc_u32_e32 v21, 0x2000, v19
	s_cselect_b32 s4, s5, 32
	s_lshl_b32 s14, s14, 5
	v_cmp_gt_i32_e64 s4, s4, v2
	s_and_b32 s30, s2, s3
	s_ashr_i32 s15, s14, 31
	v_lshlrev_b32_e32 v2, 3, v12
	v_add_nc_u32_e32 v22, 0x800, v18
	s_and_b32 s31, s3, s4
	s_cmp_eq_u32 s29, 0x84
	v_add_nc_u32_e32 v23, 0x1000, v18
	s_cselect_b32 s2, -1, 0
	v_add_nc_u32_e32 v24, 0x1800, v18
	s_and_b32 s29, vcc_lo, s2
	s_mul_u64 s[20:21], s[20:21], s[14:15]
	s_cmp_lg_u32 s28, 0x79
	s_mul_u64 s[36:37], s[26:27], s[14:15]
	s_cselect_b32 s26, -1, 0
	s_lshl_b64 s[2:3], s[16:17], 3
	s_lshl_b64 s[4:5], s[22:23], 3
	;; [unrolled: 1-line block ×5, first 2 shown]
	s_branch .LBB156_4
.LBB156_2:                              ;   in Loop: Header=BB156_4 Depth=1
	s_wait_xcnt 0x0
	s_or_b32 exec_lo, exec_lo, s22
.LBB156_3:                              ;   in Loop: Header=BB156_4 Depth=1
	s_add_co_i32 s6, s6, 0x10000
	s_delay_alu instid0(SALU_CYCLE_1)
	s_cmp_lt_u32 s6, s33
	s_cbranch_scc0 .LBB156_19
.LBB156_4:                              ; =>This Inner Loop Header: Depth=1
	s_wait_xcnt 0x0
	s_mul_u64 s[22:23], s[10:11], s[6:7]
	s_delay_alu instid0(SALU_CYCLE_1) | instskip(NEXT) | instid1(SALU_CYCLE_1)
	s_lshl_b64 s[22:23], s[22:23], 3
	s_add_nc_u64 s[22:23], s[8:9], s[22:23]
	global_load_b64 v[12:13], v3, s[22:23]
	s_wait_loadcnt 0x0
	v_cmp_eq_f64_e32 vcc_lo, 0, v[12:13]
	s_cbranch_vccnz .LBB156_3
; %bb.5:                                ;   in Loop: Header=BB156_4 Depth=1
	s_wait_xcnt 0x0
	s_lshl_b64 s[22:23], s[6:7], 3
	s_delay_alu instid0(SALU_CYCLE_1)
	s_add_nc_u64 s[34:35], s[18:19], s[22:23]
	s_add_nc_u64 s[36:37], s[24:25], s[22:23]
	s_clause 0x1
	global_load_b64 v[16:17], v3, s[34:35]
	global_load_b64 v[14:15], v3, s[36:37]
	ds_store_b64 v19, v[0:1]
	ds_store_b64 v21, v[0:1]
	s_wait_xcnt 0x0
	s_and_saveexec_b32 s27, s30
	s_cbranch_execnz .LBB156_10
; %bb.6:                                ;   in Loop: Header=BB156_4 Depth=1
	s_or_b32 exec_lo, exec_lo, s27
	s_and_saveexec_b32 s22, s31
	s_cbranch_execnz .LBB156_11
.LBB156_7:                              ;   in Loop: Header=BB156_4 Depth=1
	s_or_b32 exec_lo, exec_lo, s22
	s_and_saveexec_b32 s22, s29
	s_cbranch_execnz .LBB156_12
.LBB156_8:                              ;   in Loop: Header=BB156_4 Depth=1
	s_or_b32 exec_lo, exec_lo, s22
	s_delay_alu instid0(SALU_CYCLE_1)
	s_and_b32 vcc_lo, exec_lo, s26
	s_cbranch_vccz .LBB156_13
.LBB156_9:                              ;   in Loop: Header=BB156_4 Depth=1
	s_and_b32 s22, s0, exec_lo
	s_cbranch_execz .LBB156_14
	s_branch .LBB156_15
.LBB156_10:                             ;   in Loop: Header=BB156_4 Depth=1
	s_add_nc_u64 s[22:23], s[12:13], s[22:23]
	global_load_b64 v[26:27], v3, s[22:23]
	s_wait_loadcnt 0x0
	v_add_nc_u64_e32 v[26:27], s[2:3], v[26:27]
	s_delay_alu instid0(VALU_DEP_1) | instskip(NEXT) | instid1(VALU_DEP_1)
	v_lshl_add_u64 v[26:27], v[6:7], 3, v[26:27]
	v_add_nc_u64_e32 v[26:27], v[26:27], v[2:3]
	flat_load_b64 v[26:27], v[26:27]
	s_wait_loadcnt_dscnt 0x0
	ds_store_b64 v19, v[26:27]
	s_wait_xcnt 0x0
	s_or_b32 exec_lo, exec_lo, s27
	s_and_saveexec_b32 s22, s31
	s_cbranch_execz .LBB156_7
.LBB156_11:                             ;   in Loop: Header=BB156_4 Depth=1
	s_wait_loadcnt 0x1
	v_add_nc_u64_e32 v[16:17], s[4:5], v[16:17]
	s_delay_alu instid0(VALU_DEP_1) | instskip(NEXT) | instid1(VALU_DEP_1)
	v_add_nc_u64_e32 v[16:17], s[14:15], v[16:17]
	v_lshl_add_u64 v[16:17], v[8:9], 3, v[16:17]
	s_delay_alu instid0(VALU_DEP_1)
	v_add_nc_u64_e32 v[16:17], v[16:17], v[2:3]
	flat_load_b64 v[16:17], v[16:17]
	s_wait_loadcnt_dscnt 0x0
	ds_store_b64 v21, v[16:17]
	s_wait_xcnt 0x0
	s_or_b32 exec_lo, exec_lo, s22
	s_and_saveexec_b32 s22, s29
	s_cbranch_execz .LBB156_8
.LBB156_12:                             ;   in Loop: Header=BB156_4 Depth=1
	ds_store_b64 v19, v[4:5]
	s_or_b32 exec_lo, exec_lo, s22
	s_delay_alu instid0(SALU_CYCLE_1)
	s_and_b32 vcc_lo, exec_lo, s26
	s_cbranch_vccnz .LBB156_9
.LBB156_13:                             ;   in Loop: Header=BB156_4 Depth=1
	s_mov_b32 s22, 0
.LBB156_14:                             ;   in Loop: Header=BB156_4 Depth=1
	s_delay_alu instid0(SALU_CYCLE_1) | instskip(SKIP_1) | instid1(SALU_CYCLE_1)
	s_and_not1_b32 s22, s22, exec_lo
	s_and_b32 s23, s1, exec_lo
	s_or_b32 s22, s22, s23
.LBB156_15:                             ;   in Loop: Header=BB156_4 Depth=1
	s_delay_alu instid0(SALU_CYCLE_1)
	s_and_saveexec_b32 s23, s22
; %bb.16:                               ;   in Loop: Header=BB156_4 Depth=1
	ds_store_b64 v19, v[0:1]
; %bb.17:                               ;   in Loop: Header=BB156_4 Depth=1
	s_or_b32 exec_lo, exec_lo, s23
	s_wait_loadcnt_dscnt 0x0
	s_barrier_signal -1
	s_barrier_wait -1
	s_and_saveexec_b32 s22, s31
	s_cbranch_execz .LBB156_2
; %bb.18:                               ;   in Loop: Header=BB156_4 Depth=1
	ds_load_2addr_b64 v[26:29], v18 offset1:32
	ds_load_b128 v[30:33], v20
	ds_load_b128 v[34:37], v20 offset:16
	v_add_nc_u64_e32 v[14:15], s[16:17], v[14:15]
	s_delay_alu instid0(VALU_DEP_1) | instskip(NEXT) | instid1(VALU_DEP_1)
	v_add_nc_u64_e32 v[14:15], s[20:21], v[14:15]
	v_lshl_add_u64 v[14:15], v[10:11], 3, v[14:15]
	s_wait_dscnt 0x1
	v_fma_f64 v[16:17], v[26:27], v[30:31], 0
	s_delay_alu instid0(VALU_DEP_2) | instskip(NEXT) | instid1(VALU_DEP_2)
	v_add_nc_u64_e32 v[14:15], v[14:15], v[2:3]
	v_fmac_f64_e32 v[16:17], v[28:29], v[32:33]
	ds_load_2addr_b64 v[26:29], v18 offset0:64 offset1:96
	s_wait_dscnt 0x0
	v_fmac_f64_e32 v[16:17], v[26:27], v[34:35]
	s_delay_alu instid0(VALU_DEP_1)
	v_fmac_f64_e32 v[16:17], v[28:29], v[36:37]
	ds_load_2addr_b64 v[26:29], v18 offset0:128 offset1:160
	ds_load_b128 v[30:33], v20 offset:32
	ds_load_b128 v[34:37], v20 offset:48
	s_wait_dscnt 0x1
	v_fmac_f64_e32 v[16:17], v[26:27], v[30:31]
	s_delay_alu instid0(VALU_DEP_1) | instskip(SKIP_3) | instid1(VALU_DEP_1)
	v_fmac_f64_e32 v[16:17], v[28:29], v[32:33]
	ds_load_2addr_b64 v[26:29], v18 offset0:192 offset1:224
	s_wait_dscnt 0x0
	v_fmac_f64_e32 v[16:17], v[26:27], v[34:35]
	v_fmac_f64_e32 v[16:17], v[28:29], v[36:37]
	ds_load_2addr_b64 v[26:29], v22 offset1:32
	ds_load_b128 v[30:33], v20 offset:64
	ds_load_b128 v[34:37], v20 offset:80
	s_wait_dscnt 0x1
	v_fmac_f64_e32 v[16:17], v[26:27], v[30:31]
	s_delay_alu instid0(VALU_DEP_1) | instskip(SKIP_3) | instid1(VALU_DEP_1)
	v_fmac_f64_e32 v[16:17], v[28:29], v[32:33]
	ds_load_2addr_b64 v[26:29], v22 offset0:64 offset1:96
	s_wait_dscnt 0x0
	v_fmac_f64_e32 v[16:17], v[26:27], v[34:35]
	v_fmac_f64_e32 v[16:17], v[28:29], v[36:37]
	ds_load_2addr_b64 v[26:29], v22 offset0:128 offset1:160
	ds_load_b128 v[30:33], v20 offset:96
	ds_load_b128 v[34:37], v20 offset:112
	s_wait_dscnt 0x1
	v_fmac_f64_e32 v[16:17], v[26:27], v[30:31]
	s_delay_alu instid0(VALU_DEP_1) | instskip(SKIP_3) | instid1(VALU_DEP_1)
	v_fmac_f64_e32 v[16:17], v[28:29], v[32:33]
	ds_load_2addr_b64 v[26:29], v22 offset0:192 offset1:224
	s_wait_dscnt 0x0
	v_fmac_f64_e32 v[16:17], v[26:27], v[34:35]
	v_fmac_f64_e32 v[16:17], v[28:29], v[36:37]
	ds_load_2addr_b64 v[26:29], v23 offset1:32
	ds_load_b128 v[30:33], v20 offset:128
	ds_load_b128 v[34:37], v20 offset:144
	s_wait_dscnt 0x1
	v_fmac_f64_e32 v[16:17], v[26:27], v[30:31]
	s_delay_alu instid0(VALU_DEP_1) | instskip(SKIP_3) | instid1(VALU_DEP_1)
	v_fmac_f64_e32 v[16:17], v[28:29], v[32:33]
	ds_load_2addr_b64 v[26:29], v23 offset0:64 offset1:96
	s_wait_dscnt 0x0
	v_fmac_f64_e32 v[16:17], v[26:27], v[34:35]
	;; [unrolled: 22-line block ×3, first 2 shown]
	v_fmac_f64_e32 v[16:17], v[28:29], v[36:37]
	ds_load_2addr_b64 v[26:29], v24 offset0:128 offset1:160
	ds_load_b128 v[30:33], v20 offset:224
	ds_load_b128 v[34:37], v20 offset:240
	s_wait_dscnt 0x1
	v_fmac_f64_e32 v[16:17], v[26:27], v[30:31]
	s_delay_alu instid0(VALU_DEP_1) | instskip(SKIP_3) | instid1(VALU_DEP_1)
	v_fmac_f64_e32 v[16:17], v[28:29], v[32:33]
	ds_load_2addr_b64 v[26:29], v24 offset0:192 offset1:224
	s_wait_dscnt 0x0
	v_fmac_f64_e32 v[16:17], v[26:27], v[34:35]
	v_fmac_f64_e32 v[16:17], v[28:29], v[36:37]
	s_delay_alu instid0(VALU_DEP_1)
	v_mul_f64_e32 v[12:13], v[12:13], v[16:17]
	flat_store_b64 v[14:15], v[12:13]
	s_branch .LBB156_2
.LBB156_19:
	s_endpgm
	.section	.rodata,"a",@progbits
	.p2align	6, 0x0
	.amdhsa_kernel _ZL23rocblas_trmm_lNx_kernelILi32EdPKdKS1_KPdEv13rocblas_fill_17rocblas_diagonal_iiT1_lPT2_llS9_llPT3_lli
		.amdhsa_group_segment_fixed_size 16384
		.amdhsa_private_segment_fixed_size 0
		.amdhsa_kernarg_size 108
		.amdhsa_user_sgpr_count 2
		.amdhsa_user_sgpr_dispatch_ptr 0
		.amdhsa_user_sgpr_queue_ptr 0
		.amdhsa_user_sgpr_kernarg_segment_ptr 1
		.amdhsa_user_sgpr_dispatch_id 0
		.amdhsa_user_sgpr_kernarg_preload_length 0
		.amdhsa_user_sgpr_kernarg_preload_offset 0
		.amdhsa_user_sgpr_private_segment_size 0
		.amdhsa_wavefront_size32 1
		.amdhsa_uses_dynamic_stack 0
		.amdhsa_enable_private_segment 0
		.amdhsa_system_sgpr_workgroup_id_x 1
		.amdhsa_system_sgpr_workgroup_id_y 0
		.amdhsa_system_sgpr_workgroup_id_z 1
		.amdhsa_system_sgpr_workgroup_info 0
		.amdhsa_system_vgpr_workitem_id 1
		.amdhsa_next_free_vgpr 38
		.amdhsa_next_free_sgpr 38
		.amdhsa_named_barrier_count 0
		.amdhsa_reserve_vcc 1
		.amdhsa_float_round_mode_32 0
		.amdhsa_float_round_mode_16_64 0
		.amdhsa_float_denorm_mode_32 3
		.amdhsa_float_denorm_mode_16_64 3
		.amdhsa_fp16_overflow 0
		.amdhsa_memory_ordered 1
		.amdhsa_forward_progress 1
		.amdhsa_inst_pref_size 11
		.amdhsa_round_robin_scheduling 0
		.amdhsa_exception_fp_ieee_invalid_op 0
		.amdhsa_exception_fp_denorm_src 0
		.amdhsa_exception_fp_ieee_div_zero 0
		.amdhsa_exception_fp_ieee_overflow 0
		.amdhsa_exception_fp_ieee_underflow 0
		.amdhsa_exception_fp_ieee_inexact 0
		.amdhsa_exception_int_div_zero 0
	.end_amdhsa_kernel
	.section	.text._ZL23rocblas_trmm_lNx_kernelILi32EdPKdKS1_KPdEv13rocblas_fill_17rocblas_diagonal_iiT1_lPT2_llS9_llPT3_lli,"axG",@progbits,_ZL23rocblas_trmm_lNx_kernelILi32EdPKdKS1_KPdEv13rocblas_fill_17rocblas_diagonal_iiT1_lPT2_llS9_llPT3_lli,comdat
.Lfunc_end156:
	.size	_ZL23rocblas_trmm_lNx_kernelILi32EdPKdKS1_KPdEv13rocblas_fill_17rocblas_diagonal_iiT1_lPT2_llS9_llPT3_lli, .Lfunc_end156-_ZL23rocblas_trmm_lNx_kernelILi32EdPKdKS1_KPdEv13rocblas_fill_17rocblas_diagonal_iiT1_lPT2_llS9_llPT3_lli
                                        ; -- End function
	.set _ZL23rocblas_trmm_lNx_kernelILi32EdPKdKS1_KPdEv13rocblas_fill_17rocblas_diagonal_iiT1_lPT2_llS9_llPT3_lli.num_vgpr, 38
	.set _ZL23rocblas_trmm_lNx_kernelILi32EdPKdKS1_KPdEv13rocblas_fill_17rocblas_diagonal_iiT1_lPT2_llS9_llPT3_lli.num_agpr, 0
	.set _ZL23rocblas_trmm_lNx_kernelILi32EdPKdKS1_KPdEv13rocblas_fill_17rocblas_diagonal_iiT1_lPT2_llS9_llPT3_lli.numbered_sgpr, 38
	.set _ZL23rocblas_trmm_lNx_kernelILi32EdPKdKS1_KPdEv13rocblas_fill_17rocblas_diagonal_iiT1_lPT2_llS9_llPT3_lli.num_named_barrier, 0
	.set _ZL23rocblas_trmm_lNx_kernelILi32EdPKdKS1_KPdEv13rocblas_fill_17rocblas_diagonal_iiT1_lPT2_llS9_llPT3_lli.private_seg_size, 0
	.set _ZL23rocblas_trmm_lNx_kernelILi32EdPKdKS1_KPdEv13rocblas_fill_17rocblas_diagonal_iiT1_lPT2_llS9_llPT3_lli.uses_vcc, 1
	.set _ZL23rocblas_trmm_lNx_kernelILi32EdPKdKS1_KPdEv13rocblas_fill_17rocblas_diagonal_iiT1_lPT2_llS9_llPT3_lli.uses_flat_scratch, 0
	.set _ZL23rocblas_trmm_lNx_kernelILi32EdPKdKS1_KPdEv13rocblas_fill_17rocblas_diagonal_iiT1_lPT2_llS9_llPT3_lli.has_dyn_sized_stack, 0
	.set _ZL23rocblas_trmm_lNx_kernelILi32EdPKdKS1_KPdEv13rocblas_fill_17rocblas_diagonal_iiT1_lPT2_llS9_llPT3_lli.has_recursion, 0
	.set _ZL23rocblas_trmm_lNx_kernelILi32EdPKdKS1_KPdEv13rocblas_fill_17rocblas_diagonal_iiT1_lPT2_llS9_llPT3_lli.has_indirect_call, 0
	.section	.AMDGPU.csdata,"",@progbits
; Kernel info:
; codeLenInByte = 1388
; TotalNumSgprs: 40
; NumVgprs: 38
; ScratchSize: 0
; MemoryBound: 0
; FloatMode: 240
; IeeeMode: 1
; LDSByteSize: 16384 bytes/workgroup (compile time only)
; SGPRBlocks: 0
; VGPRBlocks: 2
; NumSGPRsForWavesPerEU: 40
; NumVGPRsForWavesPerEU: 38
; NamedBarCnt: 0
; Occupancy: 16
; WaveLimiterHint : 1
; COMPUTE_PGM_RSRC2:SCRATCH_EN: 0
; COMPUTE_PGM_RSRC2:USER_SGPR: 2
; COMPUTE_PGM_RSRC2:TRAP_HANDLER: 0
; COMPUTE_PGM_RSRC2:TGID_X_EN: 1
; COMPUTE_PGM_RSRC2:TGID_Y_EN: 0
; COMPUTE_PGM_RSRC2:TGID_Z_EN: 1
; COMPUTE_PGM_RSRC2:TIDIG_COMP_CNT: 1
	.section	.text._ZL23rocblas_trmm_lNx_kernelILi32EddKPKdKPdEv13rocblas_fill_17rocblas_diagonal_iiT1_lPT2_llS9_llPT3_lli,"axG",@progbits,_ZL23rocblas_trmm_lNx_kernelILi32EddKPKdKPdEv13rocblas_fill_17rocblas_diagonal_iiT1_lPT2_llS9_llPT3_lli,comdat
	.globl	_ZL23rocblas_trmm_lNx_kernelILi32EddKPKdKPdEv13rocblas_fill_17rocblas_diagonal_iiT1_lPT2_llS9_llPT3_lli ; -- Begin function _ZL23rocblas_trmm_lNx_kernelILi32EddKPKdKPdEv13rocblas_fill_17rocblas_diagonal_iiT1_lPT2_llS9_llPT3_lli
	.p2align	8
	.type	_ZL23rocblas_trmm_lNx_kernelILi32EddKPKdKPdEv13rocblas_fill_17rocblas_diagonal_iiT1_lPT2_llS9_llPT3_lli,@function
_ZL23rocblas_trmm_lNx_kernelILi32EddKPKdKPdEv13rocblas_fill_17rocblas_diagonal_iiT1_lPT2_llS9_llPT3_lli: ; @_ZL23rocblas_trmm_lNx_kernelILi32EddKPKdKPdEv13rocblas_fill_17rocblas_diagonal_iiT1_lPT2_llS9_llPT3_lli
; %bb.0:
	s_load_b32 s33, s[0:1], 0x68
	s_bfe_u32 s2, ttmp6, 0x40014
	s_lshr_b32 s3, ttmp7, 16
	s_add_co_i32 s2, s2, 1
	s_bfe_u32 s5, ttmp6, 0x40008
	s_mul_i32 s4, s3, s2
	s_getreg_b32 s2, hwreg(HW_REG_IB_STS2, 6, 4)
	s_add_co_i32 s5, s5, s4
	s_cmp_eq_u32 s2, 0
	s_mov_b32 s7, 0
	s_cselect_b32 s6, s3, s5
	s_wait_kmcnt 0x0
	s_cmp_ge_u32 s6, s33
	s_cbranch_scc1 .LBB157_19
; %bb.1:
	s_clause 0x3
	s_load_b128 s[24:27], s[0:1], 0x0
	s_load_b64 s[28:29], s[0:1], 0x10
	s_load_b512 s[8:23], s[0:1], 0x20
	s_load_b64 s[30:31], s[0:1], 0x60
	s_wait_xcnt 0x0
	s_bfe_u32 s0, ttmp6, 0x4000c
	s_and_b32 s3, ttmp6, 15
	s_add_co_i32 s0, s0, 1
	v_bfe_u32 v2, v0, 10, 10
	s_mul_i32 s4, ttmp9, s0
	v_and_b32_e32 v10, 0x3ff, v0
	s_add_co_i32 s3, s3, s4
	s_delay_alu instid0(VALU_DEP_2) | instskip(SKIP_1) | instid1(VALU_DEP_3)
	v_dual_mov_b32 v3, 0 :: v_dual_lshlrev_b32 v4, 5, v2
	v_mov_b64_e32 v[0:1], 0
	v_cmp_eq_u32_e32 vcc_lo, v2, v10
	v_lshlrev_b32_e32 v16, 3, v10
	v_cmp_lt_u32_e64 s0, v10, v2
	v_add_lshl_u32 v17, v4, v10, 3
	v_cmp_gt_u32_e64 s1, v10, v2
	v_lshl_add_u32 v18, v2, 8, 0x2000
	s_wait_kmcnt 0x0
	s_add_co_i32 s5, s27, -1
	v_add_nc_u32_e32 v19, 0x2000, v17
	s_ashr_i32 s4, s5, 31
	v_mul_u64_e32 v[4:5], s[10:11], v[2:3]
	s_lshr_b32 s4, s4, 27
	v_mul_u64_e32 v[6:7], s[16:17], v[2:3]
	s_add_co_i32 s4, s5, s4
	v_mul_u64_e32 v[8:9], s[22:23], v[2:3]
	s_and_b32 s5, s4, 0xffffffe0
	s_ashr_i32 s4, s4, 5
	s_sub_co_i32 s5, s27, s5
	s_cmp_eq_u32 s2, 0
	v_cmp_gt_i32_e64 s2, s26, v2
	s_cselect_b32 s10, ttmp9, s3
	v_cmp_gt_i32_e64 s3, s26, v10
	s_cmp_ge_i32 s10, s4
	s_cselect_b32 s4, s5, 32
	s_lshl_b32 s10, s10, 5
	v_cmp_gt_i32_e64 s4, s4, v2
	s_and_b32 s26, s2, s3
	s_ashr_i32 s11, s10, 31
	v_lshlrev_b32_e32 v2, 3, v10
	v_mov_b64_e32 v[10:11], 1.0
	s_and_b32 s27, s3, s4
	s_cmp_eq_u32 s25, 0x84
	v_cmp_neq_f64_e64 s25, s[28:29], 0
	s_cselect_b32 s2, -1, 0
	v_add_nc_u32_e32 v20, 0x800, v16
	s_and_b32 s34, vcc_lo, s2
	v_add_nc_u32_e32 v21, 0x1000, v16
	v_add_nc_u32_e32 v22, 0x1800, v16
	s_mul_u64 s[16:17], s[16:17], s[10:11]
	s_cmp_lg_u32 s24, 0x79
	s_mul_u64 s[36:37], s[22:23], s[10:11]
	s_cselect_b32 s22, -1, 0
	s_lshl_b64 s[2:3], s[12:13], 3
	s_lshl_b64 s[4:5], s[18:19], 3
	;; [unrolled: 1-line block ×5, first 2 shown]
	s_branch .LBB157_4
.LBB157_2:                              ;   in Loop: Header=BB157_4 Depth=1
	s_wait_xcnt 0x0
	s_or_b32 exec_lo, exec_lo, s18
.LBB157_3:                              ;   in Loop: Header=BB157_4 Depth=1
	s_add_co_i32 s6, s6, 0x10000
	s_delay_alu instid0(SALU_CYCLE_1)
	s_cmp_lt_u32 s6, s33
	s_cbranch_scc0 .LBB157_19
.LBB157_4:                              ; =>This Inner Loop Header: Depth=1
	s_and_not1_b32 vcc_lo, exec_lo, s25
	s_cbranch_vccnz .LBB157_3
; %bb.5:                                ;   in Loop: Header=BB157_4 Depth=1
	v_mov_b32_e32 v23, s6
	s_clause 0x1
	global_load_b64 v[14:15], v23, s[14:15] scale_offset
	global_load_b64 v[12:13], v23, s[20:21] scale_offset
	ds_store_b64 v17, v[0:1]
	ds_store_b64 v19, v[0:1]
	s_wait_xcnt 0x0
	s_and_saveexec_b32 s18, s26
	s_cbranch_execnz .LBB157_10
; %bb.6:                                ;   in Loop: Header=BB157_4 Depth=1
	s_or_b32 exec_lo, exec_lo, s18
	s_and_saveexec_b32 s18, s27
	s_cbranch_execnz .LBB157_11
.LBB157_7:                              ;   in Loop: Header=BB157_4 Depth=1
	s_or_b32 exec_lo, exec_lo, s18
	s_and_saveexec_b32 s18, s34
	s_cbranch_execnz .LBB157_12
.LBB157_8:                              ;   in Loop: Header=BB157_4 Depth=1
	s_or_b32 exec_lo, exec_lo, s18
	s_delay_alu instid0(SALU_CYCLE_1)
	s_and_b32 vcc_lo, exec_lo, s22
	s_cbranch_vccz .LBB157_13
.LBB157_9:                              ;   in Loop: Header=BB157_4 Depth=1
	s_and_b32 s18, s0, exec_lo
	s_cbranch_execz .LBB157_14
	s_branch .LBB157_15
.LBB157_10:                             ;   in Loop: Header=BB157_4 Depth=1
	s_lshl_b64 s[30:31], s[6:7], 3
	s_delay_alu instid0(SALU_CYCLE_1) | instskip(SKIP_3) | instid1(VALU_DEP_1)
	s_add_nc_u64 s[30:31], s[8:9], s[30:31]
	global_load_b64 v[24:25], v3, s[30:31]
	s_wait_loadcnt 0x0
	v_add_nc_u64_e32 v[24:25], s[2:3], v[24:25]
	v_lshl_add_u64 v[24:25], v[4:5], 3, v[24:25]
	s_delay_alu instid0(VALU_DEP_1)
	v_add_nc_u64_e32 v[24:25], v[24:25], v[2:3]
	flat_load_b64 v[24:25], v[24:25]
	s_wait_loadcnt_dscnt 0x0
	ds_store_b64 v17, v[24:25]
	s_wait_xcnt 0x0
	s_or_b32 exec_lo, exec_lo, s18
	s_and_saveexec_b32 s18, s27
	s_cbranch_execz .LBB157_7
.LBB157_11:                             ;   in Loop: Header=BB157_4 Depth=1
	s_wait_loadcnt 0x1
	v_add_nc_u64_e32 v[14:15], s[4:5], v[14:15]
	s_delay_alu instid0(VALU_DEP_1) | instskip(NEXT) | instid1(VALU_DEP_1)
	v_add_nc_u64_e32 v[14:15], s[10:11], v[14:15]
	v_lshl_add_u64 v[14:15], v[6:7], 3, v[14:15]
	s_delay_alu instid0(VALU_DEP_1)
	v_add_nc_u64_e32 v[14:15], v[14:15], v[2:3]
	flat_load_b64 v[14:15], v[14:15]
	s_wait_loadcnt_dscnt 0x0
	ds_store_b64 v19, v[14:15]
	s_wait_xcnt 0x0
	s_or_b32 exec_lo, exec_lo, s18
	s_and_saveexec_b32 s18, s34
	s_cbranch_execz .LBB157_8
.LBB157_12:                             ;   in Loop: Header=BB157_4 Depth=1
	ds_store_b64 v17, v[10:11]
	s_or_b32 exec_lo, exec_lo, s18
	s_delay_alu instid0(SALU_CYCLE_1)
	s_and_b32 vcc_lo, exec_lo, s22
	s_cbranch_vccnz .LBB157_9
.LBB157_13:                             ;   in Loop: Header=BB157_4 Depth=1
	s_mov_b32 s18, 0
.LBB157_14:                             ;   in Loop: Header=BB157_4 Depth=1
	s_delay_alu instid0(SALU_CYCLE_1) | instskip(SKIP_1) | instid1(SALU_CYCLE_1)
	s_and_not1_b32 s18, s18, exec_lo
	s_and_b32 s19, s1, exec_lo
	s_or_b32 s18, s18, s19
.LBB157_15:                             ;   in Loop: Header=BB157_4 Depth=1
	s_delay_alu instid0(SALU_CYCLE_1)
	s_and_saveexec_b32 s19, s18
; %bb.16:                               ;   in Loop: Header=BB157_4 Depth=1
	ds_store_b64 v17, v[0:1]
; %bb.17:                               ;   in Loop: Header=BB157_4 Depth=1
	s_or_b32 exec_lo, exec_lo, s19
	s_wait_loadcnt_dscnt 0x0
	s_barrier_signal -1
	s_barrier_wait -1
	s_and_saveexec_b32 s18, s27
	s_cbranch_execz .LBB157_2
; %bb.18:                               ;   in Loop: Header=BB157_4 Depth=1
	ds_load_2addr_b64 v[24:27], v16 offset1:32
	ds_load_b128 v[28:31], v18
	ds_load_b128 v[32:35], v18 offset:16
	v_add_nc_u64_e32 v[12:13], s[12:13], v[12:13]
	s_delay_alu instid0(VALU_DEP_1) | instskip(NEXT) | instid1(VALU_DEP_1)
	v_add_nc_u64_e32 v[12:13], s[16:17], v[12:13]
	v_lshl_add_u64 v[12:13], v[8:9], 3, v[12:13]
	s_wait_dscnt 0x1
	v_fma_f64 v[14:15], v[24:25], v[28:29], 0
	s_delay_alu instid0(VALU_DEP_2) | instskip(NEXT) | instid1(VALU_DEP_2)
	v_add_nc_u64_e32 v[12:13], v[12:13], v[2:3]
	v_fmac_f64_e32 v[14:15], v[26:27], v[30:31]
	ds_load_2addr_b64 v[24:27], v16 offset0:64 offset1:96
	s_wait_dscnt 0x0
	v_fmac_f64_e32 v[14:15], v[24:25], v[32:33]
	s_delay_alu instid0(VALU_DEP_1)
	v_fmac_f64_e32 v[14:15], v[26:27], v[34:35]
	ds_load_2addr_b64 v[24:27], v16 offset0:128 offset1:160
	ds_load_b128 v[28:31], v18 offset:32
	ds_load_b128 v[32:35], v18 offset:48
	s_wait_dscnt 0x1
	v_fmac_f64_e32 v[14:15], v[24:25], v[28:29]
	s_delay_alu instid0(VALU_DEP_1) | instskip(SKIP_3) | instid1(VALU_DEP_1)
	v_fmac_f64_e32 v[14:15], v[26:27], v[30:31]
	ds_load_2addr_b64 v[24:27], v16 offset0:192 offset1:224
	s_wait_dscnt 0x0
	v_fmac_f64_e32 v[14:15], v[24:25], v[32:33]
	v_fmac_f64_e32 v[14:15], v[26:27], v[34:35]
	ds_load_2addr_b64 v[24:27], v20 offset1:32
	ds_load_b128 v[28:31], v18 offset:64
	ds_load_b128 v[32:35], v18 offset:80
	s_wait_dscnt 0x1
	v_fmac_f64_e32 v[14:15], v[24:25], v[28:29]
	s_delay_alu instid0(VALU_DEP_1) | instskip(SKIP_3) | instid1(VALU_DEP_1)
	v_fmac_f64_e32 v[14:15], v[26:27], v[30:31]
	ds_load_2addr_b64 v[24:27], v20 offset0:64 offset1:96
	s_wait_dscnt 0x0
	v_fmac_f64_e32 v[14:15], v[24:25], v[32:33]
	v_fmac_f64_e32 v[14:15], v[26:27], v[34:35]
	ds_load_2addr_b64 v[24:27], v20 offset0:128 offset1:160
	ds_load_b128 v[28:31], v18 offset:96
	ds_load_b128 v[32:35], v18 offset:112
	s_wait_dscnt 0x1
	v_fmac_f64_e32 v[14:15], v[24:25], v[28:29]
	s_delay_alu instid0(VALU_DEP_1) | instskip(SKIP_3) | instid1(VALU_DEP_1)
	v_fmac_f64_e32 v[14:15], v[26:27], v[30:31]
	ds_load_2addr_b64 v[24:27], v20 offset0:192 offset1:224
	s_wait_dscnt 0x0
	v_fmac_f64_e32 v[14:15], v[24:25], v[32:33]
	v_fmac_f64_e32 v[14:15], v[26:27], v[34:35]
	ds_load_2addr_b64 v[24:27], v21 offset1:32
	ds_load_b128 v[28:31], v18 offset:128
	ds_load_b128 v[32:35], v18 offset:144
	s_wait_dscnt 0x1
	v_fmac_f64_e32 v[14:15], v[24:25], v[28:29]
	s_delay_alu instid0(VALU_DEP_1) | instskip(SKIP_3) | instid1(VALU_DEP_1)
	v_fmac_f64_e32 v[14:15], v[26:27], v[30:31]
	ds_load_2addr_b64 v[24:27], v21 offset0:64 offset1:96
	s_wait_dscnt 0x0
	v_fmac_f64_e32 v[14:15], v[24:25], v[32:33]
	;; [unrolled: 22-line block ×3, first 2 shown]
	v_fmac_f64_e32 v[14:15], v[26:27], v[34:35]
	ds_load_2addr_b64 v[24:27], v22 offset0:128 offset1:160
	ds_load_b128 v[28:31], v18 offset:224
	ds_load_b128 v[32:35], v18 offset:240
	s_wait_dscnt 0x1
	v_fmac_f64_e32 v[14:15], v[24:25], v[28:29]
	s_delay_alu instid0(VALU_DEP_1) | instskip(SKIP_3) | instid1(VALU_DEP_1)
	v_fmac_f64_e32 v[14:15], v[26:27], v[30:31]
	ds_load_2addr_b64 v[24:27], v22 offset0:192 offset1:224
	s_wait_dscnt 0x0
	v_fmac_f64_e32 v[14:15], v[24:25], v[32:33]
	v_fmac_f64_e32 v[14:15], v[26:27], v[34:35]
	s_delay_alu instid0(VALU_DEP_1)
	v_mul_f64_e32 v[14:15], s[28:29], v[14:15]
	flat_store_b64 v[12:13], v[14:15]
	s_branch .LBB157_2
.LBB157_19:
	s_endpgm
	.section	.rodata,"a",@progbits
	.p2align	6, 0x0
	.amdhsa_kernel _ZL23rocblas_trmm_lNx_kernelILi32EddKPKdKPdEv13rocblas_fill_17rocblas_diagonal_iiT1_lPT2_llS9_llPT3_lli
		.amdhsa_group_segment_fixed_size 16384
		.amdhsa_private_segment_fixed_size 0
		.amdhsa_kernarg_size 108
		.amdhsa_user_sgpr_count 2
		.amdhsa_user_sgpr_dispatch_ptr 0
		.amdhsa_user_sgpr_queue_ptr 0
		.amdhsa_user_sgpr_kernarg_segment_ptr 1
		.amdhsa_user_sgpr_dispatch_id 0
		.amdhsa_user_sgpr_kernarg_preload_length 0
		.amdhsa_user_sgpr_kernarg_preload_offset 0
		.amdhsa_user_sgpr_private_segment_size 0
		.amdhsa_wavefront_size32 1
		.amdhsa_uses_dynamic_stack 0
		.amdhsa_enable_private_segment 0
		.amdhsa_system_sgpr_workgroup_id_x 1
		.amdhsa_system_sgpr_workgroup_id_y 0
		.amdhsa_system_sgpr_workgroup_id_z 1
		.amdhsa_system_sgpr_workgroup_info 0
		.amdhsa_system_vgpr_workitem_id 1
		.amdhsa_next_free_vgpr 36
		.amdhsa_next_free_sgpr 38
		.amdhsa_named_barrier_count 0
		.amdhsa_reserve_vcc 1
		.amdhsa_float_round_mode_32 0
		.amdhsa_float_round_mode_16_64 0
		.amdhsa_float_denorm_mode_32 3
		.amdhsa_float_denorm_mode_16_64 3
		.amdhsa_fp16_overflow 0
		.amdhsa_memory_ordered 1
		.amdhsa_forward_progress 1
		.amdhsa_inst_pref_size 11
		.amdhsa_round_robin_scheduling 0
		.amdhsa_exception_fp_ieee_invalid_op 0
		.amdhsa_exception_fp_denorm_src 0
		.amdhsa_exception_fp_ieee_div_zero 0
		.amdhsa_exception_fp_ieee_overflow 0
		.amdhsa_exception_fp_ieee_underflow 0
		.amdhsa_exception_fp_ieee_inexact 0
		.amdhsa_exception_int_div_zero 0
	.end_amdhsa_kernel
	.section	.text._ZL23rocblas_trmm_lNx_kernelILi32EddKPKdKPdEv13rocblas_fill_17rocblas_diagonal_iiT1_lPT2_llS9_llPT3_lli,"axG",@progbits,_ZL23rocblas_trmm_lNx_kernelILi32EddKPKdKPdEv13rocblas_fill_17rocblas_diagonal_iiT1_lPT2_llS9_llPT3_lli,comdat
.Lfunc_end157:
	.size	_ZL23rocblas_trmm_lNx_kernelILi32EddKPKdKPdEv13rocblas_fill_17rocblas_diagonal_iiT1_lPT2_llS9_llPT3_lli, .Lfunc_end157-_ZL23rocblas_trmm_lNx_kernelILi32EddKPKdKPdEv13rocblas_fill_17rocblas_diagonal_iiT1_lPT2_llS9_llPT3_lli
                                        ; -- End function
	.set _ZL23rocblas_trmm_lNx_kernelILi32EddKPKdKPdEv13rocblas_fill_17rocblas_diagonal_iiT1_lPT2_llS9_llPT3_lli.num_vgpr, 36
	.set _ZL23rocblas_trmm_lNx_kernelILi32EddKPKdKPdEv13rocblas_fill_17rocblas_diagonal_iiT1_lPT2_llS9_llPT3_lli.num_agpr, 0
	.set _ZL23rocblas_trmm_lNx_kernelILi32EddKPKdKPdEv13rocblas_fill_17rocblas_diagonal_iiT1_lPT2_llS9_llPT3_lli.numbered_sgpr, 38
	.set _ZL23rocblas_trmm_lNx_kernelILi32EddKPKdKPdEv13rocblas_fill_17rocblas_diagonal_iiT1_lPT2_llS9_llPT3_lli.num_named_barrier, 0
	.set _ZL23rocblas_trmm_lNx_kernelILi32EddKPKdKPdEv13rocblas_fill_17rocblas_diagonal_iiT1_lPT2_llS9_llPT3_lli.private_seg_size, 0
	.set _ZL23rocblas_trmm_lNx_kernelILi32EddKPKdKPdEv13rocblas_fill_17rocblas_diagonal_iiT1_lPT2_llS9_llPT3_lli.uses_vcc, 1
	.set _ZL23rocblas_trmm_lNx_kernelILi32EddKPKdKPdEv13rocblas_fill_17rocblas_diagonal_iiT1_lPT2_llS9_llPT3_lli.uses_flat_scratch, 0
	.set _ZL23rocblas_trmm_lNx_kernelILi32EddKPKdKPdEv13rocblas_fill_17rocblas_diagonal_iiT1_lPT2_llS9_llPT3_lli.has_dyn_sized_stack, 0
	.set _ZL23rocblas_trmm_lNx_kernelILi32EddKPKdKPdEv13rocblas_fill_17rocblas_diagonal_iiT1_lPT2_llS9_llPT3_lli.has_recursion, 0
	.set _ZL23rocblas_trmm_lNx_kernelILi32EddKPKdKPdEv13rocblas_fill_17rocblas_diagonal_iiT1_lPT2_llS9_llPT3_lli.has_indirect_call, 0
	.section	.AMDGPU.csdata,"",@progbits
; Kernel info:
; codeLenInByte = 1352
; TotalNumSgprs: 40
; NumVgprs: 36
; ScratchSize: 0
; MemoryBound: 0
; FloatMode: 240
; IeeeMode: 1
; LDSByteSize: 16384 bytes/workgroup (compile time only)
; SGPRBlocks: 0
; VGPRBlocks: 2
; NumSGPRsForWavesPerEU: 40
; NumVGPRsForWavesPerEU: 36
; NamedBarCnt: 0
; Occupancy: 16
; WaveLimiterHint : 1
; COMPUTE_PGM_RSRC2:SCRATCH_EN: 0
; COMPUTE_PGM_RSRC2:USER_SGPR: 2
; COMPUTE_PGM_RSRC2:TRAP_HANDLER: 0
; COMPUTE_PGM_RSRC2:TGID_X_EN: 1
; COMPUTE_PGM_RSRC2:TGID_Y_EN: 0
; COMPUTE_PGM_RSRC2:TGID_Z_EN: 1
; COMPUTE_PGM_RSRC2:TIDIG_COMP_CNT: 1
	.section	.text._ZL23rocblas_trmm_lTx_kernelILi32ELb0EdPKdKS1_KPdEv13rocblas_fill_17rocblas_diagonal_iiT2_lPT3_llS9_llPT4_lli,"axG",@progbits,_ZL23rocblas_trmm_lTx_kernelILi32ELb0EdPKdKS1_KPdEv13rocblas_fill_17rocblas_diagonal_iiT2_lPT3_llS9_llPT4_lli,comdat
	.globl	_ZL23rocblas_trmm_lTx_kernelILi32ELb0EdPKdKS1_KPdEv13rocblas_fill_17rocblas_diagonal_iiT2_lPT3_llS9_llPT4_lli ; -- Begin function _ZL23rocblas_trmm_lTx_kernelILi32ELb0EdPKdKS1_KPdEv13rocblas_fill_17rocblas_diagonal_iiT2_lPT3_llS9_llPT4_lli
	.p2align	8
	.type	_ZL23rocblas_trmm_lTx_kernelILi32ELb0EdPKdKS1_KPdEv13rocblas_fill_17rocblas_diagonal_iiT2_lPT3_llS9_llPT4_lli,@function
_ZL23rocblas_trmm_lTx_kernelILi32ELb0EdPKdKS1_KPdEv13rocblas_fill_17rocblas_diagonal_iiT2_lPT3_llS9_llPT4_lli: ; @_ZL23rocblas_trmm_lTx_kernelILi32ELb0EdPKdKS1_KPdEv13rocblas_fill_17rocblas_diagonal_iiT2_lPT3_llS9_llPT4_lli
; %bb.0:
	s_load_b32 s33, s[0:1], 0x68
	s_bfe_u32 s2, ttmp6, 0x40014
	s_lshr_b32 s3, ttmp7, 16
	s_add_co_i32 s2, s2, 1
	s_bfe_u32 s5, ttmp6, 0x40008
	s_mul_i32 s4, s3, s2
	s_getreg_b32 s2, hwreg(HW_REG_IB_STS2, 6, 4)
	s_add_co_i32 s5, s5, s4
	s_cmp_eq_u32 s2, 0
	s_mov_b32 s7, 0
	s_cselect_b32 s6, s3, s5
	s_wait_kmcnt 0x0
	s_cmp_ge_u32 s6, s33
	s_cbranch_scc1 .LBB158_19
; %bb.1:
	s_clause 0x3
	s_load_b128 s[28:31], s[0:1], 0x0
	s_load_b512 s[8:23], s[0:1], 0x10
	s_load_b64 s[34:35], s[0:1], 0x60
	s_load_b128 s[24:27], s[0:1], 0x50
	v_bfe_u32 v2, v0, 10, 10
	v_mov_b32_e32 v3, 0
	s_wait_xcnt 0x0
	s_bfe_u32 s0, ttmp6, 0x4000c
	s_and_b32 s3, ttmp6, 15
	s_add_co_i32 s0, s0, 1
	v_and_b32_e32 v10, 0x3ff, v0
	s_mul_i32 s4, ttmp9, s0
	v_lshlrev_b32_e32 v8, 3, v2
	s_add_co_i32 s3, s3, s4
	v_lshl_add_u32 v21, v2, 8, 0x2000
	v_dual_lshlrev_b32 v11, 8, v10 :: v_dual_lshlrev_b32 v20, 3, v10
	v_lshlrev_b32_e32 v9, 5, v2
	v_cmp_eq_u32_e32 vcc_lo, v2, v10
	v_cmp_lt_u32_e64 s0, v10, v2
	s_delay_alu instid0(VALU_DEP_4)
	v_add_nc_u32_e32 v23, v8, v11
	s_wait_kmcnt 0x0
	s_add_co_i32 s5, s31, -1
	v_mul_u64_e32 v[0:1], s[14:15], v[2:3]
	s_ashr_i32 s36, s5, 31
	v_mul_u64_e32 v[4:5], s[20:21], v[2:3]
	v_mul_u64_e32 v[6:7], s[26:27], v[2:3]
	s_lshr_b32 s4, s36, 27
	v_add_lshl_u32 v22, v9, v10, 3
	s_add_co_i32 s4, s5, s4
	v_cmp_gt_u32_e64 s1, v10, v2
	s_and_b32 s5, s4, 0xffffffe0
	s_ashr_i32 s4, s4, 5
	s_sub_co_i32 s5, s31, s5
	s_cmp_eq_u32 s2, 0
	v_cmp_gt_i32_e64 s2, s30, v2
	s_cselect_b32 s14, ttmp9, s3
	v_cmp_gt_i32_e64 s3, s30, v10
	s_cmp_ge_i32 s14, s4
	v_mov_b64_e32 v[8:9], 0
	s_cselect_b32 s4, s5, 32
	s_lshl_b32 s14, s14, 5
	v_cmp_gt_i32_e64 s4, s4, v2
	s_and_b32 s30, s2, s3
	s_ashr_i32 s15, s14, 31
	v_lshlrev_b32_e32 v2, 3, v10
	v_mov_b64_e32 v[10:11], 1.0
	s_and_b32 s31, s3, s4
	s_cmp_eq_u32 s29, 0x84
	v_add_nc_u32_e32 v24, 0x2000, v22
	s_cselect_b32 s2, -1, 0
	v_add_nc_u32_e32 v25, 0x800, v20
	s_and_b32 s29, vcc_lo, s2
	v_add_nc_u32_e32 v26, 0x1000, v20
	v_add_nc_u32_e32 v27, 0x1800, v20
	s_mul_u64 s[20:21], s[20:21], s[14:15]
	s_cmp_lg_u32 s28, 0x7a
	s_mul_u64 s[36:37], s[26:27], s[14:15]
	s_cselect_b32 s26, -1, 0
	s_lshl_b64 s[2:3], s[16:17], 3
	s_lshl_b64 s[4:5], s[22:23], 3
	;; [unrolled: 1-line block ×5, first 2 shown]
	s_branch .LBB158_4
.LBB158_2:                              ;   in Loop: Header=BB158_4 Depth=1
	s_wait_xcnt 0x0
	s_or_b32 exec_lo, exec_lo, s22
.LBB158_3:                              ;   in Loop: Header=BB158_4 Depth=1
	s_add_co_i32 s6, s6, 0x10000
	s_delay_alu instid0(SALU_CYCLE_1)
	s_cmp_lt_u32 s6, s33
	s_cbranch_scc0 .LBB158_19
.LBB158_4:                              ; =>This Inner Loop Header: Depth=1
	s_wait_xcnt 0x0
	s_mul_u64 s[22:23], s[10:11], s[6:7]
	s_delay_alu instid0(SALU_CYCLE_1) | instskip(NEXT) | instid1(SALU_CYCLE_1)
	s_lshl_b64 s[22:23], s[22:23], 3
	s_add_nc_u64 s[22:23], s[8:9], s[22:23]
	global_load_b64 v[12:13], v3, s[22:23]
	s_wait_loadcnt 0x0
	v_cmp_eq_f64_e32 vcc_lo, 0, v[12:13]
	s_cbranch_vccnz .LBB158_3
; %bb.5:                                ;   in Loop: Header=BB158_4 Depth=1
	s_wait_xcnt 0x0
	s_lshl_b64 s[22:23], s[6:7], 3
	s_delay_alu instid0(SALU_CYCLE_1)
	s_add_nc_u64 s[34:35], s[12:13], s[22:23]
	s_add_nc_u64 s[36:37], s[18:19], s[22:23]
	s_add_nc_u64 s[22:23], s[24:25], s[22:23]
	s_clause 0x2
	global_load_b64 v[18:19], v3, s[34:35]
	global_load_b64 v[16:17], v3, s[36:37]
	;; [unrolled: 1-line block ×3, first 2 shown]
	ds_store_b64 v22, v[8:9]
	ds_store_b64 v24, v[8:9]
	s_wait_loadcnt_dscnt 0x0
	s_barrier_signal -1
	s_barrier_wait -1
	s_wait_xcnt 0x0
	s_and_saveexec_b32 s22, s30
	s_cbranch_execnz .LBB158_11
; %bb.6:                                ;   in Loop: Header=BB158_4 Depth=1
	s_or_b32 exec_lo, exec_lo, s22
	s_and_saveexec_b32 s22, s31
	s_cbranch_execnz .LBB158_12
.LBB158_7:                              ;   in Loop: Header=BB158_4 Depth=1
	s_or_b32 exec_lo, exec_lo, s22
	s_and_saveexec_b32 s22, s29
.LBB158_8:                              ;   in Loop: Header=BB158_4 Depth=1
	ds_store_b64 v22, v[10:11]
.LBB158_9:                              ;   in Loop: Header=BB158_4 Depth=1
	s_or_b32 exec_lo, exec_lo, s22
	s_delay_alu instid0(SALU_CYCLE_1)
	s_and_b32 vcc_lo, exec_lo, s26
	s_wait_dscnt 0x0
	s_barrier_signal -1
	s_barrier_wait -1
	s_cbranch_vccz .LBB158_13
; %bb.10:                               ;   in Loop: Header=BB158_4 Depth=1
	s_and_b32 s22, s0, exec_lo
	s_cbranch_execz .LBB158_14
	s_branch .LBB158_15
.LBB158_11:                             ;   in Loop: Header=BB158_4 Depth=1
	v_add_nc_u64_e32 v[18:19], s[2:3], v[18:19]
	s_delay_alu instid0(VALU_DEP_1) | instskip(NEXT) | instid1(VALU_DEP_1)
	v_lshl_add_u64 v[18:19], v[0:1], 3, v[18:19]
	v_add_nc_u64_e32 v[18:19], v[18:19], v[2:3]
	flat_load_b64 v[18:19], v[18:19]
	s_wait_loadcnt_dscnt 0x0
	ds_store_b64 v23, v[18:19]
	s_wait_xcnt 0x0
	s_or_b32 exec_lo, exec_lo, s22
	s_and_saveexec_b32 s22, s31
	s_cbranch_execz .LBB158_7
.LBB158_12:                             ;   in Loop: Header=BB158_4 Depth=1
	v_add_nc_u64_e32 v[16:17], s[4:5], v[16:17]
	s_delay_alu instid0(VALU_DEP_1) | instskip(NEXT) | instid1(VALU_DEP_1)
	v_add_nc_u64_e32 v[16:17], s[14:15], v[16:17]
	v_lshl_add_u64 v[16:17], v[4:5], 3, v[16:17]
	s_delay_alu instid0(VALU_DEP_1)
	v_add_nc_u64_e32 v[16:17], v[16:17], v[2:3]
	flat_load_b64 v[16:17], v[16:17]
	s_wait_loadcnt_dscnt 0x0
	ds_store_b64 v24, v[16:17]
	s_wait_xcnt 0x0
	s_or_b32 exec_lo, exec_lo, s22
	s_and_saveexec_b32 s22, s29
	s_cbranch_execnz .LBB158_8
	s_branch .LBB158_9
.LBB158_13:                             ;   in Loop: Header=BB158_4 Depth=1
	s_mov_b32 s22, 0
.LBB158_14:                             ;   in Loop: Header=BB158_4 Depth=1
	s_delay_alu instid0(SALU_CYCLE_1) | instskip(SKIP_1) | instid1(SALU_CYCLE_1)
	s_and_not1_b32 s22, s22, exec_lo
	s_and_b32 s23, s1, exec_lo
	s_or_b32 s22, s22, s23
.LBB158_15:                             ;   in Loop: Header=BB158_4 Depth=1
	s_delay_alu instid0(SALU_CYCLE_1)
	s_and_saveexec_b32 s23, s22
; %bb.16:                               ;   in Loop: Header=BB158_4 Depth=1
	ds_store_b64 v22, v[8:9]
; %bb.17:                               ;   in Loop: Header=BB158_4 Depth=1
	s_or_b32 exec_lo, exec_lo, s23
	s_wait_dscnt 0x0
	s_barrier_signal -1
	s_barrier_wait -1
	s_and_saveexec_b32 s22, s31
	s_cbranch_execz .LBB158_2
; %bb.18:                               ;   in Loop: Header=BB158_4 Depth=1
	ds_load_2addr_b64 v[16:19], v20 offset1:32
	ds_load_b128 v[28:31], v21
	ds_load_b128 v[32:35], v21 offset:16
	v_add_nc_u64_e32 v[14:15], s[16:17], v[14:15]
	s_delay_alu instid0(VALU_DEP_1) | instskip(NEXT) | instid1(VALU_DEP_1)
	v_add_nc_u64_e32 v[14:15], s[20:21], v[14:15]
	v_lshl_add_u64 v[14:15], v[6:7], 3, v[14:15]
	s_wait_dscnt 0x1
	v_fma_f64 v[16:17], v[16:17], v[28:29], 0
	s_delay_alu instid0(VALU_DEP_2) | instskip(NEXT) | instid1(VALU_DEP_2)
	v_add_nc_u64_e32 v[14:15], v[14:15], v[2:3]
	v_fmac_f64_e32 v[16:17], v[18:19], v[30:31]
	ds_load_2addr_b64 v[28:31], v20 offset0:64 offset1:96
	s_wait_dscnt 0x0
	v_fmac_f64_e32 v[16:17], v[28:29], v[32:33]
	s_delay_alu instid0(VALU_DEP_1)
	v_fmac_f64_e32 v[16:17], v[30:31], v[34:35]
	ds_load_2addr_b64 v[28:31], v20 offset0:128 offset1:160
	ds_load_b128 v[32:35], v21 offset:32
	ds_load_b128 v[36:39], v21 offset:48
	s_wait_dscnt 0x1
	v_fmac_f64_e32 v[16:17], v[28:29], v[32:33]
	s_delay_alu instid0(VALU_DEP_1) | instskip(SKIP_3) | instid1(VALU_DEP_1)
	v_fmac_f64_e32 v[16:17], v[30:31], v[34:35]
	ds_load_2addr_b64 v[28:31], v20 offset0:192 offset1:224
	s_wait_dscnt 0x0
	v_fmac_f64_e32 v[16:17], v[28:29], v[36:37]
	v_fmac_f64_e32 v[16:17], v[30:31], v[38:39]
	ds_load_2addr_b64 v[28:31], v25 offset1:32
	ds_load_b128 v[32:35], v21 offset:64
	ds_load_b128 v[36:39], v21 offset:80
	s_wait_dscnt 0x1
	v_fmac_f64_e32 v[16:17], v[28:29], v[32:33]
	s_delay_alu instid0(VALU_DEP_1) | instskip(SKIP_3) | instid1(VALU_DEP_1)
	v_fmac_f64_e32 v[16:17], v[30:31], v[34:35]
	ds_load_2addr_b64 v[28:31], v25 offset0:64 offset1:96
	s_wait_dscnt 0x0
	v_fmac_f64_e32 v[16:17], v[28:29], v[36:37]
	v_fmac_f64_e32 v[16:17], v[30:31], v[38:39]
	ds_load_2addr_b64 v[28:31], v25 offset0:128 offset1:160
	ds_load_b128 v[32:35], v21 offset:96
	ds_load_b128 v[36:39], v21 offset:112
	s_wait_dscnt 0x1
	v_fmac_f64_e32 v[16:17], v[28:29], v[32:33]
	s_delay_alu instid0(VALU_DEP_1) | instskip(SKIP_3) | instid1(VALU_DEP_1)
	v_fmac_f64_e32 v[16:17], v[30:31], v[34:35]
	ds_load_2addr_b64 v[28:31], v25 offset0:192 offset1:224
	s_wait_dscnt 0x0
	v_fmac_f64_e32 v[16:17], v[28:29], v[36:37]
	v_fmac_f64_e32 v[16:17], v[30:31], v[38:39]
	ds_load_2addr_b64 v[28:31], v26 offset1:32
	ds_load_b128 v[32:35], v21 offset:128
	ds_load_b128 v[36:39], v21 offset:144
	s_wait_dscnt 0x1
	v_fmac_f64_e32 v[16:17], v[28:29], v[32:33]
	s_delay_alu instid0(VALU_DEP_1) | instskip(SKIP_3) | instid1(VALU_DEP_1)
	v_fmac_f64_e32 v[16:17], v[30:31], v[34:35]
	ds_load_2addr_b64 v[28:31], v26 offset0:64 offset1:96
	s_wait_dscnt 0x0
	v_fmac_f64_e32 v[16:17], v[28:29], v[36:37]
	;; [unrolled: 22-line block ×3, first 2 shown]
	v_fmac_f64_e32 v[16:17], v[30:31], v[38:39]
	ds_load_2addr_b64 v[28:31], v27 offset0:128 offset1:160
	ds_load_b128 v[32:35], v21 offset:224
	ds_load_b128 v[36:39], v21 offset:240
	s_wait_dscnt 0x1
	v_fmac_f64_e32 v[16:17], v[28:29], v[32:33]
	s_delay_alu instid0(VALU_DEP_1) | instskip(SKIP_3) | instid1(VALU_DEP_1)
	v_fmac_f64_e32 v[16:17], v[30:31], v[34:35]
	ds_load_2addr_b64 v[28:31], v27 offset0:192 offset1:224
	s_wait_dscnt 0x0
	v_fmac_f64_e32 v[16:17], v[28:29], v[36:37]
	v_fmac_f64_e32 v[16:17], v[30:31], v[38:39]
	s_delay_alu instid0(VALU_DEP_1)
	v_mul_f64_e32 v[12:13], v[12:13], v[16:17]
	flat_store_b64 v[14:15], v[12:13]
	s_branch .LBB158_2
.LBB158_19:
	s_endpgm
	.section	.rodata,"a",@progbits
	.p2align	6, 0x0
	.amdhsa_kernel _ZL23rocblas_trmm_lTx_kernelILi32ELb0EdPKdKS1_KPdEv13rocblas_fill_17rocblas_diagonal_iiT2_lPT3_llS9_llPT4_lli
		.amdhsa_group_segment_fixed_size 16384
		.amdhsa_private_segment_fixed_size 0
		.amdhsa_kernarg_size 108
		.amdhsa_user_sgpr_count 2
		.amdhsa_user_sgpr_dispatch_ptr 0
		.amdhsa_user_sgpr_queue_ptr 0
		.amdhsa_user_sgpr_kernarg_segment_ptr 1
		.amdhsa_user_sgpr_dispatch_id 0
		.amdhsa_user_sgpr_kernarg_preload_length 0
		.amdhsa_user_sgpr_kernarg_preload_offset 0
		.amdhsa_user_sgpr_private_segment_size 0
		.amdhsa_wavefront_size32 1
		.amdhsa_uses_dynamic_stack 0
		.amdhsa_enable_private_segment 0
		.amdhsa_system_sgpr_workgroup_id_x 1
		.amdhsa_system_sgpr_workgroup_id_y 0
		.amdhsa_system_sgpr_workgroup_id_z 1
		.amdhsa_system_sgpr_workgroup_info 0
		.amdhsa_system_vgpr_workitem_id 1
		.amdhsa_next_free_vgpr 40
		.amdhsa_next_free_sgpr 38
		.amdhsa_named_barrier_count 0
		.amdhsa_reserve_vcc 1
		.amdhsa_float_round_mode_32 0
		.amdhsa_float_round_mode_16_64 0
		.amdhsa_float_denorm_mode_32 3
		.amdhsa_float_denorm_mode_16_64 3
		.amdhsa_fp16_overflow 0
		.amdhsa_memory_ordered 1
		.amdhsa_forward_progress 1
		.amdhsa_inst_pref_size 11
		.amdhsa_round_robin_scheduling 0
		.amdhsa_exception_fp_ieee_invalid_op 0
		.amdhsa_exception_fp_denorm_src 0
		.amdhsa_exception_fp_ieee_div_zero 0
		.amdhsa_exception_fp_ieee_overflow 0
		.amdhsa_exception_fp_ieee_underflow 0
		.amdhsa_exception_fp_ieee_inexact 0
		.amdhsa_exception_int_div_zero 0
	.end_amdhsa_kernel
	.section	.text._ZL23rocblas_trmm_lTx_kernelILi32ELb0EdPKdKS1_KPdEv13rocblas_fill_17rocblas_diagonal_iiT2_lPT3_llS9_llPT4_lli,"axG",@progbits,_ZL23rocblas_trmm_lTx_kernelILi32ELb0EdPKdKS1_KPdEv13rocblas_fill_17rocblas_diagonal_iiT2_lPT3_llS9_llPT4_lli,comdat
.Lfunc_end158:
	.size	_ZL23rocblas_trmm_lTx_kernelILi32ELb0EdPKdKS1_KPdEv13rocblas_fill_17rocblas_diagonal_iiT2_lPT3_llS9_llPT4_lli, .Lfunc_end158-_ZL23rocblas_trmm_lTx_kernelILi32ELb0EdPKdKS1_KPdEv13rocblas_fill_17rocblas_diagonal_iiT2_lPT3_llS9_llPT4_lli
                                        ; -- End function
	.set _ZL23rocblas_trmm_lTx_kernelILi32ELb0EdPKdKS1_KPdEv13rocblas_fill_17rocblas_diagonal_iiT2_lPT3_llS9_llPT4_lli.num_vgpr, 40
	.set _ZL23rocblas_trmm_lTx_kernelILi32ELb0EdPKdKS1_KPdEv13rocblas_fill_17rocblas_diagonal_iiT2_lPT3_llS9_llPT4_lli.num_agpr, 0
	.set _ZL23rocblas_trmm_lTx_kernelILi32ELb0EdPKdKS1_KPdEv13rocblas_fill_17rocblas_diagonal_iiT2_lPT3_llS9_llPT4_lli.numbered_sgpr, 38
	.set _ZL23rocblas_trmm_lTx_kernelILi32ELb0EdPKdKS1_KPdEv13rocblas_fill_17rocblas_diagonal_iiT2_lPT3_llS9_llPT4_lli.num_named_barrier, 0
	.set _ZL23rocblas_trmm_lTx_kernelILi32ELb0EdPKdKS1_KPdEv13rocblas_fill_17rocblas_diagonal_iiT2_lPT3_llS9_llPT4_lli.private_seg_size, 0
	.set _ZL23rocblas_trmm_lTx_kernelILi32ELb0EdPKdKS1_KPdEv13rocblas_fill_17rocblas_diagonal_iiT2_lPT3_llS9_llPT4_lli.uses_vcc, 1
	.set _ZL23rocblas_trmm_lTx_kernelILi32ELb0EdPKdKS1_KPdEv13rocblas_fill_17rocblas_diagonal_iiT2_lPT3_llS9_llPT4_lli.uses_flat_scratch, 0
	.set _ZL23rocblas_trmm_lTx_kernelILi32ELb0EdPKdKS1_KPdEv13rocblas_fill_17rocblas_diagonal_iiT2_lPT3_llS9_llPT4_lli.has_dyn_sized_stack, 0
	.set _ZL23rocblas_trmm_lTx_kernelILi32ELb0EdPKdKS1_KPdEv13rocblas_fill_17rocblas_diagonal_iiT2_lPT3_llS9_llPT4_lli.has_recursion, 0
	.set _ZL23rocblas_trmm_lTx_kernelILi32ELb0EdPKdKS1_KPdEv13rocblas_fill_17rocblas_diagonal_iiT2_lPT3_llS9_llPT4_lli.has_indirect_call, 0
	.section	.AMDGPU.csdata,"",@progbits
; Kernel info:
; codeLenInByte = 1404
; TotalNumSgprs: 40
; NumVgprs: 40
; ScratchSize: 0
; MemoryBound: 0
; FloatMode: 240
; IeeeMode: 1
; LDSByteSize: 16384 bytes/workgroup (compile time only)
; SGPRBlocks: 0
; VGPRBlocks: 2
; NumSGPRsForWavesPerEU: 40
; NumVGPRsForWavesPerEU: 40
; NamedBarCnt: 0
; Occupancy: 16
; WaveLimiterHint : 1
; COMPUTE_PGM_RSRC2:SCRATCH_EN: 0
; COMPUTE_PGM_RSRC2:USER_SGPR: 2
; COMPUTE_PGM_RSRC2:TRAP_HANDLER: 0
; COMPUTE_PGM_RSRC2:TGID_X_EN: 1
; COMPUTE_PGM_RSRC2:TGID_Y_EN: 0
; COMPUTE_PGM_RSRC2:TGID_Z_EN: 1
; COMPUTE_PGM_RSRC2:TIDIG_COMP_CNT: 1
	.section	.text._ZL23rocblas_trmm_lTx_kernelILi32ELb0EddKPKdKPdEv13rocblas_fill_17rocblas_diagonal_iiT2_lPT3_llS9_llPT4_lli,"axG",@progbits,_ZL23rocblas_trmm_lTx_kernelILi32ELb0EddKPKdKPdEv13rocblas_fill_17rocblas_diagonal_iiT2_lPT3_llS9_llPT4_lli,comdat
	.globl	_ZL23rocblas_trmm_lTx_kernelILi32ELb0EddKPKdKPdEv13rocblas_fill_17rocblas_diagonal_iiT2_lPT3_llS9_llPT4_lli ; -- Begin function _ZL23rocblas_trmm_lTx_kernelILi32ELb0EddKPKdKPdEv13rocblas_fill_17rocblas_diagonal_iiT2_lPT3_llS9_llPT4_lli
	.p2align	8
	.type	_ZL23rocblas_trmm_lTx_kernelILi32ELb0EddKPKdKPdEv13rocblas_fill_17rocblas_diagonal_iiT2_lPT3_llS9_llPT4_lli,@function
_ZL23rocblas_trmm_lTx_kernelILi32ELb0EddKPKdKPdEv13rocblas_fill_17rocblas_diagonal_iiT2_lPT3_llS9_llPT4_lli: ; @_ZL23rocblas_trmm_lTx_kernelILi32ELb0EddKPKdKPdEv13rocblas_fill_17rocblas_diagonal_iiT2_lPT3_llS9_llPT4_lli
; %bb.0:
	s_load_b32 s28, s[0:1], 0x68
	s_bfe_u32 s2, ttmp6, 0x40014
	s_lshr_b32 s4, ttmp7, 16
	s_add_co_i32 s2, s2, 1
	s_bfe_u32 s5, ttmp6, 0x40008
	s_mul_i32 s2, s4, s2
	s_getreg_b32 s3, hwreg(HW_REG_IB_STS2, 6, 4)
	s_add_co_i32 s5, s5, s2
	s_cmp_eq_u32 s3, 0
	s_cselect_b32 s29, s4, s5
	s_wait_kmcnt 0x0
	s_cmp_ge_u32 s29, s28
	s_cbranch_scc1 .LBB159_19
; %bb.1:
	s_clause 0x3
	s_load_b128 s[24:27], s[0:1], 0x0
	s_load_b64 s[6:7], s[0:1], 0x10
	s_load_b512 s[8:23], s[0:1], 0x20
	s_load_b64 s[34:35], s[0:1], 0x60
	s_wait_xcnt 0x0
	s_bfe_u32 s0, ttmp6, 0x4000c
	v_bfe_u32 v2, v0, 10, 10
	v_and_b32_e32 v10, 0x3ff, v0
	s_add_co_i32 s0, s0, 1
	s_and_b32 s2, ttmp6, 15
	s_mul_i32 s4, ttmp9, s0
	v_dual_mov_b32 v3, 0 :: v_dual_lshlrev_b32 v8, 3, v2
	s_add_co_i32 s4, s2, s4
	v_dual_lshlrev_b32 v9, 8, v10 :: v_dual_lshlrev_b32 v18, 3, v10
	v_lshlrev_b32_e32 v0, 5, v2
	v_cmp_eq_u32_e32 vcc_lo, v2, v10
	v_cmp_lt_u32_e64 s0, v10, v2
	s_delay_alu instid0(VALU_DEP_4)
	v_add_nc_u32_e32 v22, v8, v9
	v_cmp_gt_u32_e64 s1, v10, v2
	s_wait_kmcnt 0x0
	s_add_co_i32 s5, s27, -1
	v_add_lshl_u32 v19, v0, v10, 3
	s_ashr_i32 s2, s5, 31
	v_mul_u64_e32 v[0:1], s[10:11], v[2:3]
	s_lshr_b32 s30, s2, 27
	v_cmp_gt_i32_e64 s2, s26, v2
	s_add_co_i32 s5, s5, s30
	v_mul_u64_e32 v[4:5], s[16:17], v[2:3]
	s_and_b32 s10, s5, 0xffffffe0
	s_ashr_i32 s5, s5, 5
	s_sub_co_i32 s10, s27, s10
	s_cmp_eq_u32 s3, 0
	v_cmp_gt_i32_e64 s3, s26, v10
	s_cselect_b32 s11, ttmp9, s4
	v_mul_u64_e32 v[6:7], s[22:23], v[2:3]
	s_cmp_ge_i32 s11, s5
	v_lshl_add_u32 v20, v2, 8, 0x2000
	s_cselect_b32 s4, s10, 32
	s_lshl_b32 s10, s11, 5
	v_cmp_gt_i32_e64 s4, s4, v2
	s_and_b32 s26, s2, s3
	s_ashr_i32 s11, s10, 31
	v_mov_b64_e32 v[8:9], 0
	v_lshlrev_b32_e32 v2, 3, v10
	s_and_b32 s27, s3, s4
	s_cmp_eq_u32 s25, 0x84
	v_cmp_neq_f64_e64 s25, s[6:7], 0
	s_cselect_b32 s2, -1, 0
	v_mov_b64_e32 v[10:11], 1.0
	v_add_nc_u32_e32 v21, 0x2000, v19
	s_and_b32 s30, vcc_lo, s2
	v_add_nc_u32_e32 v23, 0x800, v18
	v_add_nc_u32_e32 v24, 0x1000, v18
	;; [unrolled: 1-line block ×3, first 2 shown]
	s_mul_u64 s[16:17], s[16:17], s[10:11]
	s_cmp_lg_u32 s24, 0x7a
	s_mul_u64 s[36:37], s[22:23], s[10:11]
	s_cselect_b32 s22, -1, 0
	s_lshl_b64 s[2:3], s[12:13], 3
	s_lshl_b64 s[4:5], s[18:19], 3
	;; [unrolled: 1-line block ×5, first 2 shown]
	s_branch .LBB159_4
.LBB159_2:                              ;   in Loop: Header=BB159_4 Depth=1
	s_wait_xcnt 0x0
	s_or_b32 exec_lo, exec_lo, s18
.LBB159_3:                              ;   in Loop: Header=BB159_4 Depth=1
	s_add_co_i32 s29, s29, 0x10000
	s_delay_alu instid0(SALU_CYCLE_1)
	s_cmp_lt_u32 s29, s28
	s_cbranch_scc0 .LBB159_19
.LBB159_4:                              ; =>This Inner Loop Header: Depth=1
	s_and_not1_b32 vcc_lo, exec_lo, s25
	s_cbranch_vccnz .LBB159_3
; %bb.5:                                ;   in Loop: Header=BB159_4 Depth=1
	v_mov_b32_e32 v26, s29
	s_clause 0x2
	global_load_b64 v[16:17], v26, s[8:9] scale_offset
	global_load_b64 v[14:15], v26, s[14:15] scale_offset
	;; [unrolled: 1-line block ×3, first 2 shown]
	ds_store_b64 v19, v[8:9]
	ds_store_b64 v21, v[8:9]
	s_wait_loadcnt_dscnt 0x0
	s_barrier_signal -1
	s_barrier_wait -1
	s_wait_xcnt 0x0
	s_and_saveexec_b32 s18, s26
	s_cbranch_execnz .LBB159_11
; %bb.6:                                ;   in Loop: Header=BB159_4 Depth=1
	s_or_b32 exec_lo, exec_lo, s18
	s_and_saveexec_b32 s18, s27
	s_cbranch_execnz .LBB159_12
.LBB159_7:                              ;   in Loop: Header=BB159_4 Depth=1
	s_or_b32 exec_lo, exec_lo, s18
	s_and_saveexec_b32 s18, s30
.LBB159_8:                              ;   in Loop: Header=BB159_4 Depth=1
	ds_store_b64 v19, v[10:11]
.LBB159_9:                              ;   in Loop: Header=BB159_4 Depth=1
	s_or_b32 exec_lo, exec_lo, s18
	s_delay_alu instid0(SALU_CYCLE_1)
	s_and_b32 vcc_lo, exec_lo, s22
	s_wait_dscnt 0x0
	s_barrier_signal -1
	s_barrier_wait -1
	s_cbranch_vccz .LBB159_13
; %bb.10:                               ;   in Loop: Header=BB159_4 Depth=1
	s_and_b32 s18, s0, exec_lo
	s_cbranch_execz .LBB159_14
	s_branch .LBB159_15
.LBB159_11:                             ;   in Loop: Header=BB159_4 Depth=1
	v_add_nc_u64_e32 v[16:17], s[2:3], v[16:17]
	s_delay_alu instid0(VALU_DEP_1) | instskip(NEXT) | instid1(VALU_DEP_1)
	v_lshl_add_u64 v[16:17], v[0:1], 3, v[16:17]
	v_add_nc_u64_e32 v[16:17], v[16:17], v[2:3]
	flat_load_b64 v[16:17], v[16:17]
	s_wait_loadcnt_dscnt 0x0
	ds_store_b64 v22, v[16:17]
	s_wait_xcnt 0x0
	s_or_b32 exec_lo, exec_lo, s18
	s_and_saveexec_b32 s18, s27
	s_cbranch_execz .LBB159_7
.LBB159_12:                             ;   in Loop: Header=BB159_4 Depth=1
	v_add_nc_u64_e32 v[14:15], s[4:5], v[14:15]
	s_delay_alu instid0(VALU_DEP_1) | instskip(NEXT) | instid1(VALU_DEP_1)
	v_add_nc_u64_e32 v[14:15], s[10:11], v[14:15]
	v_lshl_add_u64 v[14:15], v[4:5], 3, v[14:15]
	s_delay_alu instid0(VALU_DEP_1)
	v_add_nc_u64_e32 v[14:15], v[14:15], v[2:3]
	flat_load_b64 v[14:15], v[14:15]
	s_wait_loadcnt_dscnt 0x0
	ds_store_b64 v21, v[14:15]
	s_wait_xcnt 0x0
	s_or_b32 exec_lo, exec_lo, s18
	s_and_saveexec_b32 s18, s30
	s_cbranch_execnz .LBB159_8
	s_branch .LBB159_9
.LBB159_13:                             ;   in Loop: Header=BB159_4 Depth=1
	s_mov_b32 s18, 0
.LBB159_14:                             ;   in Loop: Header=BB159_4 Depth=1
	s_delay_alu instid0(SALU_CYCLE_1) | instskip(SKIP_1) | instid1(SALU_CYCLE_1)
	s_and_not1_b32 s18, s18, exec_lo
	s_and_b32 s19, s1, exec_lo
	s_or_b32 s18, s18, s19
.LBB159_15:                             ;   in Loop: Header=BB159_4 Depth=1
	s_delay_alu instid0(SALU_CYCLE_1)
	s_and_saveexec_b32 s19, s18
; %bb.16:                               ;   in Loop: Header=BB159_4 Depth=1
	ds_store_b64 v19, v[8:9]
; %bb.17:                               ;   in Loop: Header=BB159_4 Depth=1
	s_or_b32 exec_lo, exec_lo, s19
	s_wait_dscnt 0x0
	s_barrier_signal -1
	s_barrier_wait -1
	s_and_saveexec_b32 s18, s27
	s_cbranch_execz .LBB159_2
; %bb.18:                               ;   in Loop: Header=BB159_4 Depth=1
	ds_load_2addr_b64 v[14:17], v18 offset1:32
	ds_load_b128 v[26:29], v20
	ds_load_b128 v[30:33], v20 offset:16
	v_add_nc_u64_e32 v[12:13], s[12:13], v[12:13]
	s_delay_alu instid0(VALU_DEP_1) | instskip(NEXT) | instid1(VALU_DEP_1)
	v_add_nc_u64_e32 v[12:13], s[16:17], v[12:13]
	v_lshl_add_u64 v[12:13], v[6:7], 3, v[12:13]
	s_wait_dscnt 0x1
	v_fma_f64 v[14:15], v[14:15], v[26:27], 0
	s_delay_alu instid0(VALU_DEP_2) | instskip(NEXT) | instid1(VALU_DEP_2)
	v_add_nc_u64_e32 v[12:13], v[12:13], v[2:3]
	v_fmac_f64_e32 v[14:15], v[16:17], v[28:29]
	ds_load_2addr_b64 v[26:29], v18 offset0:64 offset1:96
	s_wait_dscnt 0x0
	v_fmac_f64_e32 v[14:15], v[26:27], v[30:31]
	s_delay_alu instid0(VALU_DEP_1)
	v_fmac_f64_e32 v[14:15], v[28:29], v[32:33]
	ds_load_2addr_b64 v[26:29], v18 offset0:128 offset1:160
	ds_load_b128 v[30:33], v20 offset:32
	ds_load_b128 v[34:37], v20 offset:48
	s_wait_dscnt 0x1
	v_fmac_f64_e32 v[14:15], v[26:27], v[30:31]
	s_delay_alu instid0(VALU_DEP_1) | instskip(SKIP_3) | instid1(VALU_DEP_1)
	v_fmac_f64_e32 v[14:15], v[28:29], v[32:33]
	ds_load_2addr_b64 v[26:29], v18 offset0:192 offset1:224
	s_wait_dscnt 0x0
	v_fmac_f64_e32 v[14:15], v[26:27], v[34:35]
	v_fmac_f64_e32 v[14:15], v[28:29], v[36:37]
	ds_load_2addr_b64 v[26:29], v23 offset1:32
	ds_load_b128 v[30:33], v20 offset:64
	ds_load_b128 v[34:37], v20 offset:80
	s_wait_dscnt 0x1
	v_fmac_f64_e32 v[14:15], v[26:27], v[30:31]
	s_delay_alu instid0(VALU_DEP_1) | instskip(SKIP_3) | instid1(VALU_DEP_1)
	v_fmac_f64_e32 v[14:15], v[28:29], v[32:33]
	ds_load_2addr_b64 v[26:29], v23 offset0:64 offset1:96
	s_wait_dscnt 0x0
	v_fmac_f64_e32 v[14:15], v[26:27], v[34:35]
	v_fmac_f64_e32 v[14:15], v[28:29], v[36:37]
	ds_load_2addr_b64 v[26:29], v23 offset0:128 offset1:160
	ds_load_b128 v[30:33], v20 offset:96
	ds_load_b128 v[34:37], v20 offset:112
	s_wait_dscnt 0x1
	v_fmac_f64_e32 v[14:15], v[26:27], v[30:31]
	s_delay_alu instid0(VALU_DEP_1) | instskip(SKIP_3) | instid1(VALU_DEP_1)
	v_fmac_f64_e32 v[14:15], v[28:29], v[32:33]
	ds_load_2addr_b64 v[26:29], v23 offset0:192 offset1:224
	s_wait_dscnt 0x0
	v_fmac_f64_e32 v[14:15], v[26:27], v[34:35]
	v_fmac_f64_e32 v[14:15], v[28:29], v[36:37]
	ds_load_2addr_b64 v[26:29], v24 offset1:32
	ds_load_b128 v[30:33], v20 offset:128
	ds_load_b128 v[34:37], v20 offset:144
	s_wait_dscnt 0x1
	v_fmac_f64_e32 v[14:15], v[26:27], v[30:31]
	s_delay_alu instid0(VALU_DEP_1) | instskip(SKIP_3) | instid1(VALU_DEP_1)
	v_fmac_f64_e32 v[14:15], v[28:29], v[32:33]
	ds_load_2addr_b64 v[26:29], v24 offset0:64 offset1:96
	s_wait_dscnt 0x0
	v_fmac_f64_e32 v[14:15], v[26:27], v[34:35]
	;; [unrolled: 22-line block ×3, first 2 shown]
	v_fmac_f64_e32 v[14:15], v[28:29], v[36:37]
	ds_load_2addr_b64 v[26:29], v25 offset0:128 offset1:160
	ds_load_b128 v[30:33], v20 offset:224
	ds_load_b128 v[34:37], v20 offset:240
	s_wait_dscnt 0x1
	v_fmac_f64_e32 v[14:15], v[26:27], v[30:31]
	s_delay_alu instid0(VALU_DEP_1) | instskip(SKIP_3) | instid1(VALU_DEP_1)
	v_fmac_f64_e32 v[14:15], v[28:29], v[32:33]
	ds_load_2addr_b64 v[26:29], v25 offset0:192 offset1:224
	s_wait_dscnt 0x0
	v_fmac_f64_e32 v[14:15], v[26:27], v[34:35]
	v_fmac_f64_e32 v[14:15], v[28:29], v[36:37]
	s_delay_alu instid0(VALU_DEP_1)
	v_mul_f64_e32 v[14:15], s[6:7], v[14:15]
	flat_store_b64 v[12:13], v[14:15]
	s_branch .LBB159_2
.LBB159_19:
	s_endpgm
	.section	.rodata,"a",@progbits
	.p2align	6, 0x0
	.amdhsa_kernel _ZL23rocblas_trmm_lTx_kernelILi32ELb0EddKPKdKPdEv13rocblas_fill_17rocblas_diagonal_iiT2_lPT3_llS9_llPT4_lli
		.amdhsa_group_segment_fixed_size 16384
		.amdhsa_private_segment_fixed_size 0
		.amdhsa_kernarg_size 108
		.amdhsa_user_sgpr_count 2
		.amdhsa_user_sgpr_dispatch_ptr 0
		.amdhsa_user_sgpr_queue_ptr 0
		.amdhsa_user_sgpr_kernarg_segment_ptr 1
		.amdhsa_user_sgpr_dispatch_id 0
		.amdhsa_user_sgpr_kernarg_preload_length 0
		.amdhsa_user_sgpr_kernarg_preload_offset 0
		.amdhsa_user_sgpr_private_segment_size 0
		.amdhsa_wavefront_size32 1
		.amdhsa_uses_dynamic_stack 0
		.amdhsa_enable_private_segment 0
		.amdhsa_system_sgpr_workgroup_id_x 1
		.amdhsa_system_sgpr_workgroup_id_y 0
		.amdhsa_system_sgpr_workgroup_id_z 1
		.amdhsa_system_sgpr_workgroup_info 0
		.amdhsa_system_vgpr_workitem_id 1
		.amdhsa_next_free_vgpr 38
		.amdhsa_next_free_sgpr 38
		.amdhsa_named_barrier_count 0
		.amdhsa_reserve_vcc 1
		.amdhsa_float_round_mode_32 0
		.amdhsa_float_round_mode_16_64 0
		.amdhsa_float_denorm_mode_32 3
		.amdhsa_float_denorm_mode_16_64 3
		.amdhsa_fp16_overflow 0
		.amdhsa_memory_ordered 1
		.amdhsa_forward_progress 1
		.amdhsa_inst_pref_size 11
		.amdhsa_round_robin_scheduling 0
		.amdhsa_exception_fp_ieee_invalid_op 0
		.amdhsa_exception_fp_denorm_src 0
		.amdhsa_exception_fp_ieee_div_zero 0
		.amdhsa_exception_fp_ieee_overflow 0
		.amdhsa_exception_fp_ieee_underflow 0
		.amdhsa_exception_fp_ieee_inexact 0
		.amdhsa_exception_int_div_zero 0
	.end_amdhsa_kernel
	.section	.text._ZL23rocblas_trmm_lTx_kernelILi32ELb0EddKPKdKPdEv13rocblas_fill_17rocblas_diagonal_iiT2_lPT3_llS9_llPT4_lli,"axG",@progbits,_ZL23rocblas_trmm_lTx_kernelILi32ELb0EddKPKdKPdEv13rocblas_fill_17rocblas_diagonal_iiT2_lPT3_llS9_llPT4_lli,comdat
.Lfunc_end159:
	.size	_ZL23rocblas_trmm_lTx_kernelILi32ELb0EddKPKdKPdEv13rocblas_fill_17rocblas_diagonal_iiT2_lPT3_llS9_llPT4_lli, .Lfunc_end159-_ZL23rocblas_trmm_lTx_kernelILi32ELb0EddKPKdKPdEv13rocblas_fill_17rocblas_diagonal_iiT2_lPT3_llS9_llPT4_lli
                                        ; -- End function
	.set _ZL23rocblas_trmm_lTx_kernelILi32ELb0EddKPKdKPdEv13rocblas_fill_17rocblas_diagonal_iiT2_lPT3_llS9_llPT4_lli.num_vgpr, 38
	.set _ZL23rocblas_trmm_lTx_kernelILi32ELb0EddKPKdKPdEv13rocblas_fill_17rocblas_diagonal_iiT2_lPT3_llS9_llPT4_lli.num_agpr, 0
	.set _ZL23rocblas_trmm_lTx_kernelILi32ELb0EddKPKdKPdEv13rocblas_fill_17rocblas_diagonal_iiT2_lPT3_llS9_llPT4_lli.numbered_sgpr, 38
	.set _ZL23rocblas_trmm_lTx_kernelILi32ELb0EddKPKdKPdEv13rocblas_fill_17rocblas_diagonal_iiT2_lPT3_llS9_llPT4_lli.num_named_barrier, 0
	.set _ZL23rocblas_trmm_lTx_kernelILi32ELb0EddKPKdKPdEv13rocblas_fill_17rocblas_diagonal_iiT2_lPT3_llS9_llPT4_lli.private_seg_size, 0
	.set _ZL23rocblas_trmm_lTx_kernelILi32ELb0EddKPKdKPdEv13rocblas_fill_17rocblas_diagonal_iiT2_lPT3_llS9_llPT4_lli.uses_vcc, 1
	.set _ZL23rocblas_trmm_lTx_kernelILi32ELb0EddKPKdKPdEv13rocblas_fill_17rocblas_diagonal_iiT2_lPT3_llS9_llPT4_lli.uses_flat_scratch, 0
	.set _ZL23rocblas_trmm_lTx_kernelILi32ELb0EddKPKdKPdEv13rocblas_fill_17rocblas_diagonal_iiT2_lPT3_llS9_llPT4_lli.has_dyn_sized_stack, 0
	.set _ZL23rocblas_trmm_lTx_kernelILi32ELb0EddKPKdKPdEv13rocblas_fill_17rocblas_diagonal_iiT2_lPT3_llS9_llPT4_lli.has_recursion, 0
	.set _ZL23rocblas_trmm_lTx_kernelILi32ELb0EddKPKdKPdEv13rocblas_fill_17rocblas_diagonal_iiT2_lPT3_llS9_llPT4_lli.has_indirect_call, 0
	.section	.AMDGPU.csdata,"",@progbits
; Kernel info:
; codeLenInByte = 1352
; TotalNumSgprs: 40
; NumVgprs: 38
; ScratchSize: 0
; MemoryBound: 0
; FloatMode: 240
; IeeeMode: 1
; LDSByteSize: 16384 bytes/workgroup (compile time only)
; SGPRBlocks: 0
; VGPRBlocks: 2
; NumSGPRsForWavesPerEU: 40
; NumVGPRsForWavesPerEU: 38
; NamedBarCnt: 0
; Occupancy: 16
; WaveLimiterHint : 1
; COMPUTE_PGM_RSRC2:SCRATCH_EN: 0
; COMPUTE_PGM_RSRC2:USER_SGPR: 2
; COMPUTE_PGM_RSRC2:TRAP_HANDLER: 0
; COMPUTE_PGM_RSRC2:TGID_X_EN: 1
; COMPUTE_PGM_RSRC2:TGID_Y_EN: 0
; COMPUTE_PGM_RSRC2:TGID_Z_EN: 1
; COMPUTE_PGM_RSRC2:TIDIG_COMP_CNT: 1
	.section	.text._ZL23rocblas_trmm_lTx_kernelILi32ELb1EdPKdKS1_KPdEv13rocblas_fill_17rocblas_diagonal_iiT2_lPT3_llS9_llPT4_lli,"axG",@progbits,_ZL23rocblas_trmm_lTx_kernelILi32ELb1EdPKdKS1_KPdEv13rocblas_fill_17rocblas_diagonal_iiT2_lPT3_llS9_llPT4_lli,comdat
	.globl	_ZL23rocblas_trmm_lTx_kernelILi32ELb1EdPKdKS1_KPdEv13rocblas_fill_17rocblas_diagonal_iiT2_lPT3_llS9_llPT4_lli ; -- Begin function _ZL23rocblas_trmm_lTx_kernelILi32ELb1EdPKdKS1_KPdEv13rocblas_fill_17rocblas_diagonal_iiT2_lPT3_llS9_llPT4_lli
	.p2align	8
	.type	_ZL23rocblas_trmm_lTx_kernelILi32ELb1EdPKdKS1_KPdEv13rocblas_fill_17rocblas_diagonal_iiT2_lPT3_llS9_llPT4_lli,@function
_ZL23rocblas_trmm_lTx_kernelILi32ELb1EdPKdKS1_KPdEv13rocblas_fill_17rocblas_diagonal_iiT2_lPT3_llS9_llPT4_lli: ; @_ZL23rocblas_trmm_lTx_kernelILi32ELb1EdPKdKS1_KPdEv13rocblas_fill_17rocblas_diagonal_iiT2_lPT3_llS9_llPT4_lli
; %bb.0:
	s_load_b32 s33, s[0:1], 0x68
	s_bfe_u32 s2, ttmp6, 0x40014
	s_lshr_b32 s3, ttmp7, 16
	s_add_co_i32 s2, s2, 1
	s_bfe_u32 s5, ttmp6, 0x40008
	s_mul_i32 s4, s3, s2
	s_getreg_b32 s2, hwreg(HW_REG_IB_STS2, 6, 4)
	s_add_co_i32 s5, s5, s4
	s_cmp_eq_u32 s2, 0
	s_mov_b32 s7, 0
	s_cselect_b32 s6, s3, s5
	s_wait_kmcnt 0x0
	s_cmp_ge_u32 s6, s33
	s_cbranch_scc1 .LBB160_19
; %bb.1:
	s_clause 0x3
	s_load_b128 s[28:31], s[0:1], 0x0
	s_load_b512 s[8:23], s[0:1], 0x10
	s_load_b64 s[34:35], s[0:1], 0x60
	s_load_b128 s[24:27], s[0:1], 0x50
	v_bfe_u32 v2, v0, 10, 10
	v_mov_b32_e32 v3, 0
	s_wait_xcnt 0x0
	s_bfe_u32 s0, ttmp6, 0x4000c
	s_and_b32 s3, ttmp6, 15
	s_add_co_i32 s0, s0, 1
	v_and_b32_e32 v10, 0x3ff, v0
	s_mul_i32 s4, ttmp9, s0
	v_lshlrev_b32_e32 v8, 3, v2
	s_add_co_i32 s3, s3, s4
	v_lshl_add_u32 v21, v2, 8, 0x2000
	v_dual_lshlrev_b32 v11, 8, v10 :: v_dual_lshlrev_b32 v20, 3, v10
	v_lshlrev_b32_e32 v9, 5, v2
	v_cmp_eq_u32_e32 vcc_lo, v2, v10
	v_cmp_lt_u32_e64 s0, v10, v2
	s_delay_alu instid0(VALU_DEP_4)
	v_add_nc_u32_e32 v23, v8, v11
	s_wait_kmcnt 0x0
	s_add_co_i32 s5, s31, -1
	v_mul_u64_e32 v[0:1], s[14:15], v[2:3]
	s_ashr_i32 s36, s5, 31
	v_mul_u64_e32 v[4:5], s[20:21], v[2:3]
	v_mul_u64_e32 v[6:7], s[26:27], v[2:3]
	s_lshr_b32 s4, s36, 27
	v_add_lshl_u32 v22, v9, v10, 3
	s_add_co_i32 s4, s5, s4
	v_cmp_gt_u32_e64 s1, v10, v2
	s_and_b32 s5, s4, 0xffffffe0
	s_ashr_i32 s4, s4, 5
	s_sub_co_i32 s5, s31, s5
	s_cmp_eq_u32 s2, 0
	v_cmp_gt_i32_e64 s2, s30, v2
	s_cselect_b32 s14, ttmp9, s3
	v_cmp_gt_i32_e64 s3, s30, v10
	s_cmp_ge_i32 s14, s4
	v_mov_b64_e32 v[8:9], 0
	s_cselect_b32 s4, s5, 32
	s_lshl_b32 s14, s14, 5
	v_cmp_gt_i32_e64 s4, s4, v2
	s_and_b32 s30, s2, s3
	s_ashr_i32 s15, s14, 31
	v_lshlrev_b32_e32 v2, 3, v10
	v_mov_b64_e32 v[10:11], 1.0
	s_and_b32 s31, s3, s4
	s_cmp_eq_u32 s29, 0x84
	v_add_nc_u32_e32 v24, 0x2000, v22
	s_cselect_b32 s2, -1, 0
	v_add_nc_u32_e32 v25, 0x800, v20
	s_and_b32 s29, vcc_lo, s2
	v_add_nc_u32_e32 v26, 0x1000, v20
	v_add_nc_u32_e32 v27, 0x1800, v20
	s_mul_u64 s[20:21], s[20:21], s[14:15]
	s_cmp_lg_u32 s28, 0x7a
	s_mul_u64 s[36:37], s[26:27], s[14:15]
	s_cselect_b32 s26, -1, 0
	s_lshl_b64 s[2:3], s[16:17], 3
	s_lshl_b64 s[4:5], s[22:23], 3
	;; [unrolled: 1-line block ×5, first 2 shown]
	s_branch .LBB160_4
.LBB160_2:                              ;   in Loop: Header=BB160_4 Depth=1
	s_wait_xcnt 0x0
	s_or_b32 exec_lo, exec_lo, s22
.LBB160_3:                              ;   in Loop: Header=BB160_4 Depth=1
	s_add_co_i32 s6, s6, 0x10000
	s_delay_alu instid0(SALU_CYCLE_1)
	s_cmp_lt_u32 s6, s33
	s_cbranch_scc0 .LBB160_19
.LBB160_4:                              ; =>This Inner Loop Header: Depth=1
	s_wait_xcnt 0x0
	s_mul_u64 s[22:23], s[10:11], s[6:7]
	s_delay_alu instid0(SALU_CYCLE_1) | instskip(NEXT) | instid1(SALU_CYCLE_1)
	s_lshl_b64 s[22:23], s[22:23], 3
	s_add_nc_u64 s[22:23], s[8:9], s[22:23]
	global_load_b64 v[12:13], v3, s[22:23]
	s_wait_loadcnt 0x0
	v_cmp_eq_f64_e32 vcc_lo, 0, v[12:13]
	s_cbranch_vccnz .LBB160_3
; %bb.5:                                ;   in Loop: Header=BB160_4 Depth=1
	s_wait_xcnt 0x0
	s_lshl_b64 s[22:23], s[6:7], 3
	s_delay_alu instid0(SALU_CYCLE_1)
	s_add_nc_u64 s[34:35], s[12:13], s[22:23]
	s_add_nc_u64 s[36:37], s[18:19], s[22:23]
	;; [unrolled: 1-line block ×3, first 2 shown]
	s_clause 0x2
	global_load_b64 v[18:19], v3, s[34:35]
	global_load_b64 v[16:17], v3, s[36:37]
	;; [unrolled: 1-line block ×3, first 2 shown]
	ds_store_b64 v22, v[8:9]
	ds_store_b64 v24, v[8:9]
	s_wait_loadcnt_dscnt 0x0
	s_barrier_signal -1
	s_barrier_wait -1
	s_wait_xcnt 0x0
	s_and_saveexec_b32 s22, s30
	s_cbranch_execnz .LBB160_11
; %bb.6:                                ;   in Loop: Header=BB160_4 Depth=1
	s_or_b32 exec_lo, exec_lo, s22
	s_and_saveexec_b32 s22, s31
	s_cbranch_execnz .LBB160_12
.LBB160_7:                              ;   in Loop: Header=BB160_4 Depth=1
	s_or_b32 exec_lo, exec_lo, s22
	s_and_saveexec_b32 s22, s29
.LBB160_8:                              ;   in Loop: Header=BB160_4 Depth=1
	ds_store_b64 v22, v[10:11]
.LBB160_9:                              ;   in Loop: Header=BB160_4 Depth=1
	s_or_b32 exec_lo, exec_lo, s22
	s_delay_alu instid0(SALU_CYCLE_1)
	s_and_b32 vcc_lo, exec_lo, s26
	s_wait_dscnt 0x0
	s_barrier_signal -1
	s_barrier_wait -1
	s_cbranch_vccz .LBB160_13
; %bb.10:                               ;   in Loop: Header=BB160_4 Depth=1
	s_and_b32 s22, s0, exec_lo
	s_cbranch_execz .LBB160_14
	s_branch .LBB160_15
.LBB160_11:                             ;   in Loop: Header=BB160_4 Depth=1
	v_add_nc_u64_e32 v[18:19], s[2:3], v[18:19]
	s_delay_alu instid0(VALU_DEP_1) | instskip(NEXT) | instid1(VALU_DEP_1)
	v_lshl_add_u64 v[18:19], v[0:1], 3, v[18:19]
	v_add_nc_u64_e32 v[18:19], v[18:19], v[2:3]
	flat_load_b64 v[18:19], v[18:19]
	s_wait_loadcnt_dscnt 0x0
	ds_store_b64 v23, v[18:19]
	s_wait_xcnt 0x0
	s_or_b32 exec_lo, exec_lo, s22
	s_and_saveexec_b32 s22, s31
	s_cbranch_execz .LBB160_7
.LBB160_12:                             ;   in Loop: Header=BB160_4 Depth=1
	v_add_nc_u64_e32 v[16:17], s[4:5], v[16:17]
	s_delay_alu instid0(VALU_DEP_1) | instskip(NEXT) | instid1(VALU_DEP_1)
	v_add_nc_u64_e32 v[16:17], s[14:15], v[16:17]
	v_lshl_add_u64 v[16:17], v[4:5], 3, v[16:17]
	s_delay_alu instid0(VALU_DEP_1)
	v_add_nc_u64_e32 v[16:17], v[16:17], v[2:3]
	flat_load_b64 v[16:17], v[16:17]
	s_wait_loadcnt_dscnt 0x0
	ds_store_b64 v24, v[16:17]
	s_wait_xcnt 0x0
	s_or_b32 exec_lo, exec_lo, s22
	s_and_saveexec_b32 s22, s29
	s_cbranch_execnz .LBB160_8
	s_branch .LBB160_9
.LBB160_13:                             ;   in Loop: Header=BB160_4 Depth=1
	s_mov_b32 s22, 0
.LBB160_14:                             ;   in Loop: Header=BB160_4 Depth=1
	s_delay_alu instid0(SALU_CYCLE_1) | instskip(SKIP_1) | instid1(SALU_CYCLE_1)
	s_and_not1_b32 s22, s22, exec_lo
	s_and_b32 s23, s1, exec_lo
	s_or_b32 s22, s22, s23
.LBB160_15:                             ;   in Loop: Header=BB160_4 Depth=1
	s_delay_alu instid0(SALU_CYCLE_1)
	s_and_saveexec_b32 s23, s22
; %bb.16:                               ;   in Loop: Header=BB160_4 Depth=1
	ds_store_b64 v22, v[8:9]
; %bb.17:                               ;   in Loop: Header=BB160_4 Depth=1
	s_or_b32 exec_lo, exec_lo, s23
	s_wait_dscnt 0x0
	s_barrier_signal -1
	s_barrier_wait -1
	s_and_saveexec_b32 s22, s31
	s_cbranch_execz .LBB160_2
; %bb.18:                               ;   in Loop: Header=BB160_4 Depth=1
	ds_load_2addr_b64 v[16:19], v20 offset1:32
	ds_load_b128 v[28:31], v21
	ds_load_b128 v[32:35], v21 offset:16
	v_add_nc_u64_e32 v[14:15], s[16:17], v[14:15]
	s_delay_alu instid0(VALU_DEP_1) | instskip(NEXT) | instid1(VALU_DEP_1)
	v_add_nc_u64_e32 v[14:15], s[20:21], v[14:15]
	v_lshl_add_u64 v[14:15], v[6:7], 3, v[14:15]
	s_wait_dscnt 0x1
	v_fma_f64 v[16:17], v[16:17], v[28:29], 0
	s_delay_alu instid0(VALU_DEP_2) | instskip(NEXT) | instid1(VALU_DEP_2)
	v_add_nc_u64_e32 v[14:15], v[14:15], v[2:3]
	v_fmac_f64_e32 v[16:17], v[18:19], v[30:31]
	ds_load_2addr_b64 v[28:31], v20 offset0:64 offset1:96
	s_wait_dscnt 0x0
	v_fmac_f64_e32 v[16:17], v[28:29], v[32:33]
	s_delay_alu instid0(VALU_DEP_1)
	v_fmac_f64_e32 v[16:17], v[30:31], v[34:35]
	ds_load_2addr_b64 v[28:31], v20 offset0:128 offset1:160
	ds_load_b128 v[32:35], v21 offset:32
	ds_load_b128 v[36:39], v21 offset:48
	s_wait_dscnt 0x1
	v_fmac_f64_e32 v[16:17], v[28:29], v[32:33]
	s_delay_alu instid0(VALU_DEP_1) | instskip(SKIP_3) | instid1(VALU_DEP_1)
	v_fmac_f64_e32 v[16:17], v[30:31], v[34:35]
	ds_load_2addr_b64 v[28:31], v20 offset0:192 offset1:224
	s_wait_dscnt 0x0
	v_fmac_f64_e32 v[16:17], v[28:29], v[36:37]
	v_fmac_f64_e32 v[16:17], v[30:31], v[38:39]
	ds_load_2addr_b64 v[28:31], v25 offset1:32
	ds_load_b128 v[32:35], v21 offset:64
	ds_load_b128 v[36:39], v21 offset:80
	s_wait_dscnt 0x1
	v_fmac_f64_e32 v[16:17], v[28:29], v[32:33]
	s_delay_alu instid0(VALU_DEP_1) | instskip(SKIP_3) | instid1(VALU_DEP_1)
	v_fmac_f64_e32 v[16:17], v[30:31], v[34:35]
	ds_load_2addr_b64 v[28:31], v25 offset0:64 offset1:96
	s_wait_dscnt 0x0
	v_fmac_f64_e32 v[16:17], v[28:29], v[36:37]
	v_fmac_f64_e32 v[16:17], v[30:31], v[38:39]
	ds_load_2addr_b64 v[28:31], v25 offset0:128 offset1:160
	ds_load_b128 v[32:35], v21 offset:96
	ds_load_b128 v[36:39], v21 offset:112
	s_wait_dscnt 0x1
	v_fmac_f64_e32 v[16:17], v[28:29], v[32:33]
	s_delay_alu instid0(VALU_DEP_1) | instskip(SKIP_3) | instid1(VALU_DEP_1)
	v_fmac_f64_e32 v[16:17], v[30:31], v[34:35]
	ds_load_2addr_b64 v[28:31], v25 offset0:192 offset1:224
	s_wait_dscnt 0x0
	v_fmac_f64_e32 v[16:17], v[28:29], v[36:37]
	v_fmac_f64_e32 v[16:17], v[30:31], v[38:39]
	ds_load_2addr_b64 v[28:31], v26 offset1:32
	ds_load_b128 v[32:35], v21 offset:128
	ds_load_b128 v[36:39], v21 offset:144
	s_wait_dscnt 0x1
	v_fmac_f64_e32 v[16:17], v[28:29], v[32:33]
	s_delay_alu instid0(VALU_DEP_1) | instskip(SKIP_3) | instid1(VALU_DEP_1)
	v_fmac_f64_e32 v[16:17], v[30:31], v[34:35]
	ds_load_2addr_b64 v[28:31], v26 offset0:64 offset1:96
	s_wait_dscnt 0x0
	v_fmac_f64_e32 v[16:17], v[28:29], v[36:37]
	;; [unrolled: 22-line block ×3, first 2 shown]
	v_fmac_f64_e32 v[16:17], v[30:31], v[38:39]
	ds_load_2addr_b64 v[28:31], v27 offset0:128 offset1:160
	ds_load_b128 v[32:35], v21 offset:224
	ds_load_b128 v[36:39], v21 offset:240
	s_wait_dscnt 0x1
	v_fmac_f64_e32 v[16:17], v[28:29], v[32:33]
	s_delay_alu instid0(VALU_DEP_1) | instskip(SKIP_3) | instid1(VALU_DEP_1)
	v_fmac_f64_e32 v[16:17], v[30:31], v[34:35]
	ds_load_2addr_b64 v[28:31], v27 offset0:192 offset1:224
	s_wait_dscnt 0x0
	v_fmac_f64_e32 v[16:17], v[28:29], v[36:37]
	v_fmac_f64_e32 v[16:17], v[30:31], v[38:39]
	s_delay_alu instid0(VALU_DEP_1)
	v_mul_f64_e32 v[12:13], v[12:13], v[16:17]
	flat_store_b64 v[14:15], v[12:13]
	s_branch .LBB160_2
.LBB160_19:
	s_endpgm
	.section	.rodata,"a",@progbits
	.p2align	6, 0x0
	.amdhsa_kernel _ZL23rocblas_trmm_lTx_kernelILi32ELb1EdPKdKS1_KPdEv13rocblas_fill_17rocblas_diagonal_iiT2_lPT3_llS9_llPT4_lli
		.amdhsa_group_segment_fixed_size 16384
		.amdhsa_private_segment_fixed_size 0
		.amdhsa_kernarg_size 108
		.amdhsa_user_sgpr_count 2
		.amdhsa_user_sgpr_dispatch_ptr 0
		.amdhsa_user_sgpr_queue_ptr 0
		.amdhsa_user_sgpr_kernarg_segment_ptr 1
		.amdhsa_user_sgpr_dispatch_id 0
		.amdhsa_user_sgpr_kernarg_preload_length 0
		.amdhsa_user_sgpr_kernarg_preload_offset 0
		.amdhsa_user_sgpr_private_segment_size 0
		.amdhsa_wavefront_size32 1
		.amdhsa_uses_dynamic_stack 0
		.amdhsa_enable_private_segment 0
		.amdhsa_system_sgpr_workgroup_id_x 1
		.amdhsa_system_sgpr_workgroup_id_y 0
		.amdhsa_system_sgpr_workgroup_id_z 1
		.amdhsa_system_sgpr_workgroup_info 0
		.amdhsa_system_vgpr_workitem_id 1
		.amdhsa_next_free_vgpr 40
		.amdhsa_next_free_sgpr 38
		.amdhsa_named_barrier_count 0
		.amdhsa_reserve_vcc 1
		.amdhsa_float_round_mode_32 0
		.amdhsa_float_round_mode_16_64 0
		.amdhsa_float_denorm_mode_32 3
		.amdhsa_float_denorm_mode_16_64 3
		.amdhsa_fp16_overflow 0
		.amdhsa_memory_ordered 1
		.amdhsa_forward_progress 1
		.amdhsa_inst_pref_size 11
		.amdhsa_round_robin_scheduling 0
		.amdhsa_exception_fp_ieee_invalid_op 0
		.amdhsa_exception_fp_denorm_src 0
		.amdhsa_exception_fp_ieee_div_zero 0
		.amdhsa_exception_fp_ieee_overflow 0
		.amdhsa_exception_fp_ieee_underflow 0
		.amdhsa_exception_fp_ieee_inexact 0
		.amdhsa_exception_int_div_zero 0
	.end_amdhsa_kernel
	.section	.text._ZL23rocblas_trmm_lTx_kernelILi32ELb1EdPKdKS1_KPdEv13rocblas_fill_17rocblas_diagonal_iiT2_lPT3_llS9_llPT4_lli,"axG",@progbits,_ZL23rocblas_trmm_lTx_kernelILi32ELb1EdPKdKS1_KPdEv13rocblas_fill_17rocblas_diagonal_iiT2_lPT3_llS9_llPT4_lli,comdat
.Lfunc_end160:
	.size	_ZL23rocblas_trmm_lTx_kernelILi32ELb1EdPKdKS1_KPdEv13rocblas_fill_17rocblas_diagonal_iiT2_lPT3_llS9_llPT4_lli, .Lfunc_end160-_ZL23rocblas_trmm_lTx_kernelILi32ELb1EdPKdKS1_KPdEv13rocblas_fill_17rocblas_diagonal_iiT2_lPT3_llS9_llPT4_lli
                                        ; -- End function
	.set _ZL23rocblas_trmm_lTx_kernelILi32ELb1EdPKdKS1_KPdEv13rocblas_fill_17rocblas_diagonal_iiT2_lPT3_llS9_llPT4_lli.num_vgpr, 40
	.set _ZL23rocblas_trmm_lTx_kernelILi32ELb1EdPKdKS1_KPdEv13rocblas_fill_17rocblas_diagonal_iiT2_lPT3_llS9_llPT4_lli.num_agpr, 0
	.set _ZL23rocblas_trmm_lTx_kernelILi32ELb1EdPKdKS1_KPdEv13rocblas_fill_17rocblas_diagonal_iiT2_lPT3_llS9_llPT4_lli.numbered_sgpr, 38
	.set _ZL23rocblas_trmm_lTx_kernelILi32ELb1EdPKdKS1_KPdEv13rocblas_fill_17rocblas_diagonal_iiT2_lPT3_llS9_llPT4_lli.num_named_barrier, 0
	.set _ZL23rocblas_trmm_lTx_kernelILi32ELb1EdPKdKS1_KPdEv13rocblas_fill_17rocblas_diagonal_iiT2_lPT3_llS9_llPT4_lli.private_seg_size, 0
	.set _ZL23rocblas_trmm_lTx_kernelILi32ELb1EdPKdKS1_KPdEv13rocblas_fill_17rocblas_diagonal_iiT2_lPT3_llS9_llPT4_lli.uses_vcc, 1
	.set _ZL23rocblas_trmm_lTx_kernelILi32ELb1EdPKdKS1_KPdEv13rocblas_fill_17rocblas_diagonal_iiT2_lPT3_llS9_llPT4_lli.uses_flat_scratch, 0
	.set _ZL23rocblas_trmm_lTx_kernelILi32ELb1EdPKdKS1_KPdEv13rocblas_fill_17rocblas_diagonal_iiT2_lPT3_llS9_llPT4_lli.has_dyn_sized_stack, 0
	.set _ZL23rocblas_trmm_lTx_kernelILi32ELb1EdPKdKS1_KPdEv13rocblas_fill_17rocblas_diagonal_iiT2_lPT3_llS9_llPT4_lli.has_recursion, 0
	.set _ZL23rocblas_trmm_lTx_kernelILi32ELb1EdPKdKS1_KPdEv13rocblas_fill_17rocblas_diagonal_iiT2_lPT3_llS9_llPT4_lli.has_indirect_call, 0
	.section	.AMDGPU.csdata,"",@progbits
; Kernel info:
; codeLenInByte = 1404
; TotalNumSgprs: 40
; NumVgprs: 40
; ScratchSize: 0
; MemoryBound: 0
; FloatMode: 240
; IeeeMode: 1
; LDSByteSize: 16384 bytes/workgroup (compile time only)
; SGPRBlocks: 0
; VGPRBlocks: 2
; NumSGPRsForWavesPerEU: 40
; NumVGPRsForWavesPerEU: 40
; NamedBarCnt: 0
; Occupancy: 16
; WaveLimiterHint : 1
; COMPUTE_PGM_RSRC2:SCRATCH_EN: 0
; COMPUTE_PGM_RSRC2:USER_SGPR: 2
; COMPUTE_PGM_RSRC2:TRAP_HANDLER: 0
; COMPUTE_PGM_RSRC2:TGID_X_EN: 1
; COMPUTE_PGM_RSRC2:TGID_Y_EN: 0
; COMPUTE_PGM_RSRC2:TGID_Z_EN: 1
; COMPUTE_PGM_RSRC2:TIDIG_COMP_CNT: 1
	.section	.text._ZL23rocblas_trmm_lTx_kernelILi32ELb1EddKPKdKPdEv13rocblas_fill_17rocblas_diagonal_iiT2_lPT3_llS9_llPT4_lli,"axG",@progbits,_ZL23rocblas_trmm_lTx_kernelILi32ELb1EddKPKdKPdEv13rocblas_fill_17rocblas_diagonal_iiT2_lPT3_llS9_llPT4_lli,comdat
	.globl	_ZL23rocblas_trmm_lTx_kernelILi32ELb1EddKPKdKPdEv13rocblas_fill_17rocblas_diagonal_iiT2_lPT3_llS9_llPT4_lli ; -- Begin function _ZL23rocblas_trmm_lTx_kernelILi32ELb1EddKPKdKPdEv13rocblas_fill_17rocblas_diagonal_iiT2_lPT3_llS9_llPT4_lli
	.p2align	8
	.type	_ZL23rocblas_trmm_lTx_kernelILi32ELb1EddKPKdKPdEv13rocblas_fill_17rocblas_diagonal_iiT2_lPT3_llS9_llPT4_lli,@function
_ZL23rocblas_trmm_lTx_kernelILi32ELb1EddKPKdKPdEv13rocblas_fill_17rocblas_diagonal_iiT2_lPT3_llS9_llPT4_lli: ; @_ZL23rocblas_trmm_lTx_kernelILi32ELb1EddKPKdKPdEv13rocblas_fill_17rocblas_diagonal_iiT2_lPT3_llS9_llPT4_lli
; %bb.0:
	s_load_b32 s28, s[0:1], 0x68
	s_bfe_u32 s2, ttmp6, 0x40014
	s_lshr_b32 s4, ttmp7, 16
	s_add_co_i32 s2, s2, 1
	s_bfe_u32 s5, ttmp6, 0x40008
	s_mul_i32 s2, s4, s2
	s_getreg_b32 s3, hwreg(HW_REG_IB_STS2, 6, 4)
	s_add_co_i32 s5, s5, s2
	s_cmp_eq_u32 s3, 0
	s_cselect_b32 s29, s4, s5
	s_wait_kmcnt 0x0
	s_cmp_ge_u32 s29, s28
	s_cbranch_scc1 .LBB161_19
; %bb.1:
	s_clause 0x3
	s_load_b128 s[24:27], s[0:1], 0x0
	s_load_b64 s[6:7], s[0:1], 0x10
	s_load_b512 s[8:23], s[0:1], 0x20
	s_load_b64 s[34:35], s[0:1], 0x60
	s_wait_xcnt 0x0
	s_bfe_u32 s0, ttmp6, 0x4000c
	v_bfe_u32 v2, v0, 10, 10
	v_and_b32_e32 v10, 0x3ff, v0
	s_add_co_i32 s0, s0, 1
	s_and_b32 s2, ttmp6, 15
	s_mul_i32 s4, ttmp9, s0
	v_dual_mov_b32 v3, 0 :: v_dual_lshlrev_b32 v8, 3, v2
	s_add_co_i32 s4, s2, s4
	v_dual_lshlrev_b32 v9, 8, v10 :: v_dual_lshlrev_b32 v18, 3, v10
	v_lshlrev_b32_e32 v0, 5, v2
	v_cmp_eq_u32_e32 vcc_lo, v2, v10
	v_cmp_lt_u32_e64 s0, v10, v2
	s_delay_alu instid0(VALU_DEP_4)
	v_add_nc_u32_e32 v22, v8, v9
	v_cmp_gt_u32_e64 s1, v10, v2
	s_wait_kmcnt 0x0
	s_add_co_i32 s5, s27, -1
	v_add_lshl_u32 v19, v0, v10, 3
	s_ashr_i32 s2, s5, 31
	v_mul_u64_e32 v[0:1], s[10:11], v[2:3]
	s_lshr_b32 s30, s2, 27
	v_cmp_gt_i32_e64 s2, s26, v2
	s_add_co_i32 s5, s5, s30
	v_mul_u64_e32 v[4:5], s[16:17], v[2:3]
	s_and_b32 s10, s5, 0xffffffe0
	s_ashr_i32 s5, s5, 5
	s_sub_co_i32 s10, s27, s10
	s_cmp_eq_u32 s3, 0
	v_cmp_gt_i32_e64 s3, s26, v10
	s_cselect_b32 s11, ttmp9, s4
	v_mul_u64_e32 v[6:7], s[22:23], v[2:3]
	s_cmp_ge_i32 s11, s5
	v_lshl_add_u32 v20, v2, 8, 0x2000
	s_cselect_b32 s4, s10, 32
	s_lshl_b32 s10, s11, 5
	v_cmp_gt_i32_e64 s4, s4, v2
	s_and_b32 s26, s2, s3
	s_ashr_i32 s11, s10, 31
	v_mov_b64_e32 v[8:9], 0
	v_lshlrev_b32_e32 v2, 3, v10
	s_and_b32 s27, s3, s4
	s_cmp_eq_u32 s25, 0x84
	v_cmp_neq_f64_e64 s25, s[6:7], 0
	s_cselect_b32 s2, -1, 0
	v_mov_b64_e32 v[10:11], 1.0
	v_add_nc_u32_e32 v21, 0x2000, v19
	s_and_b32 s30, vcc_lo, s2
	v_add_nc_u32_e32 v23, 0x800, v18
	v_add_nc_u32_e32 v24, 0x1000, v18
	;; [unrolled: 1-line block ×3, first 2 shown]
	s_mul_u64 s[16:17], s[16:17], s[10:11]
	s_cmp_lg_u32 s24, 0x7a
	s_mul_u64 s[36:37], s[22:23], s[10:11]
	s_cselect_b32 s22, -1, 0
	s_lshl_b64 s[2:3], s[12:13], 3
	s_lshl_b64 s[4:5], s[18:19], 3
	;; [unrolled: 1-line block ×5, first 2 shown]
	s_branch .LBB161_4
.LBB161_2:                              ;   in Loop: Header=BB161_4 Depth=1
	s_wait_xcnt 0x0
	s_or_b32 exec_lo, exec_lo, s18
.LBB161_3:                              ;   in Loop: Header=BB161_4 Depth=1
	s_add_co_i32 s29, s29, 0x10000
	s_delay_alu instid0(SALU_CYCLE_1)
	s_cmp_lt_u32 s29, s28
	s_cbranch_scc0 .LBB161_19
.LBB161_4:                              ; =>This Inner Loop Header: Depth=1
	s_and_not1_b32 vcc_lo, exec_lo, s25
	s_cbranch_vccnz .LBB161_3
; %bb.5:                                ;   in Loop: Header=BB161_4 Depth=1
	v_mov_b32_e32 v26, s29
	s_clause 0x2
	global_load_b64 v[16:17], v26, s[8:9] scale_offset
	global_load_b64 v[14:15], v26, s[14:15] scale_offset
	;; [unrolled: 1-line block ×3, first 2 shown]
	ds_store_b64 v19, v[8:9]
	ds_store_b64 v21, v[8:9]
	s_wait_loadcnt_dscnt 0x0
	s_barrier_signal -1
	s_barrier_wait -1
	s_wait_xcnt 0x0
	s_and_saveexec_b32 s18, s26
	s_cbranch_execnz .LBB161_11
; %bb.6:                                ;   in Loop: Header=BB161_4 Depth=1
	s_or_b32 exec_lo, exec_lo, s18
	s_and_saveexec_b32 s18, s27
	s_cbranch_execnz .LBB161_12
.LBB161_7:                              ;   in Loop: Header=BB161_4 Depth=1
	s_or_b32 exec_lo, exec_lo, s18
	s_and_saveexec_b32 s18, s30
.LBB161_8:                              ;   in Loop: Header=BB161_4 Depth=1
	ds_store_b64 v19, v[10:11]
.LBB161_9:                              ;   in Loop: Header=BB161_4 Depth=1
	s_or_b32 exec_lo, exec_lo, s18
	s_delay_alu instid0(SALU_CYCLE_1)
	s_and_b32 vcc_lo, exec_lo, s22
	s_wait_dscnt 0x0
	s_barrier_signal -1
	s_barrier_wait -1
	s_cbranch_vccz .LBB161_13
; %bb.10:                               ;   in Loop: Header=BB161_4 Depth=1
	s_and_b32 s18, s0, exec_lo
	s_cbranch_execz .LBB161_14
	s_branch .LBB161_15
.LBB161_11:                             ;   in Loop: Header=BB161_4 Depth=1
	v_add_nc_u64_e32 v[16:17], s[2:3], v[16:17]
	s_delay_alu instid0(VALU_DEP_1) | instskip(NEXT) | instid1(VALU_DEP_1)
	v_lshl_add_u64 v[16:17], v[0:1], 3, v[16:17]
	v_add_nc_u64_e32 v[16:17], v[16:17], v[2:3]
	flat_load_b64 v[16:17], v[16:17]
	s_wait_loadcnt_dscnt 0x0
	ds_store_b64 v22, v[16:17]
	s_wait_xcnt 0x0
	s_or_b32 exec_lo, exec_lo, s18
	s_and_saveexec_b32 s18, s27
	s_cbranch_execz .LBB161_7
.LBB161_12:                             ;   in Loop: Header=BB161_4 Depth=1
	v_add_nc_u64_e32 v[14:15], s[4:5], v[14:15]
	s_delay_alu instid0(VALU_DEP_1) | instskip(NEXT) | instid1(VALU_DEP_1)
	v_add_nc_u64_e32 v[14:15], s[10:11], v[14:15]
	v_lshl_add_u64 v[14:15], v[4:5], 3, v[14:15]
	s_delay_alu instid0(VALU_DEP_1)
	v_add_nc_u64_e32 v[14:15], v[14:15], v[2:3]
	flat_load_b64 v[14:15], v[14:15]
	s_wait_loadcnt_dscnt 0x0
	ds_store_b64 v21, v[14:15]
	s_wait_xcnt 0x0
	s_or_b32 exec_lo, exec_lo, s18
	s_and_saveexec_b32 s18, s30
	s_cbranch_execnz .LBB161_8
	s_branch .LBB161_9
.LBB161_13:                             ;   in Loop: Header=BB161_4 Depth=1
	s_mov_b32 s18, 0
.LBB161_14:                             ;   in Loop: Header=BB161_4 Depth=1
	s_delay_alu instid0(SALU_CYCLE_1) | instskip(SKIP_1) | instid1(SALU_CYCLE_1)
	s_and_not1_b32 s18, s18, exec_lo
	s_and_b32 s19, s1, exec_lo
	s_or_b32 s18, s18, s19
.LBB161_15:                             ;   in Loop: Header=BB161_4 Depth=1
	s_delay_alu instid0(SALU_CYCLE_1)
	s_and_saveexec_b32 s19, s18
; %bb.16:                               ;   in Loop: Header=BB161_4 Depth=1
	ds_store_b64 v19, v[8:9]
; %bb.17:                               ;   in Loop: Header=BB161_4 Depth=1
	s_or_b32 exec_lo, exec_lo, s19
	s_wait_dscnt 0x0
	s_barrier_signal -1
	s_barrier_wait -1
	s_and_saveexec_b32 s18, s27
	s_cbranch_execz .LBB161_2
; %bb.18:                               ;   in Loop: Header=BB161_4 Depth=1
	ds_load_2addr_b64 v[14:17], v18 offset1:32
	ds_load_b128 v[26:29], v20
	ds_load_b128 v[30:33], v20 offset:16
	v_add_nc_u64_e32 v[12:13], s[12:13], v[12:13]
	s_delay_alu instid0(VALU_DEP_1) | instskip(NEXT) | instid1(VALU_DEP_1)
	v_add_nc_u64_e32 v[12:13], s[16:17], v[12:13]
	v_lshl_add_u64 v[12:13], v[6:7], 3, v[12:13]
	s_wait_dscnt 0x1
	v_fma_f64 v[14:15], v[14:15], v[26:27], 0
	s_delay_alu instid0(VALU_DEP_2) | instskip(NEXT) | instid1(VALU_DEP_2)
	v_add_nc_u64_e32 v[12:13], v[12:13], v[2:3]
	v_fmac_f64_e32 v[14:15], v[16:17], v[28:29]
	ds_load_2addr_b64 v[26:29], v18 offset0:64 offset1:96
	s_wait_dscnt 0x0
	v_fmac_f64_e32 v[14:15], v[26:27], v[30:31]
	s_delay_alu instid0(VALU_DEP_1)
	v_fmac_f64_e32 v[14:15], v[28:29], v[32:33]
	ds_load_2addr_b64 v[26:29], v18 offset0:128 offset1:160
	ds_load_b128 v[30:33], v20 offset:32
	ds_load_b128 v[34:37], v20 offset:48
	s_wait_dscnt 0x1
	v_fmac_f64_e32 v[14:15], v[26:27], v[30:31]
	s_delay_alu instid0(VALU_DEP_1) | instskip(SKIP_3) | instid1(VALU_DEP_1)
	v_fmac_f64_e32 v[14:15], v[28:29], v[32:33]
	ds_load_2addr_b64 v[26:29], v18 offset0:192 offset1:224
	s_wait_dscnt 0x0
	v_fmac_f64_e32 v[14:15], v[26:27], v[34:35]
	v_fmac_f64_e32 v[14:15], v[28:29], v[36:37]
	ds_load_2addr_b64 v[26:29], v23 offset1:32
	ds_load_b128 v[30:33], v20 offset:64
	ds_load_b128 v[34:37], v20 offset:80
	s_wait_dscnt 0x1
	v_fmac_f64_e32 v[14:15], v[26:27], v[30:31]
	s_delay_alu instid0(VALU_DEP_1) | instskip(SKIP_3) | instid1(VALU_DEP_1)
	v_fmac_f64_e32 v[14:15], v[28:29], v[32:33]
	ds_load_2addr_b64 v[26:29], v23 offset0:64 offset1:96
	s_wait_dscnt 0x0
	v_fmac_f64_e32 v[14:15], v[26:27], v[34:35]
	v_fmac_f64_e32 v[14:15], v[28:29], v[36:37]
	ds_load_2addr_b64 v[26:29], v23 offset0:128 offset1:160
	ds_load_b128 v[30:33], v20 offset:96
	ds_load_b128 v[34:37], v20 offset:112
	s_wait_dscnt 0x1
	v_fmac_f64_e32 v[14:15], v[26:27], v[30:31]
	s_delay_alu instid0(VALU_DEP_1) | instskip(SKIP_3) | instid1(VALU_DEP_1)
	v_fmac_f64_e32 v[14:15], v[28:29], v[32:33]
	ds_load_2addr_b64 v[26:29], v23 offset0:192 offset1:224
	s_wait_dscnt 0x0
	v_fmac_f64_e32 v[14:15], v[26:27], v[34:35]
	v_fmac_f64_e32 v[14:15], v[28:29], v[36:37]
	ds_load_2addr_b64 v[26:29], v24 offset1:32
	ds_load_b128 v[30:33], v20 offset:128
	ds_load_b128 v[34:37], v20 offset:144
	s_wait_dscnt 0x1
	v_fmac_f64_e32 v[14:15], v[26:27], v[30:31]
	s_delay_alu instid0(VALU_DEP_1) | instskip(SKIP_3) | instid1(VALU_DEP_1)
	v_fmac_f64_e32 v[14:15], v[28:29], v[32:33]
	ds_load_2addr_b64 v[26:29], v24 offset0:64 offset1:96
	s_wait_dscnt 0x0
	v_fmac_f64_e32 v[14:15], v[26:27], v[34:35]
	;; [unrolled: 22-line block ×3, first 2 shown]
	v_fmac_f64_e32 v[14:15], v[28:29], v[36:37]
	ds_load_2addr_b64 v[26:29], v25 offset0:128 offset1:160
	ds_load_b128 v[30:33], v20 offset:224
	ds_load_b128 v[34:37], v20 offset:240
	s_wait_dscnt 0x1
	v_fmac_f64_e32 v[14:15], v[26:27], v[30:31]
	s_delay_alu instid0(VALU_DEP_1) | instskip(SKIP_3) | instid1(VALU_DEP_1)
	v_fmac_f64_e32 v[14:15], v[28:29], v[32:33]
	ds_load_2addr_b64 v[26:29], v25 offset0:192 offset1:224
	s_wait_dscnt 0x0
	v_fmac_f64_e32 v[14:15], v[26:27], v[34:35]
	v_fmac_f64_e32 v[14:15], v[28:29], v[36:37]
	s_delay_alu instid0(VALU_DEP_1)
	v_mul_f64_e32 v[14:15], s[6:7], v[14:15]
	flat_store_b64 v[12:13], v[14:15]
	s_branch .LBB161_2
.LBB161_19:
	s_endpgm
	.section	.rodata,"a",@progbits
	.p2align	6, 0x0
	.amdhsa_kernel _ZL23rocblas_trmm_lTx_kernelILi32ELb1EddKPKdKPdEv13rocblas_fill_17rocblas_diagonal_iiT2_lPT3_llS9_llPT4_lli
		.amdhsa_group_segment_fixed_size 16384
		.amdhsa_private_segment_fixed_size 0
		.amdhsa_kernarg_size 108
		.amdhsa_user_sgpr_count 2
		.amdhsa_user_sgpr_dispatch_ptr 0
		.amdhsa_user_sgpr_queue_ptr 0
		.amdhsa_user_sgpr_kernarg_segment_ptr 1
		.amdhsa_user_sgpr_dispatch_id 0
		.amdhsa_user_sgpr_kernarg_preload_length 0
		.amdhsa_user_sgpr_kernarg_preload_offset 0
		.amdhsa_user_sgpr_private_segment_size 0
		.amdhsa_wavefront_size32 1
		.amdhsa_uses_dynamic_stack 0
		.amdhsa_enable_private_segment 0
		.amdhsa_system_sgpr_workgroup_id_x 1
		.amdhsa_system_sgpr_workgroup_id_y 0
		.amdhsa_system_sgpr_workgroup_id_z 1
		.amdhsa_system_sgpr_workgroup_info 0
		.amdhsa_system_vgpr_workitem_id 1
		.amdhsa_next_free_vgpr 38
		.amdhsa_next_free_sgpr 38
		.amdhsa_named_barrier_count 0
		.amdhsa_reserve_vcc 1
		.amdhsa_float_round_mode_32 0
		.amdhsa_float_round_mode_16_64 0
		.amdhsa_float_denorm_mode_32 3
		.amdhsa_float_denorm_mode_16_64 3
		.amdhsa_fp16_overflow 0
		.amdhsa_memory_ordered 1
		.amdhsa_forward_progress 1
		.amdhsa_inst_pref_size 11
		.amdhsa_round_robin_scheduling 0
		.amdhsa_exception_fp_ieee_invalid_op 0
		.amdhsa_exception_fp_denorm_src 0
		.amdhsa_exception_fp_ieee_div_zero 0
		.amdhsa_exception_fp_ieee_overflow 0
		.amdhsa_exception_fp_ieee_underflow 0
		.amdhsa_exception_fp_ieee_inexact 0
		.amdhsa_exception_int_div_zero 0
	.end_amdhsa_kernel
	.section	.text._ZL23rocblas_trmm_lTx_kernelILi32ELb1EddKPKdKPdEv13rocblas_fill_17rocblas_diagonal_iiT2_lPT3_llS9_llPT4_lli,"axG",@progbits,_ZL23rocblas_trmm_lTx_kernelILi32ELb1EddKPKdKPdEv13rocblas_fill_17rocblas_diagonal_iiT2_lPT3_llS9_llPT4_lli,comdat
.Lfunc_end161:
	.size	_ZL23rocblas_trmm_lTx_kernelILi32ELb1EddKPKdKPdEv13rocblas_fill_17rocblas_diagonal_iiT2_lPT3_llS9_llPT4_lli, .Lfunc_end161-_ZL23rocblas_trmm_lTx_kernelILi32ELb1EddKPKdKPdEv13rocblas_fill_17rocblas_diagonal_iiT2_lPT3_llS9_llPT4_lli
                                        ; -- End function
	.set _ZL23rocblas_trmm_lTx_kernelILi32ELb1EddKPKdKPdEv13rocblas_fill_17rocblas_diagonal_iiT2_lPT3_llS9_llPT4_lli.num_vgpr, 38
	.set _ZL23rocblas_trmm_lTx_kernelILi32ELb1EddKPKdKPdEv13rocblas_fill_17rocblas_diagonal_iiT2_lPT3_llS9_llPT4_lli.num_agpr, 0
	.set _ZL23rocblas_trmm_lTx_kernelILi32ELb1EddKPKdKPdEv13rocblas_fill_17rocblas_diagonal_iiT2_lPT3_llS9_llPT4_lli.numbered_sgpr, 38
	.set _ZL23rocblas_trmm_lTx_kernelILi32ELb1EddKPKdKPdEv13rocblas_fill_17rocblas_diagonal_iiT2_lPT3_llS9_llPT4_lli.num_named_barrier, 0
	.set _ZL23rocblas_trmm_lTx_kernelILi32ELb1EddKPKdKPdEv13rocblas_fill_17rocblas_diagonal_iiT2_lPT3_llS9_llPT4_lli.private_seg_size, 0
	.set _ZL23rocblas_trmm_lTx_kernelILi32ELb1EddKPKdKPdEv13rocblas_fill_17rocblas_diagonal_iiT2_lPT3_llS9_llPT4_lli.uses_vcc, 1
	.set _ZL23rocblas_trmm_lTx_kernelILi32ELb1EddKPKdKPdEv13rocblas_fill_17rocblas_diagonal_iiT2_lPT3_llS9_llPT4_lli.uses_flat_scratch, 0
	.set _ZL23rocblas_trmm_lTx_kernelILi32ELb1EddKPKdKPdEv13rocblas_fill_17rocblas_diagonal_iiT2_lPT3_llS9_llPT4_lli.has_dyn_sized_stack, 0
	.set _ZL23rocblas_trmm_lTx_kernelILi32ELb1EddKPKdKPdEv13rocblas_fill_17rocblas_diagonal_iiT2_lPT3_llS9_llPT4_lli.has_recursion, 0
	.set _ZL23rocblas_trmm_lTx_kernelILi32ELb1EddKPKdKPdEv13rocblas_fill_17rocblas_diagonal_iiT2_lPT3_llS9_llPT4_lli.has_indirect_call, 0
	.section	.AMDGPU.csdata,"",@progbits
; Kernel info:
; codeLenInByte = 1352
; TotalNumSgprs: 40
; NumVgprs: 38
; ScratchSize: 0
; MemoryBound: 0
; FloatMode: 240
; IeeeMode: 1
; LDSByteSize: 16384 bytes/workgroup (compile time only)
; SGPRBlocks: 0
; VGPRBlocks: 2
; NumSGPRsForWavesPerEU: 40
; NumVGPRsForWavesPerEU: 38
; NamedBarCnt: 0
; Occupancy: 16
; WaveLimiterHint : 1
; COMPUTE_PGM_RSRC2:SCRATCH_EN: 0
; COMPUTE_PGM_RSRC2:USER_SGPR: 2
; COMPUTE_PGM_RSRC2:TRAP_HANDLER: 0
; COMPUTE_PGM_RSRC2:TGID_X_EN: 1
; COMPUTE_PGM_RSRC2:TGID_Y_EN: 0
; COMPUTE_PGM_RSRC2:TGID_Z_EN: 1
; COMPUTE_PGM_RSRC2:TIDIG_COMP_CNT: 1
	.section	.text._ZL23rocblas_trmm_rNx_kernelILi32EdPKdKS1_KPdEv13rocblas_fill_17rocblas_diagonal_iiT1_lPT2_llS9_llPT3_lli,"axG",@progbits,_ZL23rocblas_trmm_rNx_kernelILi32EdPKdKS1_KPdEv13rocblas_fill_17rocblas_diagonal_iiT1_lPT2_llS9_llPT3_lli,comdat
	.globl	_ZL23rocblas_trmm_rNx_kernelILi32EdPKdKS1_KPdEv13rocblas_fill_17rocblas_diagonal_iiT1_lPT2_llS9_llPT3_lli ; -- Begin function _ZL23rocblas_trmm_rNx_kernelILi32EdPKdKS1_KPdEv13rocblas_fill_17rocblas_diagonal_iiT1_lPT2_llS9_llPT3_lli
	.p2align	8
	.type	_ZL23rocblas_trmm_rNx_kernelILi32EdPKdKS1_KPdEv13rocblas_fill_17rocblas_diagonal_iiT1_lPT2_llS9_llPT3_lli,@function
_ZL23rocblas_trmm_rNx_kernelILi32EdPKdKS1_KPdEv13rocblas_fill_17rocblas_diagonal_iiT1_lPT2_llS9_llPT3_lli: ; @_ZL23rocblas_trmm_rNx_kernelILi32EdPKdKS1_KPdEv13rocblas_fill_17rocblas_diagonal_iiT1_lPT2_llS9_llPT3_lli
; %bb.0:
	s_load_b32 s33, s[0:1], 0x68
	s_bfe_u32 s2, ttmp6, 0x40014
	s_lshr_b32 s3, ttmp7, 16
	s_add_co_i32 s2, s2, 1
	s_bfe_u32 s5, ttmp6, 0x40008
	s_mul_i32 s4, s3, s2
	s_getreg_b32 s2, hwreg(HW_REG_IB_STS2, 6, 4)
	s_add_co_i32 s5, s5, s4
	s_cmp_eq_u32 s2, 0
	s_mov_b32 s7, 0
	s_cselect_b32 s6, s3, s5
	s_wait_kmcnt 0x0
	s_cmp_ge_u32 s6, s33
	s_cbranch_scc1 .LBB162_19
; %bb.1:
	s_clause 0x3
	s_load_b128 s[28:31], s[0:1], 0x0
	s_load_b512 s[8:23], s[0:1], 0x10
	s_load_b64 s[34:35], s[0:1], 0x60
	s_load_b128 s[24:27], s[0:1], 0x50
	v_bfe_u32 v2, v0, 10, 10
	v_mov_b32_e32 v3, 0
	s_wait_xcnt 0x0
	s_bfe_u32 s0, ttmp6, 0x4000c
	s_and_b32 s3, ttmp6, 15
	s_add_co_i32 s0, s0, 1
	v_lshlrev_b32_e32 v13, 5, v2
	s_mul_i32 s4, ttmp9, s0
	v_and_b32_e32 v12, 0x3ff, v0
	s_add_co_i32 s3, s3, s4
	v_mov_b64_e32 v[0:1], 0
	v_mov_b64_e32 v[4:5], 1.0
	v_lshlrev_b32_e32 v19, 8, v2
	v_cmp_eq_u32_e32 vcc_lo, v2, v12
	v_lshl_add_u32 v18, v12, 3, 0x2000
	v_add_lshl_u32 v20, v13, v12, 3
	v_cmp_lt_u32_e64 s0, v12, v2
	s_wait_kmcnt 0x0
	s_add_co_i32 s5, s30, -1
	v_mul_u64_e32 v[6:7], s[14:15], v[2:3]
	s_ashr_i32 s14, s5, 31
	v_mul_u64_e32 v[8:9], s[20:21], v[2:3]
	v_mul_u64_e32 v[10:11], s[26:27], v[2:3]
	s_lshr_b32 s14, s14, 27
	v_cmp_gt_u32_e64 s1, v12, v2
	s_add_co_i32 s5, s5, s14
	v_add_nc_u32_e32 v21, 0x800, v18
	s_and_b32 s4, s5, 0xffffffe0
	s_ashr_i32 s5, s5, 5
	s_sub_co_i32 s4, s30, s4
	s_cmp_eq_u32 s2, 0
	v_cmp_gt_i32_e64 s2, s31, v2
	s_cselect_b32 s14, ttmp9, s3
	v_cmp_gt_i32_e64 s3, s31, v12
	s_cmp_ge_i32 s14, s5
	v_add_nc_u32_e32 v22, 0x1000, v18
	s_cselect_b32 s4, s4, 32
	s_lshl_b32 s14, s14, 5
	v_cmp_gt_i32_e64 s4, s4, v12
	s_and_b32 s26, s2, s3
	s_ashr_i32 s15, s14, 31
	v_add_nc_u32_e32 v23, 0x1800, v18
	v_add_nc_u32_e32 v24, 0x2000, v20
	s_and_b32 s27, s2, s4
	s_cmp_eq_u32 s29, 0x84
	v_lshlrev_b32_e32 v2, 3, v12
	s_cselect_b32 s2, -1, 0
	s_delay_alu instid0(SALU_CYCLE_1)
	s_and_b32 s29, vcc_lo, s2
	s_cmp_lg_u32 s28, 0x79
	s_cselect_b32 s28, -1, 0
	s_lshl_b64 s[2:3], s[16:17], 3
	s_lshl_b64 s[4:5], s[22:23], 3
	;; [unrolled: 1-line block ×4, first 2 shown]
	s_branch .LBB162_4
.LBB162_2:                              ;   in Loop: Header=BB162_4 Depth=1
	s_wait_xcnt 0x0
	s_or_b32 exec_lo, exec_lo, s20
.LBB162_3:                              ;   in Loop: Header=BB162_4 Depth=1
	s_add_co_i32 s6, s6, 0x10000
	s_delay_alu instid0(SALU_CYCLE_1)
	s_cmp_lt_u32 s6, s33
	s_cbranch_scc0 .LBB162_19
.LBB162_4:                              ; =>This Inner Loop Header: Depth=1
	s_wait_xcnt 0x0
	s_mul_u64 s[20:21], s[10:11], s[6:7]
	s_delay_alu instid0(SALU_CYCLE_1) | instskip(NEXT) | instid1(SALU_CYCLE_1)
	s_lshl_b64 s[20:21], s[20:21], 3
	s_add_nc_u64 s[20:21], s[8:9], s[20:21]
	global_load_b64 v[12:13], v3, s[20:21]
	s_wait_loadcnt 0x0
	v_cmp_eq_f64_e32 vcc_lo, 0, v[12:13]
	s_cbranch_vccnz .LBB162_3
; %bb.5:                                ;   in Loop: Header=BB162_4 Depth=1
	s_wait_xcnt 0x0
	s_lshl_b64 s[20:21], s[6:7], 3
	s_delay_alu instid0(SALU_CYCLE_1)
	s_add_nc_u64 s[22:23], s[18:19], s[20:21]
	s_add_nc_u64 s[30:31], s[24:25], s[20:21]
	s_clause 0x1
	global_load_b64 v[16:17], v3, s[22:23]
	global_load_b64 v[14:15], v3, s[30:31]
	ds_store_b64 v20, v[0:1]
	ds_store_b64 v24, v[0:1]
	s_wait_xcnt 0x0
	s_and_saveexec_b32 s22, s26
	s_cbranch_execnz .LBB162_10
; %bb.6:                                ;   in Loop: Header=BB162_4 Depth=1
	s_or_b32 exec_lo, exec_lo, s22
	s_and_saveexec_b32 s20, s27
	s_cbranch_execnz .LBB162_11
.LBB162_7:                              ;   in Loop: Header=BB162_4 Depth=1
	s_or_b32 exec_lo, exec_lo, s20
	s_and_saveexec_b32 s20, s29
	s_cbranch_execnz .LBB162_12
.LBB162_8:                              ;   in Loop: Header=BB162_4 Depth=1
	s_or_b32 exec_lo, exec_lo, s20
	s_delay_alu instid0(SALU_CYCLE_1)
	s_and_b32 vcc_lo, exec_lo, s28
	s_cbranch_vccz .LBB162_13
.LBB162_9:                              ;   in Loop: Header=BB162_4 Depth=1
	s_and_b32 s20, s0, exec_lo
	s_cbranch_execz .LBB162_14
	s_branch .LBB162_15
.LBB162_10:                             ;   in Loop: Header=BB162_4 Depth=1
	s_add_nc_u64 s[20:21], s[12:13], s[20:21]
	global_load_b64 v[26:27], v3, s[20:21]
	s_wait_loadcnt 0x0
	v_add_nc_u64_e32 v[26:27], s[2:3], v[26:27]
	s_delay_alu instid0(VALU_DEP_1) | instskip(NEXT) | instid1(VALU_DEP_1)
	v_lshl_add_u64 v[26:27], v[6:7], 3, v[26:27]
	v_add_nc_u64_e32 v[26:27], v[26:27], v[2:3]
	flat_load_b64 v[26:27], v[26:27]
	s_wait_loadcnt_dscnt 0x0
	ds_store_b64 v20, v[26:27]
	s_wait_xcnt 0x0
	s_or_b32 exec_lo, exec_lo, s22
	s_and_saveexec_b32 s20, s27
	s_cbranch_execz .LBB162_7
.LBB162_11:                             ;   in Loop: Header=BB162_4 Depth=1
	s_wait_loadcnt 0x1
	v_add_nc_u64_e32 v[16:17], s[4:5], v[16:17]
	s_delay_alu instid0(VALU_DEP_1) | instskip(NEXT) | instid1(VALU_DEP_1)
	v_add_nc_u64_e32 v[16:17], s[14:15], v[16:17]
	v_lshl_add_u64 v[16:17], v[8:9], 3, v[16:17]
	s_delay_alu instid0(VALU_DEP_1)
	v_add_nc_u64_e32 v[16:17], v[16:17], v[2:3]
	flat_load_b64 v[16:17], v[16:17]
	s_wait_loadcnt_dscnt 0x0
	ds_store_b64 v24, v[16:17]
	s_wait_xcnt 0x0
	s_or_b32 exec_lo, exec_lo, s20
	s_and_saveexec_b32 s20, s29
	s_cbranch_execz .LBB162_8
.LBB162_12:                             ;   in Loop: Header=BB162_4 Depth=1
	ds_store_b64 v20, v[4:5]
	s_or_b32 exec_lo, exec_lo, s20
	s_delay_alu instid0(SALU_CYCLE_1)
	s_and_b32 vcc_lo, exec_lo, s28
	s_cbranch_vccnz .LBB162_9
.LBB162_13:                             ;   in Loop: Header=BB162_4 Depth=1
	s_mov_b32 s20, 0
.LBB162_14:                             ;   in Loop: Header=BB162_4 Depth=1
	s_delay_alu instid0(SALU_CYCLE_1) | instskip(SKIP_1) | instid1(SALU_CYCLE_1)
	s_and_not1_b32 s20, s20, exec_lo
	s_and_b32 s21, s1, exec_lo
	s_or_b32 s20, s20, s21
.LBB162_15:                             ;   in Loop: Header=BB162_4 Depth=1
	s_delay_alu instid0(SALU_CYCLE_1)
	s_and_saveexec_b32 s21, s20
; %bb.16:                               ;   in Loop: Header=BB162_4 Depth=1
	ds_store_b64 v20, v[0:1]
; %bb.17:                               ;   in Loop: Header=BB162_4 Depth=1
	s_or_b32 exec_lo, exec_lo, s21
	s_wait_loadcnt_dscnt 0x0
	s_barrier_signal -1
	s_barrier_wait -1
	s_and_saveexec_b32 s20, s27
	s_cbranch_execz .LBB162_2
; %bb.18:                               ;   in Loop: Header=BB162_4 Depth=1
	ds_load_2addr_b64 v[26:29], v18 offset1:32
	ds_load_b128 v[30:33], v19
	ds_load_b128 v[34:37], v19 offset:16
	v_add_nc_u64_e32 v[14:15], s[16:17], v[14:15]
	s_delay_alu instid0(VALU_DEP_1) | instskip(NEXT) | instid1(VALU_DEP_1)
	v_add_nc_u64_e32 v[14:15], s[14:15], v[14:15]
	v_lshl_add_u64 v[14:15], v[10:11], 3, v[14:15]
	s_wait_dscnt 0x1
	v_fma_f64 v[16:17], v[26:27], v[30:31], 0
	s_delay_alu instid0(VALU_DEP_2) | instskip(NEXT) | instid1(VALU_DEP_2)
	v_add_nc_u64_e32 v[14:15], v[14:15], v[2:3]
	v_fmac_f64_e32 v[16:17], v[28:29], v[32:33]
	ds_load_2addr_b64 v[26:29], v18 offset0:64 offset1:96
	s_wait_dscnt 0x0
	v_fmac_f64_e32 v[16:17], v[26:27], v[34:35]
	s_delay_alu instid0(VALU_DEP_1)
	v_fmac_f64_e32 v[16:17], v[28:29], v[36:37]
	ds_load_2addr_b64 v[26:29], v18 offset0:128 offset1:160
	ds_load_b128 v[30:33], v19 offset:32
	ds_load_b128 v[34:37], v19 offset:48
	s_wait_dscnt 0x1
	v_fmac_f64_e32 v[16:17], v[26:27], v[30:31]
	s_delay_alu instid0(VALU_DEP_1) | instskip(SKIP_3) | instid1(VALU_DEP_1)
	v_fmac_f64_e32 v[16:17], v[28:29], v[32:33]
	ds_load_2addr_b64 v[26:29], v18 offset0:192 offset1:224
	s_wait_dscnt 0x0
	v_fmac_f64_e32 v[16:17], v[26:27], v[34:35]
	v_fmac_f64_e32 v[16:17], v[28:29], v[36:37]
	ds_load_2addr_b64 v[26:29], v21 offset1:32
	ds_load_b128 v[30:33], v19 offset:64
	ds_load_b128 v[34:37], v19 offset:80
	s_wait_dscnt 0x1
	v_fmac_f64_e32 v[16:17], v[26:27], v[30:31]
	s_delay_alu instid0(VALU_DEP_1) | instskip(SKIP_3) | instid1(VALU_DEP_1)
	v_fmac_f64_e32 v[16:17], v[28:29], v[32:33]
	ds_load_2addr_b64 v[26:29], v21 offset0:64 offset1:96
	s_wait_dscnt 0x0
	v_fmac_f64_e32 v[16:17], v[26:27], v[34:35]
	v_fmac_f64_e32 v[16:17], v[28:29], v[36:37]
	ds_load_2addr_b64 v[26:29], v21 offset0:128 offset1:160
	ds_load_b128 v[30:33], v19 offset:96
	ds_load_b128 v[34:37], v19 offset:112
	s_wait_dscnt 0x1
	v_fmac_f64_e32 v[16:17], v[26:27], v[30:31]
	s_delay_alu instid0(VALU_DEP_1) | instskip(SKIP_3) | instid1(VALU_DEP_1)
	v_fmac_f64_e32 v[16:17], v[28:29], v[32:33]
	ds_load_2addr_b64 v[26:29], v21 offset0:192 offset1:224
	s_wait_dscnt 0x0
	v_fmac_f64_e32 v[16:17], v[26:27], v[34:35]
	v_fmac_f64_e32 v[16:17], v[28:29], v[36:37]
	ds_load_2addr_b64 v[26:29], v22 offset1:32
	ds_load_b128 v[30:33], v19 offset:128
	ds_load_b128 v[34:37], v19 offset:144
	s_wait_dscnt 0x1
	v_fmac_f64_e32 v[16:17], v[26:27], v[30:31]
	s_delay_alu instid0(VALU_DEP_1) | instskip(SKIP_3) | instid1(VALU_DEP_1)
	v_fmac_f64_e32 v[16:17], v[28:29], v[32:33]
	ds_load_2addr_b64 v[26:29], v22 offset0:64 offset1:96
	s_wait_dscnt 0x0
	v_fmac_f64_e32 v[16:17], v[26:27], v[34:35]
	;; [unrolled: 22-line block ×3, first 2 shown]
	v_fmac_f64_e32 v[16:17], v[28:29], v[36:37]
	ds_load_2addr_b64 v[26:29], v23 offset0:128 offset1:160
	ds_load_b128 v[30:33], v19 offset:224
	ds_load_b128 v[34:37], v19 offset:240
	s_wait_dscnt 0x1
	v_fmac_f64_e32 v[16:17], v[26:27], v[30:31]
	s_delay_alu instid0(VALU_DEP_1) | instskip(SKIP_3) | instid1(VALU_DEP_1)
	v_fmac_f64_e32 v[16:17], v[28:29], v[32:33]
	ds_load_2addr_b64 v[26:29], v23 offset0:192 offset1:224
	s_wait_dscnt 0x0
	v_fmac_f64_e32 v[16:17], v[26:27], v[34:35]
	v_fmac_f64_e32 v[16:17], v[28:29], v[36:37]
	s_delay_alu instid0(VALU_DEP_1)
	v_mul_f64_e32 v[12:13], v[12:13], v[16:17]
	flat_store_b64 v[14:15], v[12:13]
	s_branch .LBB162_2
.LBB162_19:
	s_endpgm
	.section	.rodata,"a",@progbits
	.p2align	6, 0x0
	.amdhsa_kernel _ZL23rocblas_trmm_rNx_kernelILi32EdPKdKS1_KPdEv13rocblas_fill_17rocblas_diagonal_iiT1_lPT2_llS9_llPT3_lli
		.amdhsa_group_segment_fixed_size 16384
		.amdhsa_private_segment_fixed_size 0
		.amdhsa_kernarg_size 108
		.amdhsa_user_sgpr_count 2
		.amdhsa_user_sgpr_dispatch_ptr 0
		.amdhsa_user_sgpr_queue_ptr 0
		.amdhsa_user_sgpr_kernarg_segment_ptr 1
		.amdhsa_user_sgpr_dispatch_id 0
		.amdhsa_user_sgpr_kernarg_preload_length 0
		.amdhsa_user_sgpr_kernarg_preload_offset 0
		.amdhsa_user_sgpr_private_segment_size 0
		.amdhsa_wavefront_size32 1
		.amdhsa_uses_dynamic_stack 0
		.amdhsa_enable_private_segment 0
		.amdhsa_system_sgpr_workgroup_id_x 1
		.amdhsa_system_sgpr_workgroup_id_y 0
		.amdhsa_system_sgpr_workgroup_id_z 1
		.amdhsa_system_sgpr_workgroup_info 0
		.amdhsa_system_vgpr_workitem_id 1
		.amdhsa_next_free_vgpr 38
		.amdhsa_next_free_sgpr 36
		.amdhsa_named_barrier_count 0
		.amdhsa_reserve_vcc 1
		.amdhsa_float_round_mode_32 0
		.amdhsa_float_round_mode_16_64 0
		.amdhsa_float_denorm_mode_32 3
		.amdhsa_float_denorm_mode_16_64 3
		.amdhsa_fp16_overflow 0
		.amdhsa_memory_ordered 1
		.amdhsa_forward_progress 1
		.amdhsa_inst_pref_size 11
		.amdhsa_round_robin_scheduling 0
		.amdhsa_exception_fp_ieee_invalid_op 0
		.amdhsa_exception_fp_denorm_src 0
		.amdhsa_exception_fp_ieee_div_zero 0
		.amdhsa_exception_fp_ieee_overflow 0
		.amdhsa_exception_fp_ieee_underflow 0
		.amdhsa_exception_fp_ieee_inexact 0
		.amdhsa_exception_int_div_zero 0
	.end_amdhsa_kernel
	.section	.text._ZL23rocblas_trmm_rNx_kernelILi32EdPKdKS1_KPdEv13rocblas_fill_17rocblas_diagonal_iiT1_lPT2_llS9_llPT3_lli,"axG",@progbits,_ZL23rocblas_trmm_rNx_kernelILi32EdPKdKS1_KPdEv13rocblas_fill_17rocblas_diagonal_iiT1_lPT2_llS9_llPT3_lli,comdat
.Lfunc_end162:
	.size	_ZL23rocblas_trmm_rNx_kernelILi32EdPKdKS1_KPdEv13rocblas_fill_17rocblas_diagonal_iiT1_lPT2_llS9_llPT3_lli, .Lfunc_end162-_ZL23rocblas_trmm_rNx_kernelILi32EdPKdKS1_KPdEv13rocblas_fill_17rocblas_diagonal_iiT1_lPT2_llS9_llPT3_lli
                                        ; -- End function
	.set _ZL23rocblas_trmm_rNx_kernelILi32EdPKdKS1_KPdEv13rocblas_fill_17rocblas_diagonal_iiT1_lPT2_llS9_llPT3_lli.num_vgpr, 38
	.set _ZL23rocblas_trmm_rNx_kernelILi32EdPKdKS1_KPdEv13rocblas_fill_17rocblas_diagonal_iiT1_lPT2_llS9_llPT3_lli.num_agpr, 0
	.set _ZL23rocblas_trmm_rNx_kernelILi32EdPKdKS1_KPdEv13rocblas_fill_17rocblas_diagonal_iiT1_lPT2_llS9_llPT3_lli.numbered_sgpr, 36
	.set _ZL23rocblas_trmm_rNx_kernelILi32EdPKdKS1_KPdEv13rocblas_fill_17rocblas_diagonal_iiT1_lPT2_llS9_llPT3_lli.num_named_barrier, 0
	.set _ZL23rocblas_trmm_rNx_kernelILi32EdPKdKS1_KPdEv13rocblas_fill_17rocblas_diagonal_iiT1_lPT2_llS9_llPT3_lli.private_seg_size, 0
	.set _ZL23rocblas_trmm_rNx_kernelILi32EdPKdKS1_KPdEv13rocblas_fill_17rocblas_diagonal_iiT1_lPT2_llS9_llPT3_lli.uses_vcc, 1
	.set _ZL23rocblas_trmm_rNx_kernelILi32EdPKdKS1_KPdEv13rocblas_fill_17rocblas_diagonal_iiT1_lPT2_llS9_llPT3_lli.uses_flat_scratch, 0
	.set _ZL23rocblas_trmm_rNx_kernelILi32EdPKdKS1_KPdEv13rocblas_fill_17rocblas_diagonal_iiT1_lPT2_llS9_llPT3_lli.has_dyn_sized_stack, 0
	.set _ZL23rocblas_trmm_rNx_kernelILi32EdPKdKS1_KPdEv13rocblas_fill_17rocblas_diagonal_iiT1_lPT2_llS9_llPT3_lli.has_recursion, 0
	.set _ZL23rocblas_trmm_rNx_kernelILi32EdPKdKS1_KPdEv13rocblas_fill_17rocblas_diagonal_iiT1_lPT2_llS9_llPT3_lli.has_indirect_call, 0
	.section	.AMDGPU.csdata,"",@progbits
; Kernel info:
; codeLenInByte = 1376
; TotalNumSgprs: 38
; NumVgprs: 38
; ScratchSize: 0
; MemoryBound: 0
; FloatMode: 240
; IeeeMode: 1
; LDSByteSize: 16384 bytes/workgroup (compile time only)
; SGPRBlocks: 0
; VGPRBlocks: 2
; NumSGPRsForWavesPerEU: 38
; NumVGPRsForWavesPerEU: 38
; NamedBarCnt: 0
; Occupancy: 16
; WaveLimiterHint : 1
; COMPUTE_PGM_RSRC2:SCRATCH_EN: 0
; COMPUTE_PGM_RSRC2:USER_SGPR: 2
; COMPUTE_PGM_RSRC2:TRAP_HANDLER: 0
; COMPUTE_PGM_RSRC2:TGID_X_EN: 1
; COMPUTE_PGM_RSRC2:TGID_Y_EN: 0
; COMPUTE_PGM_RSRC2:TGID_Z_EN: 1
; COMPUTE_PGM_RSRC2:TIDIG_COMP_CNT: 1
	.section	.text._ZL23rocblas_trmm_rNx_kernelILi32EddKPKdKPdEv13rocblas_fill_17rocblas_diagonal_iiT1_lPT2_llS9_llPT3_lli,"axG",@progbits,_ZL23rocblas_trmm_rNx_kernelILi32EddKPKdKPdEv13rocblas_fill_17rocblas_diagonal_iiT1_lPT2_llS9_llPT3_lli,comdat
	.globl	_ZL23rocblas_trmm_rNx_kernelILi32EddKPKdKPdEv13rocblas_fill_17rocblas_diagonal_iiT1_lPT2_llS9_llPT3_lli ; -- Begin function _ZL23rocblas_trmm_rNx_kernelILi32EddKPKdKPdEv13rocblas_fill_17rocblas_diagonal_iiT1_lPT2_llS9_llPT3_lli
	.p2align	8
	.type	_ZL23rocblas_trmm_rNx_kernelILi32EddKPKdKPdEv13rocblas_fill_17rocblas_diagonal_iiT1_lPT2_llS9_llPT3_lli,@function
_ZL23rocblas_trmm_rNx_kernelILi32EddKPKdKPdEv13rocblas_fill_17rocblas_diagonal_iiT1_lPT2_llS9_llPT3_lli: ; @_ZL23rocblas_trmm_rNx_kernelILi32EddKPKdKPdEv13rocblas_fill_17rocblas_diagonal_iiT1_lPT2_llS9_llPT3_lli
; %bb.0:
	s_load_b32 s30, s[0:1], 0x68
	s_bfe_u32 s2, ttmp6, 0x40014
	s_lshr_b32 s3, ttmp7, 16
	s_add_co_i32 s2, s2, 1
	s_bfe_u32 s5, ttmp6, 0x40008
	s_mul_i32 s4, s3, s2
	s_getreg_b32 s2, hwreg(HW_REG_IB_STS2, 6, 4)
	s_add_co_i32 s5, s5, s4
	s_cmp_eq_u32 s2, 0
	s_mov_b32 s7, 0
	s_cselect_b32 s6, s3, s5
	s_wait_kmcnt 0x0
	s_cmp_ge_u32 s6, s30
	s_cbranch_scc1 .LBB163_19
; %bb.1:
	s_clause 0x3
	s_load_b128 s[24:27], s[0:1], 0x0
	s_load_b512 s[8:23], s[0:1], 0x20
	s_load_b64 s[28:29], s[0:1], 0x10
	s_load_b64 s[34:35], s[0:1], 0x60
	s_wait_xcnt 0x0
	s_bfe_u32 s0, ttmp6, 0x4000c
	v_bfe_u32 v2, v0, 10, 10
	v_mov_b32_e32 v3, 0
	s_add_co_i32 s0, s0, 1
	s_and_b32 s3, ttmp6, 15
	s_mul_i32 s4, ttmp9, s0
	v_lshlrev_b32_e32 v13, 5, v2
	s_add_co_i32 s3, s3, s4
	v_and_b32_e32 v12, 0x3ff, v0
	v_mov_b64_e32 v[0:1], 0
	v_mov_b64_e32 v[4:5], 1.0
	v_lshlrev_b32_e32 v17, 8, v2
	s_delay_alu instid0(VALU_DEP_4)
	v_cmp_eq_u32_e32 vcc_lo, v2, v12
	v_lshl_add_u32 v16, v12, 3, 0x2000
	v_add_lshl_u32 v18, v13, v12, 3
	s_wait_kmcnt 0x0
	s_add_co_i32 s5, s26, -1
	v_mul_u64_e32 v[6:7], s[10:11], v[2:3]
	s_ashr_i32 s4, s5, 31
	v_mul_u64_e32 v[8:9], s[16:17], v[2:3]
	v_mul_u64_e32 v[10:11], s[22:23], v[2:3]
	v_cmp_neq_f64_e64 s22, s[28:29], 0
	s_lshr_b32 s4, s4, 27
	v_cmp_lt_u32_e64 s0, v12, v2
	s_add_co_i32 s4, s5, s4
	v_cmp_gt_u32_e64 s1, v12, v2
	s_and_b32 s5, s4, 0xffffffe0
	s_ashr_i32 s4, s4, 5
	s_sub_co_i32 s5, s26, s5
	s_cmp_eq_u32 s2, 0
	v_cmp_gt_i32_e64 s2, s27, v2
	s_cselect_b32 s10, ttmp9, s3
	v_cmp_gt_i32_e64 s3, s27, v12
	s_cmp_ge_i32 s10, s4
	v_add_nc_u32_e32 v19, 0x800, v16
	s_cselect_b32 s4, s5, 32
	s_lshl_b32 s10, s10, 5
	v_cmp_gt_i32_e64 s4, s4, v12
	s_and_b32 s16, s2, s3
	s_ashr_i32 s11, s10, 31
	v_add_nc_u32_e32 v20, 0x2000, v18
	v_lshlrev_b32_e32 v2, 3, v12
	s_and_b32 s17, s2, s4
	s_cmp_eq_u32 s25, 0x84
	v_add_nc_u32_e32 v21, 0x1000, v16
	s_cselect_b32 s2, -1, 0
	v_add_nc_u32_e32 v22, 0x1800, v16
	s_and_b32 s23, vcc_lo, s2
	s_cmp_lg_u32 s24, 0x79
	s_cselect_b32 s24, -1, 0
	s_lshl_b64 s[2:3], s[12:13], 3
	s_lshl_b64 s[4:5], s[18:19], 3
	;; [unrolled: 1-line block ×4, first 2 shown]
	s_branch .LBB163_4
.LBB163_2:                              ;   in Loop: Header=BB163_4 Depth=1
	s_wait_xcnt 0x0
	s_or_b32 exec_lo, exec_lo, s18
.LBB163_3:                              ;   in Loop: Header=BB163_4 Depth=1
	s_add_co_i32 s6, s6, 0x10000
	s_delay_alu instid0(SALU_CYCLE_1)
	s_cmp_lt_u32 s6, s30
	s_cbranch_scc0 .LBB163_19
.LBB163_4:                              ; =>This Inner Loop Header: Depth=1
	s_and_not1_b32 vcc_lo, exec_lo, s22
	s_cbranch_vccnz .LBB163_3
; %bb.5:                                ;   in Loop: Header=BB163_4 Depth=1
	v_mov_b32_e32 v23, s6
	s_clause 0x1
	global_load_b64 v[14:15], v23, s[14:15] scale_offset
	global_load_b64 v[12:13], v23, s[20:21] scale_offset
	ds_store_b64 v18, v[0:1]
	ds_store_b64 v20, v[0:1]
	s_wait_xcnt 0x0
	s_and_saveexec_b32 s18, s16
	s_cbranch_execnz .LBB163_10
; %bb.6:                                ;   in Loop: Header=BB163_4 Depth=1
	s_or_b32 exec_lo, exec_lo, s18
	s_and_saveexec_b32 s18, s17
	s_cbranch_execnz .LBB163_11
.LBB163_7:                              ;   in Loop: Header=BB163_4 Depth=1
	s_or_b32 exec_lo, exec_lo, s18
	s_and_saveexec_b32 s18, s23
	s_cbranch_execnz .LBB163_12
.LBB163_8:                              ;   in Loop: Header=BB163_4 Depth=1
	s_or_b32 exec_lo, exec_lo, s18
	s_delay_alu instid0(SALU_CYCLE_1)
	s_and_b32 vcc_lo, exec_lo, s24
	s_cbranch_vccz .LBB163_13
.LBB163_9:                              ;   in Loop: Header=BB163_4 Depth=1
	s_and_b32 s18, s0, exec_lo
	s_cbranch_execz .LBB163_14
	s_branch .LBB163_15
.LBB163_10:                             ;   in Loop: Header=BB163_4 Depth=1
	s_lshl_b64 s[26:27], s[6:7], 3
	s_delay_alu instid0(SALU_CYCLE_1) | instskip(SKIP_3) | instid1(VALU_DEP_1)
	s_add_nc_u64 s[26:27], s[8:9], s[26:27]
	global_load_b64 v[24:25], v3, s[26:27]
	s_wait_loadcnt 0x0
	v_add_nc_u64_e32 v[24:25], s[2:3], v[24:25]
	v_lshl_add_u64 v[24:25], v[6:7], 3, v[24:25]
	s_delay_alu instid0(VALU_DEP_1)
	v_add_nc_u64_e32 v[24:25], v[24:25], v[2:3]
	flat_load_b64 v[24:25], v[24:25]
	s_wait_loadcnt_dscnt 0x0
	ds_store_b64 v18, v[24:25]
	s_wait_xcnt 0x0
	s_or_b32 exec_lo, exec_lo, s18
	s_and_saveexec_b32 s18, s17
	s_cbranch_execz .LBB163_7
.LBB163_11:                             ;   in Loop: Header=BB163_4 Depth=1
	s_wait_loadcnt 0x1
	v_add_nc_u64_e32 v[14:15], s[4:5], v[14:15]
	s_delay_alu instid0(VALU_DEP_1) | instskip(NEXT) | instid1(VALU_DEP_1)
	v_add_nc_u64_e32 v[14:15], s[10:11], v[14:15]
	v_lshl_add_u64 v[14:15], v[8:9], 3, v[14:15]
	s_delay_alu instid0(VALU_DEP_1)
	v_add_nc_u64_e32 v[14:15], v[14:15], v[2:3]
	flat_load_b64 v[14:15], v[14:15]
	s_wait_loadcnt_dscnt 0x0
	ds_store_b64 v20, v[14:15]
	s_wait_xcnt 0x0
	s_or_b32 exec_lo, exec_lo, s18
	s_and_saveexec_b32 s18, s23
	s_cbranch_execz .LBB163_8
.LBB163_12:                             ;   in Loop: Header=BB163_4 Depth=1
	ds_store_b64 v18, v[4:5]
	s_or_b32 exec_lo, exec_lo, s18
	s_delay_alu instid0(SALU_CYCLE_1)
	s_and_b32 vcc_lo, exec_lo, s24
	s_cbranch_vccnz .LBB163_9
.LBB163_13:                             ;   in Loop: Header=BB163_4 Depth=1
	s_mov_b32 s18, 0
.LBB163_14:                             ;   in Loop: Header=BB163_4 Depth=1
	s_delay_alu instid0(SALU_CYCLE_1) | instskip(SKIP_1) | instid1(SALU_CYCLE_1)
	s_and_not1_b32 s18, s18, exec_lo
	s_and_b32 s19, s1, exec_lo
	s_or_b32 s18, s18, s19
.LBB163_15:                             ;   in Loop: Header=BB163_4 Depth=1
	s_delay_alu instid0(SALU_CYCLE_1)
	s_and_saveexec_b32 s19, s18
; %bb.16:                               ;   in Loop: Header=BB163_4 Depth=1
	ds_store_b64 v18, v[0:1]
; %bb.17:                               ;   in Loop: Header=BB163_4 Depth=1
	s_or_b32 exec_lo, exec_lo, s19
	s_wait_loadcnt_dscnt 0x0
	s_barrier_signal -1
	s_barrier_wait -1
	s_and_saveexec_b32 s18, s17
	s_cbranch_execz .LBB163_2
; %bb.18:                               ;   in Loop: Header=BB163_4 Depth=1
	ds_load_2addr_b64 v[24:27], v16 offset1:32
	ds_load_b128 v[28:31], v17
	ds_load_b128 v[32:35], v17 offset:16
	v_add_nc_u64_e32 v[12:13], s[12:13], v[12:13]
	s_delay_alu instid0(VALU_DEP_1) | instskip(NEXT) | instid1(VALU_DEP_1)
	v_add_nc_u64_e32 v[12:13], s[10:11], v[12:13]
	v_lshl_add_u64 v[12:13], v[10:11], 3, v[12:13]
	s_wait_dscnt 0x1
	v_fma_f64 v[14:15], v[24:25], v[28:29], 0
	s_delay_alu instid0(VALU_DEP_2) | instskip(NEXT) | instid1(VALU_DEP_2)
	v_add_nc_u64_e32 v[12:13], v[12:13], v[2:3]
	v_fmac_f64_e32 v[14:15], v[26:27], v[30:31]
	ds_load_2addr_b64 v[24:27], v16 offset0:64 offset1:96
	s_wait_dscnt 0x0
	v_fmac_f64_e32 v[14:15], v[24:25], v[32:33]
	s_delay_alu instid0(VALU_DEP_1)
	v_fmac_f64_e32 v[14:15], v[26:27], v[34:35]
	ds_load_2addr_b64 v[24:27], v16 offset0:128 offset1:160
	ds_load_b128 v[28:31], v17 offset:32
	ds_load_b128 v[32:35], v17 offset:48
	s_wait_dscnt 0x1
	v_fmac_f64_e32 v[14:15], v[24:25], v[28:29]
	s_delay_alu instid0(VALU_DEP_1) | instskip(SKIP_3) | instid1(VALU_DEP_1)
	v_fmac_f64_e32 v[14:15], v[26:27], v[30:31]
	ds_load_2addr_b64 v[24:27], v16 offset0:192 offset1:224
	s_wait_dscnt 0x0
	v_fmac_f64_e32 v[14:15], v[24:25], v[32:33]
	v_fmac_f64_e32 v[14:15], v[26:27], v[34:35]
	ds_load_2addr_b64 v[24:27], v19 offset1:32
	ds_load_b128 v[28:31], v17 offset:64
	ds_load_b128 v[32:35], v17 offset:80
	s_wait_dscnt 0x1
	v_fmac_f64_e32 v[14:15], v[24:25], v[28:29]
	s_delay_alu instid0(VALU_DEP_1) | instskip(SKIP_3) | instid1(VALU_DEP_1)
	v_fmac_f64_e32 v[14:15], v[26:27], v[30:31]
	ds_load_2addr_b64 v[24:27], v19 offset0:64 offset1:96
	s_wait_dscnt 0x0
	v_fmac_f64_e32 v[14:15], v[24:25], v[32:33]
	v_fmac_f64_e32 v[14:15], v[26:27], v[34:35]
	ds_load_2addr_b64 v[24:27], v19 offset0:128 offset1:160
	ds_load_b128 v[28:31], v17 offset:96
	ds_load_b128 v[32:35], v17 offset:112
	s_wait_dscnt 0x1
	v_fmac_f64_e32 v[14:15], v[24:25], v[28:29]
	s_delay_alu instid0(VALU_DEP_1) | instskip(SKIP_3) | instid1(VALU_DEP_1)
	v_fmac_f64_e32 v[14:15], v[26:27], v[30:31]
	ds_load_2addr_b64 v[24:27], v19 offset0:192 offset1:224
	s_wait_dscnt 0x0
	v_fmac_f64_e32 v[14:15], v[24:25], v[32:33]
	v_fmac_f64_e32 v[14:15], v[26:27], v[34:35]
	ds_load_2addr_b64 v[24:27], v21 offset1:32
	ds_load_b128 v[28:31], v17 offset:128
	ds_load_b128 v[32:35], v17 offset:144
	s_wait_dscnt 0x1
	v_fmac_f64_e32 v[14:15], v[24:25], v[28:29]
	s_delay_alu instid0(VALU_DEP_1) | instskip(SKIP_3) | instid1(VALU_DEP_1)
	v_fmac_f64_e32 v[14:15], v[26:27], v[30:31]
	ds_load_2addr_b64 v[24:27], v21 offset0:64 offset1:96
	s_wait_dscnt 0x0
	v_fmac_f64_e32 v[14:15], v[24:25], v[32:33]
	;; [unrolled: 22-line block ×3, first 2 shown]
	v_fmac_f64_e32 v[14:15], v[26:27], v[34:35]
	ds_load_2addr_b64 v[24:27], v22 offset0:128 offset1:160
	ds_load_b128 v[28:31], v17 offset:224
	ds_load_b128 v[32:35], v17 offset:240
	s_wait_dscnt 0x1
	v_fmac_f64_e32 v[14:15], v[24:25], v[28:29]
	s_delay_alu instid0(VALU_DEP_1) | instskip(SKIP_3) | instid1(VALU_DEP_1)
	v_fmac_f64_e32 v[14:15], v[26:27], v[30:31]
	ds_load_2addr_b64 v[24:27], v22 offset0:192 offset1:224
	s_wait_dscnt 0x0
	v_fmac_f64_e32 v[14:15], v[24:25], v[32:33]
	v_fmac_f64_e32 v[14:15], v[26:27], v[34:35]
	s_delay_alu instid0(VALU_DEP_1)
	v_mul_f64_e32 v[14:15], s[28:29], v[14:15]
	flat_store_b64 v[12:13], v[14:15]
	s_branch .LBB163_2
.LBB163_19:
	s_endpgm
	.section	.rodata,"a",@progbits
	.p2align	6, 0x0
	.amdhsa_kernel _ZL23rocblas_trmm_rNx_kernelILi32EddKPKdKPdEv13rocblas_fill_17rocblas_diagonal_iiT1_lPT2_llS9_llPT3_lli
		.amdhsa_group_segment_fixed_size 16384
		.amdhsa_private_segment_fixed_size 0
		.amdhsa_kernarg_size 108
		.amdhsa_user_sgpr_count 2
		.amdhsa_user_sgpr_dispatch_ptr 0
		.amdhsa_user_sgpr_queue_ptr 0
		.amdhsa_user_sgpr_kernarg_segment_ptr 1
		.amdhsa_user_sgpr_dispatch_id 0
		.amdhsa_user_sgpr_kernarg_preload_length 0
		.amdhsa_user_sgpr_kernarg_preload_offset 0
		.amdhsa_user_sgpr_private_segment_size 0
		.amdhsa_wavefront_size32 1
		.amdhsa_uses_dynamic_stack 0
		.amdhsa_enable_private_segment 0
		.amdhsa_system_sgpr_workgroup_id_x 1
		.amdhsa_system_sgpr_workgroup_id_y 0
		.amdhsa_system_sgpr_workgroup_id_z 1
		.amdhsa_system_sgpr_workgroup_info 0
		.amdhsa_system_vgpr_workitem_id 1
		.amdhsa_next_free_vgpr 36
		.amdhsa_next_free_sgpr 36
		.amdhsa_named_barrier_count 0
		.amdhsa_reserve_vcc 1
		.amdhsa_float_round_mode_32 0
		.amdhsa_float_round_mode_16_64 0
		.amdhsa_float_denorm_mode_32 3
		.amdhsa_float_denorm_mode_16_64 3
		.amdhsa_fp16_overflow 0
		.amdhsa_memory_ordered 1
		.amdhsa_forward_progress 1
		.amdhsa_inst_pref_size 11
		.amdhsa_round_robin_scheduling 0
		.amdhsa_exception_fp_ieee_invalid_op 0
		.amdhsa_exception_fp_denorm_src 0
		.amdhsa_exception_fp_ieee_div_zero 0
		.amdhsa_exception_fp_ieee_overflow 0
		.amdhsa_exception_fp_ieee_underflow 0
		.amdhsa_exception_fp_ieee_inexact 0
		.amdhsa_exception_int_div_zero 0
	.end_amdhsa_kernel
	.section	.text._ZL23rocblas_trmm_rNx_kernelILi32EddKPKdKPdEv13rocblas_fill_17rocblas_diagonal_iiT1_lPT2_llS9_llPT3_lli,"axG",@progbits,_ZL23rocblas_trmm_rNx_kernelILi32EddKPKdKPdEv13rocblas_fill_17rocblas_diagonal_iiT1_lPT2_llS9_llPT3_lli,comdat
.Lfunc_end163:
	.size	_ZL23rocblas_trmm_rNx_kernelILi32EddKPKdKPdEv13rocblas_fill_17rocblas_diagonal_iiT1_lPT2_llS9_llPT3_lli, .Lfunc_end163-_ZL23rocblas_trmm_rNx_kernelILi32EddKPKdKPdEv13rocblas_fill_17rocblas_diagonal_iiT1_lPT2_llS9_llPT3_lli
                                        ; -- End function
	.set _ZL23rocblas_trmm_rNx_kernelILi32EddKPKdKPdEv13rocblas_fill_17rocblas_diagonal_iiT1_lPT2_llS9_llPT3_lli.num_vgpr, 36
	.set _ZL23rocblas_trmm_rNx_kernelILi32EddKPKdKPdEv13rocblas_fill_17rocblas_diagonal_iiT1_lPT2_llS9_llPT3_lli.num_agpr, 0
	.set _ZL23rocblas_trmm_rNx_kernelILi32EddKPKdKPdEv13rocblas_fill_17rocblas_diagonal_iiT1_lPT2_llS9_llPT3_lli.numbered_sgpr, 36
	.set _ZL23rocblas_trmm_rNx_kernelILi32EddKPKdKPdEv13rocblas_fill_17rocblas_diagonal_iiT1_lPT2_llS9_llPT3_lli.num_named_barrier, 0
	.set _ZL23rocblas_trmm_rNx_kernelILi32EddKPKdKPdEv13rocblas_fill_17rocblas_diagonal_iiT1_lPT2_llS9_llPT3_lli.private_seg_size, 0
	.set _ZL23rocblas_trmm_rNx_kernelILi32EddKPKdKPdEv13rocblas_fill_17rocblas_diagonal_iiT1_lPT2_llS9_llPT3_lli.uses_vcc, 1
	.set _ZL23rocblas_trmm_rNx_kernelILi32EddKPKdKPdEv13rocblas_fill_17rocblas_diagonal_iiT1_lPT2_llS9_llPT3_lli.uses_flat_scratch, 0
	.set _ZL23rocblas_trmm_rNx_kernelILi32EddKPKdKPdEv13rocblas_fill_17rocblas_diagonal_iiT1_lPT2_llS9_llPT3_lli.has_dyn_sized_stack, 0
	.set _ZL23rocblas_trmm_rNx_kernelILi32EddKPKdKPdEv13rocblas_fill_17rocblas_diagonal_iiT1_lPT2_llS9_llPT3_lli.has_recursion, 0
	.set _ZL23rocblas_trmm_rNx_kernelILi32EddKPKdKPdEv13rocblas_fill_17rocblas_diagonal_iiT1_lPT2_llS9_llPT3_lli.has_indirect_call, 0
	.section	.AMDGPU.csdata,"",@progbits
; Kernel info:
; codeLenInByte = 1340
; TotalNumSgprs: 38
; NumVgprs: 36
; ScratchSize: 0
; MemoryBound: 0
; FloatMode: 240
; IeeeMode: 1
; LDSByteSize: 16384 bytes/workgroup (compile time only)
; SGPRBlocks: 0
; VGPRBlocks: 2
; NumSGPRsForWavesPerEU: 38
; NumVGPRsForWavesPerEU: 36
; NamedBarCnt: 0
; Occupancy: 16
; WaveLimiterHint : 1
; COMPUTE_PGM_RSRC2:SCRATCH_EN: 0
; COMPUTE_PGM_RSRC2:USER_SGPR: 2
; COMPUTE_PGM_RSRC2:TRAP_HANDLER: 0
; COMPUTE_PGM_RSRC2:TGID_X_EN: 1
; COMPUTE_PGM_RSRC2:TGID_Y_EN: 0
; COMPUTE_PGM_RSRC2:TGID_Z_EN: 1
; COMPUTE_PGM_RSRC2:TIDIG_COMP_CNT: 1
	.section	.text._ZL23rocblas_trmm_rTx_kernelILi32ELb0EdPKdKS1_KPdEv13rocblas_fill_17rocblas_diagonal_iiT2_lPT3_llS9_llPT4_lli,"axG",@progbits,_ZL23rocblas_trmm_rTx_kernelILi32ELb0EdPKdKS1_KPdEv13rocblas_fill_17rocblas_diagonal_iiT2_lPT3_llS9_llPT4_lli,comdat
	.globl	_ZL23rocblas_trmm_rTx_kernelILi32ELb0EdPKdKS1_KPdEv13rocblas_fill_17rocblas_diagonal_iiT2_lPT3_llS9_llPT4_lli ; -- Begin function _ZL23rocblas_trmm_rTx_kernelILi32ELb0EdPKdKS1_KPdEv13rocblas_fill_17rocblas_diagonal_iiT2_lPT3_llS9_llPT4_lli
	.p2align	8
	.type	_ZL23rocblas_trmm_rTx_kernelILi32ELb0EdPKdKS1_KPdEv13rocblas_fill_17rocblas_diagonal_iiT2_lPT3_llS9_llPT4_lli,@function
_ZL23rocblas_trmm_rTx_kernelILi32ELb0EdPKdKS1_KPdEv13rocblas_fill_17rocblas_diagonal_iiT2_lPT3_llS9_llPT4_lli: ; @_ZL23rocblas_trmm_rTx_kernelILi32ELb0EdPKdKS1_KPdEv13rocblas_fill_17rocblas_diagonal_iiT2_lPT3_llS9_llPT4_lli
; %bb.0:
	s_load_b32 s33, s[0:1], 0x68
	s_bfe_u32 s2, ttmp6, 0x40014
	s_lshr_b32 s3, ttmp7, 16
	s_add_co_i32 s2, s2, 1
	s_bfe_u32 s5, ttmp6, 0x40008
	s_mul_i32 s4, s3, s2
	s_getreg_b32 s2, hwreg(HW_REG_IB_STS2, 6, 4)
	s_add_co_i32 s5, s5, s4
	s_cmp_eq_u32 s2, 0
	s_mov_b32 s7, 0
	s_cselect_b32 s6, s3, s5
	s_wait_kmcnt 0x0
	s_cmp_ge_u32 s6, s33
	s_cbranch_scc1 .LBB164_19
; %bb.1:
	s_clause 0x3
	s_load_b128 s[28:31], s[0:1], 0x0
	s_load_b512 s[8:23], s[0:1], 0x10
	s_load_b64 s[34:35], s[0:1], 0x60
	s_load_b128 s[24:27], s[0:1], 0x50
	s_wait_xcnt 0x0
	s_bfe_u32 s0, ttmp6, 0x4000c
	v_bfe_u32 v2, v0, 10, 10
	v_mov_b32_e32 v3, 0
	s_add_co_i32 s0, s0, 1
	s_and_b32 s3, ttmp6, 15
	s_mul_i32 s4, ttmp9, s0
	v_lshlrev_b32_e32 v13, 5, v2
	s_add_co_i32 s3, s3, s4
	v_and_b32_e32 v12, 0x3ff, v0
	v_lshlrev_b32_e32 v19, 3, v2
	v_mov_b64_e32 v[0:1], 0
	v_mov_b64_e32 v[4:5], 1.0
	s_delay_alu instid0(VALU_DEP_4)
	v_cmp_eq_u32_e32 vcc_lo, v2, v12
	v_lshl_add_u32 v18, v12, 3, 0x2000
	v_add_lshl_u32 v20, v13, v12, 3
	s_wait_kmcnt 0x0
	s_add_co_i32 s5, s30, -1
	v_mul_u64_e32 v[6:7], s[14:15], v[2:3]
	s_ashr_i32 s4, s5, 31
	v_mul_u64_e32 v[8:9], s[20:21], v[2:3]
	v_mul_u64_e32 v[10:11], s[26:27], v[2:3]
	s_lshr_b32 s4, s4, 27
	v_cmp_lt_u32_e64 s0, v12, v2
	s_add_co_i32 s4, s5, s4
	v_cmp_gt_u32_e64 s1, v12, v2
	s_and_b32 s5, s4, 0xffffffe0
	s_ashr_i32 s4, s4, 5
	s_sub_co_i32 s5, s30, s5
	s_cmp_eq_u32 s2, 0
	v_cmp_gt_i32_e64 s2, s31, v2
	s_cselect_b32 s14, ttmp9, s3
	v_cmp_gt_i32_e64 s3, s31, v12
	s_cmp_ge_i32 s14, s4
	v_add_nc_u32_e32 v21, 0x800, v18
	s_cselect_b32 s4, s5, 32
	s_lshl_b32 s14, s14, 5
	v_cmp_gt_i32_e64 s4, s4, v12
	s_and_b32 s26, s2, s3
	s_ashr_i32 s15, s14, 31
	v_add_nc_u32_e32 v23, 0x1000, v18
	v_add_nc_u32_e32 v24, 0x2000, v20
	s_and_b32 s27, s2, s4
	s_cmp_eq_u32 s29, 0x84
	v_lshlrev_b32_e32 v2, 3, v12
	s_cselect_b32 s2, -1, 0
	v_add_nc_u32_e32 v22, 0x800, v19
	s_and_b32 s29, vcc_lo, s2
	v_add_nc_u32_e32 v25, 0x1000, v19
	v_add_nc_u32_e32 v26, 0x1800, v18
	;; [unrolled: 1-line block ×3, first 2 shown]
	s_cmp_lg_u32 s28, 0x79
	s_cselect_b32 s28, -1, 0
	s_lshl_b64 s[2:3], s[16:17], 3
	s_lshl_b64 s[4:5], s[22:23], 3
	;; [unrolled: 1-line block ×4, first 2 shown]
	s_branch .LBB164_4
.LBB164_2:                              ;   in Loop: Header=BB164_4 Depth=1
	s_wait_xcnt 0x0
	s_or_b32 exec_lo, exec_lo, s20
.LBB164_3:                              ;   in Loop: Header=BB164_4 Depth=1
	s_add_co_i32 s6, s6, 0x10000
	s_delay_alu instid0(SALU_CYCLE_1)
	s_cmp_lt_u32 s6, s33
	s_cbranch_scc0 .LBB164_19
.LBB164_4:                              ; =>This Inner Loop Header: Depth=1
	s_wait_xcnt 0x0
	s_mul_u64 s[20:21], s[10:11], s[6:7]
	s_delay_alu instid0(SALU_CYCLE_1) | instskip(NEXT) | instid1(SALU_CYCLE_1)
	s_lshl_b64 s[20:21], s[20:21], 3
	s_add_nc_u64 s[20:21], s[8:9], s[20:21]
	global_load_b64 v[12:13], v3, s[20:21]
	s_wait_loadcnt 0x0
	v_cmp_eq_f64_e32 vcc_lo, 0, v[12:13]
	s_cbranch_vccnz .LBB164_3
; %bb.5:                                ;   in Loop: Header=BB164_4 Depth=1
	s_wait_xcnt 0x0
	s_lshl_b64 s[20:21], s[6:7], 3
	s_delay_alu instid0(SALU_CYCLE_1)
	s_add_nc_u64 s[22:23], s[18:19], s[20:21]
	s_add_nc_u64 s[30:31], s[24:25], s[20:21]
	s_clause 0x1
	global_load_b64 v[16:17], v3, s[22:23]
	global_load_b64 v[14:15], v3, s[30:31]
	ds_store_b64 v20, v[0:1]
	ds_store_b64 v24, v[0:1]
	s_wait_xcnt 0x0
	s_and_saveexec_b32 s22, s26
	s_cbranch_execnz .LBB164_10
; %bb.6:                                ;   in Loop: Header=BB164_4 Depth=1
	s_or_b32 exec_lo, exec_lo, s22
	s_and_saveexec_b32 s20, s27
	s_cbranch_execnz .LBB164_11
.LBB164_7:                              ;   in Loop: Header=BB164_4 Depth=1
	s_or_b32 exec_lo, exec_lo, s20
	s_and_saveexec_b32 s20, s29
	s_cbranch_execnz .LBB164_12
.LBB164_8:                              ;   in Loop: Header=BB164_4 Depth=1
	s_or_b32 exec_lo, exec_lo, s20
	s_delay_alu instid0(SALU_CYCLE_1)
	s_and_b32 vcc_lo, exec_lo, s28
	s_cbranch_vccz .LBB164_13
.LBB164_9:                              ;   in Loop: Header=BB164_4 Depth=1
	s_and_b32 s20, s0, exec_lo
	s_cbranch_execz .LBB164_14
	s_branch .LBB164_15
.LBB164_10:                             ;   in Loop: Header=BB164_4 Depth=1
	s_add_nc_u64 s[20:21], s[12:13], s[20:21]
	global_load_b64 v[28:29], v3, s[20:21]
	s_wait_loadcnt 0x0
	v_add_nc_u64_e32 v[28:29], s[2:3], v[28:29]
	s_delay_alu instid0(VALU_DEP_1) | instskip(NEXT) | instid1(VALU_DEP_1)
	v_lshl_add_u64 v[28:29], v[6:7], 3, v[28:29]
	v_add_nc_u64_e32 v[28:29], v[28:29], v[2:3]
	flat_load_b64 v[28:29], v[28:29]
	s_wait_loadcnt_dscnt 0x0
	ds_store_b64 v20, v[28:29]
	s_wait_xcnt 0x0
	s_or_b32 exec_lo, exec_lo, s22
	s_and_saveexec_b32 s20, s27
	s_cbranch_execz .LBB164_7
.LBB164_11:                             ;   in Loop: Header=BB164_4 Depth=1
	s_wait_loadcnt 0x1
	v_add_nc_u64_e32 v[16:17], s[4:5], v[16:17]
	s_delay_alu instid0(VALU_DEP_1) | instskip(NEXT) | instid1(VALU_DEP_1)
	v_add_nc_u64_e32 v[16:17], s[14:15], v[16:17]
	v_lshl_add_u64 v[16:17], v[8:9], 3, v[16:17]
	s_delay_alu instid0(VALU_DEP_1)
	v_add_nc_u64_e32 v[16:17], v[16:17], v[2:3]
	flat_load_b64 v[16:17], v[16:17]
	s_wait_loadcnt_dscnt 0x0
	ds_store_b64 v24, v[16:17]
	s_wait_xcnt 0x0
	s_or_b32 exec_lo, exec_lo, s20
	s_and_saveexec_b32 s20, s29
	s_cbranch_execz .LBB164_8
.LBB164_12:                             ;   in Loop: Header=BB164_4 Depth=1
	ds_store_b64 v20, v[4:5]
	s_or_b32 exec_lo, exec_lo, s20
	s_delay_alu instid0(SALU_CYCLE_1)
	s_and_b32 vcc_lo, exec_lo, s28
	s_cbranch_vccnz .LBB164_9
.LBB164_13:                             ;   in Loop: Header=BB164_4 Depth=1
	s_mov_b32 s20, 0
.LBB164_14:                             ;   in Loop: Header=BB164_4 Depth=1
	s_delay_alu instid0(SALU_CYCLE_1) | instskip(SKIP_1) | instid1(SALU_CYCLE_1)
	s_and_not1_b32 s20, s20, exec_lo
	s_and_b32 s21, s1, exec_lo
	s_or_b32 s20, s20, s21
.LBB164_15:                             ;   in Loop: Header=BB164_4 Depth=1
	s_delay_alu instid0(SALU_CYCLE_1)
	s_and_saveexec_b32 s21, s20
; %bb.16:                               ;   in Loop: Header=BB164_4 Depth=1
	ds_store_b64 v20, v[0:1]
; %bb.17:                               ;   in Loop: Header=BB164_4 Depth=1
	s_or_b32 exec_lo, exec_lo, s21
	s_wait_loadcnt_dscnt 0x0
	s_barrier_signal -1
	s_barrier_wait -1
	s_and_saveexec_b32 s20, s27
	s_cbranch_execz .LBB164_2
; %bb.18:                               ;   in Loop: Header=BB164_4 Depth=1
	ds_load_2addr_b64 v[28:31], v18 offset1:32
	ds_load_2addr_b64 v[32:35], v19 offset1:32
	v_add_nc_u64_e32 v[14:15], s[16:17], v[14:15]
	s_delay_alu instid0(VALU_DEP_1) | instskip(NEXT) | instid1(VALU_DEP_1)
	v_add_nc_u64_e32 v[14:15], s[14:15], v[14:15]
	v_lshl_add_u64 v[14:15], v[10:11], 3, v[14:15]
	s_delay_alu instid0(VALU_DEP_1) | instskip(SKIP_2) | instid1(VALU_DEP_1)
	v_add_nc_u64_e32 v[14:15], v[14:15], v[2:3]
	s_wait_dscnt 0x0
	v_fma_f64 v[16:17], v[28:29], v[32:33], 0
	v_fmac_f64_e32 v[16:17], v[30:31], v[34:35]
	ds_load_2addr_b64 v[28:31], v18 offset0:64 offset1:96
	ds_load_2addr_b64 v[32:35], v19 offset0:64 offset1:96
	s_wait_dscnt 0x0
	v_fmac_f64_e32 v[16:17], v[28:29], v[32:33]
	s_delay_alu instid0(VALU_DEP_1) | instskip(SKIP_4) | instid1(VALU_DEP_1)
	v_fmac_f64_e32 v[16:17], v[30:31], v[34:35]
	ds_load_2addr_b64 v[28:31], v18 offset0:128 offset1:160
	ds_load_2addr_b64 v[32:35], v19 offset0:128 offset1:160
	s_wait_dscnt 0x0
	v_fmac_f64_e32 v[16:17], v[28:29], v[32:33]
	v_fmac_f64_e32 v[16:17], v[30:31], v[34:35]
	ds_load_2addr_b64 v[28:31], v18 offset0:192 offset1:224
	ds_load_2addr_b64 v[32:35], v19 offset0:192 offset1:224
	s_wait_dscnt 0x0
	v_fmac_f64_e32 v[16:17], v[28:29], v[32:33]
	s_delay_alu instid0(VALU_DEP_1) | instskip(SKIP_4) | instid1(VALU_DEP_1)
	v_fmac_f64_e32 v[16:17], v[30:31], v[34:35]
	ds_load_2addr_b64 v[28:31], v21 offset1:32
	ds_load_2addr_b64 v[32:35], v22 offset1:32
	s_wait_dscnt 0x0
	v_fmac_f64_e32 v[16:17], v[28:29], v[32:33]
	v_fmac_f64_e32 v[16:17], v[30:31], v[34:35]
	ds_load_2addr_b64 v[28:31], v21 offset0:64 offset1:96
	ds_load_2addr_b64 v[32:35], v22 offset0:64 offset1:96
	s_wait_dscnt 0x0
	v_fmac_f64_e32 v[16:17], v[28:29], v[32:33]
	s_delay_alu instid0(VALU_DEP_1) | instskip(SKIP_4) | instid1(VALU_DEP_1)
	v_fmac_f64_e32 v[16:17], v[30:31], v[34:35]
	ds_load_2addr_b64 v[28:31], v21 offset0:128 offset1:160
	ds_load_2addr_b64 v[32:35], v22 offset0:128 offset1:160
	s_wait_dscnt 0x0
	v_fmac_f64_e32 v[16:17], v[28:29], v[32:33]
	v_fmac_f64_e32 v[16:17], v[30:31], v[34:35]
	ds_load_2addr_b64 v[28:31], v21 offset0:192 offset1:224
	ds_load_2addr_b64 v[32:35], v22 offset0:192 offset1:224
	s_wait_dscnt 0x0
	v_fmac_f64_e32 v[16:17], v[28:29], v[32:33]
	s_delay_alu instid0(VALU_DEP_1) | instskip(SKIP_4) | instid1(VALU_DEP_1)
	v_fmac_f64_e32 v[16:17], v[30:31], v[34:35]
	ds_load_2addr_b64 v[28:31], v23 offset1:32
	ds_load_2addr_b64 v[32:35], v25 offset1:32
	s_wait_dscnt 0x0
	v_fmac_f64_e32 v[16:17], v[28:29], v[32:33]
	;; [unrolled: 22-line block ×3, first 2 shown]
	v_fmac_f64_e32 v[16:17], v[30:31], v[34:35]
	ds_load_2addr_b64 v[28:31], v26 offset0:64 offset1:96
	ds_load_2addr_b64 v[32:35], v27 offset0:64 offset1:96
	s_wait_dscnt 0x0
	v_fmac_f64_e32 v[16:17], v[28:29], v[32:33]
	s_delay_alu instid0(VALU_DEP_1) | instskip(SKIP_4) | instid1(VALU_DEP_1)
	v_fmac_f64_e32 v[16:17], v[30:31], v[34:35]
	ds_load_2addr_b64 v[28:31], v26 offset0:128 offset1:160
	ds_load_2addr_b64 v[32:35], v27 offset0:128 offset1:160
	s_wait_dscnt 0x0
	v_fmac_f64_e32 v[16:17], v[28:29], v[32:33]
	v_fmac_f64_e32 v[16:17], v[30:31], v[34:35]
	ds_load_2addr_b64 v[28:31], v26 offset0:192 offset1:224
	ds_load_2addr_b64 v[32:35], v27 offset0:192 offset1:224
	s_wait_dscnt 0x0
	v_fmac_f64_e32 v[16:17], v[28:29], v[32:33]
	s_delay_alu instid0(VALU_DEP_1) | instskip(NEXT) | instid1(VALU_DEP_1)
	v_fmac_f64_e32 v[16:17], v[30:31], v[34:35]
	v_mul_f64_e32 v[12:13], v[12:13], v[16:17]
	flat_store_b64 v[14:15], v[12:13]
	s_branch .LBB164_2
.LBB164_19:
	s_endpgm
	.section	.rodata,"a",@progbits
	.p2align	6, 0x0
	.amdhsa_kernel _ZL23rocblas_trmm_rTx_kernelILi32ELb0EdPKdKS1_KPdEv13rocblas_fill_17rocblas_diagonal_iiT2_lPT3_llS9_llPT4_lli
		.amdhsa_group_segment_fixed_size 16384
		.amdhsa_private_segment_fixed_size 0
		.amdhsa_kernarg_size 108
		.amdhsa_user_sgpr_count 2
		.amdhsa_user_sgpr_dispatch_ptr 0
		.amdhsa_user_sgpr_queue_ptr 0
		.amdhsa_user_sgpr_kernarg_segment_ptr 1
		.amdhsa_user_sgpr_dispatch_id 0
		.amdhsa_user_sgpr_kernarg_preload_length 0
		.amdhsa_user_sgpr_kernarg_preload_offset 0
		.amdhsa_user_sgpr_private_segment_size 0
		.amdhsa_wavefront_size32 1
		.amdhsa_uses_dynamic_stack 0
		.amdhsa_enable_private_segment 0
		.amdhsa_system_sgpr_workgroup_id_x 1
		.amdhsa_system_sgpr_workgroup_id_y 0
		.amdhsa_system_sgpr_workgroup_id_z 1
		.amdhsa_system_sgpr_workgroup_info 0
		.amdhsa_system_vgpr_workitem_id 1
		.amdhsa_next_free_vgpr 36
		.amdhsa_next_free_sgpr 36
		.amdhsa_named_barrier_count 0
		.amdhsa_reserve_vcc 1
		.amdhsa_float_round_mode_32 0
		.amdhsa_float_round_mode_16_64 0
		.amdhsa_float_denorm_mode_32 3
		.amdhsa_float_denorm_mode_16_64 3
		.amdhsa_fp16_overflow 0
		.amdhsa_memory_ordered 1
		.amdhsa_forward_progress 1
		.amdhsa_inst_pref_size 11
		.amdhsa_round_robin_scheduling 0
		.amdhsa_exception_fp_ieee_invalid_op 0
		.amdhsa_exception_fp_denorm_src 0
		.amdhsa_exception_fp_ieee_div_zero 0
		.amdhsa_exception_fp_ieee_overflow 0
		.amdhsa_exception_fp_ieee_underflow 0
		.amdhsa_exception_fp_ieee_inexact 0
		.amdhsa_exception_int_div_zero 0
	.end_amdhsa_kernel
	.section	.text._ZL23rocblas_trmm_rTx_kernelILi32ELb0EdPKdKS1_KPdEv13rocblas_fill_17rocblas_diagonal_iiT2_lPT3_llS9_llPT4_lli,"axG",@progbits,_ZL23rocblas_trmm_rTx_kernelILi32ELb0EdPKdKS1_KPdEv13rocblas_fill_17rocblas_diagonal_iiT2_lPT3_llS9_llPT4_lli,comdat
.Lfunc_end164:
	.size	_ZL23rocblas_trmm_rTx_kernelILi32ELb0EdPKdKS1_KPdEv13rocblas_fill_17rocblas_diagonal_iiT2_lPT3_llS9_llPT4_lli, .Lfunc_end164-_ZL23rocblas_trmm_rTx_kernelILi32ELb0EdPKdKS1_KPdEv13rocblas_fill_17rocblas_diagonal_iiT2_lPT3_llS9_llPT4_lli
                                        ; -- End function
	.set _ZL23rocblas_trmm_rTx_kernelILi32ELb0EdPKdKS1_KPdEv13rocblas_fill_17rocblas_diagonal_iiT2_lPT3_llS9_llPT4_lli.num_vgpr, 36
	.set _ZL23rocblas_trmm_rTx_kernelILi32ELb0EdPKdKS1_KPdEv13rocblas_fill_17rocblas_diagonal_iiT2_lPT3_llS9_llPT4_lli.num_agpr, 0
	.set _ZL23rocblas_trmm_rTx_kernelILi32ELb0EdPKdKS1_KPdEv13rocblas_fill_17rocblas_diagonal_iiT2_lPT3_llS9_llPT4_lli.numbered_sgpr, 36
	.set _ZL23rocblas_trmm_rTx_kernelILi32ELb0EdPKdKS1_KPdEv13rocblas_fill_17rocblas_diagonal_iiT2_lPT3_llS9_llPT4_lli.num_named_barrier, 0
	.set _ZL23rocblas_trmm_rTx_kernelILi32ELb0EdPKdKS1_KPdEv13rocblas_fill_17rocblas_diagonal_iiT2_lPT3_llS9_llPT4_lli.private_seg_size, 0
	.set _ZL23rocblas_trmm_rTx_kernelILi32ELb0EdPKdKS1_KPdEv13rocblas_fill_17rocblas_diagonal_iiT2_lPT3_llS9_llPT4_lli.uses_vcc, 1
	.set _ZL23rocblas_trmm_rTx_kernelILi32ELb0EdPKdKS1_KPdEv13rocblas_fill_17rocblas_diagonal_iiT2_lPT3_llS9_llPT4_lli.uses_flat_scratch, 0
	.set _ZL23rocblas_trmm_rTx_kernelILi32ELb0EdPKdKS1_KPdEv13rocblas_fill_17rocblas_diagonal_iiT2_lPT3_llS9_llPT4_lli.has_dyn_sized_stack, 0
	.set _ZL23rocblas_trmm_rTx_kernelILi32ELb0EdPKdKS1_KPdEv13rocblas_fill_17rocblas_diagonal_iiT2_lPT3_llS9_llPT4_lli.has_recursion, 0
	.set _ZL23rocblas_trmm_rTx_kernelILi32ELb0EdPKdKS1_KPdEv13rocblas_fill_17rocblas_diagonal_iiT2_lPT3_llS9_llPT4_lli.has_indirect_call, 0
	.section	.AMDGPU.csdata,"",@progbits
; Kernel info:
; codeLenInByte = 1396
; TotalNumSgprs: 38
; NumVgprs: 36
; ScratchSize: 0
; MemoryBound: 0
; FloatMode: 240
; IeeeMode: 1
; LDSByteSize: 16384 bytes/workgroup (compile time only)
; SGPRBlocks: 0
; VGPRBlocks: 2
; NumSGPRsForWavesPerEU: 38
; NumVGPRsForWavesPerEU: 36
; NamedBarCnt: 0
; Occupancy: 16
; WaveLimiterHint : 1
; COMPUTE_PGM_RSRC2:SCRATCH_EN: 0
; COMPUTE_PGM_RSRC2:USER_SGPR: 2
; COMPUTE_PGM_RSRC2:TRAP_HANDLER: 0
; COMPUTE_PGM_RSRC2:TGID_X_EN: 1
; COMPUTE_PGM_RSRC2:TGID_Y_EN: 0
; COMPUTE_PGM_RSRC2:TGID_Z_EN: 1
; COMPUTE_PGM_RSRC2:TIDIG_COMP_CNT: 1
	.section	.text._ZL23rocblas_trmm_rTx_kernelILi32ELb0EddKPKdKPdEv13rocblas_fill_17rocblas_diagonal_iiT2_lPT3_llS9_llPT4_lli,"axG",@progbits,_ZL23rocblas_trmm_rTx_kernelILi32ELb0EddKPKdKPdEv13rocblas_fill_17rocblas_diagonal_iiT2_lPT3_llS9_llPT4_lli,comdat
	.globl	_ZL23rocblas_trmm_rTx_kernelILi32ELb0EddKPKdKPdEv13rocblas_fill_17rocblas_diagonal_iiT2_lPT3_llS9_llPT4_lli ; -- Begin function _ZL23rocblas_trmm_rTx_kernelILi32ELb0EddKPKdKPdEv13rocblas_fill_17rocblas_diagonal_iiT2_lPT3_llS9_llPT4_lli
	.p2align	8
	.type	_ZL23rocblas_trmm_rTx_kernelILi32ELb0EddKPKdKPdEv13rocblas_fill_17rocblas_diagonal_iiT2_lPT3_llS9_llPT4_lli,@function
_ZL23rocblas_trmm_rTx_kernelILi32ELb0EddKPKdKPdEv13rocblas_fill_17rocblas_diagonal_iiT2_lPT3_llS9_llPT4_lli: ; @_ZL23rocblas_trmm_rTx_kernelILi32ELb0EddKPKdKPdEv13rocblas_fill_17rocblas_diagonal_iiT2_lPT3_llS9_llPT4_lli
; %bb.0:
	s_load_b32 s33, s[0:1], 0x68
	s_bfe_u32 s2, ttmp6, 0x40014
	s_lshr_b32 s3, ttmp7, 16
	s_add_co_i32 s2, s2, 1
	s_bfe_u32 s5, ttmp6, 0x40008
	s_mul_i32 s4, s3, s2
	s_getreg_b32 s2, hwreg(HW_REG_IB_STS2, 6, 4)
	s_add_co_i32 s5, s5, s4
	s_cmp_eq_u32 s2, 0
	s_mov_b32 s7, 0
	s_cselect_b32 s6, s3, s5
	s_wait_kmcnt 0x0
	s_cmp_ge_u32 s6, s33
	s_cbranch_scc1 .LBB165_19
; %bb.1:
	s_clause 0x3
	s_load_b128 s[24:27], s[0:1], 0x0
	s_load_b64 s[28:29], s[0:1], 0x10
	s_load_b512 s[8:23], s[0:1], 0x20
	s_load_b64 s[30:31], s[0:1], 0x60
	v_bfe_u32 v2, v0, 10, 10
	v_mov_b32_e32 v3, 0
	s_wait_xcnt 0x0
	s_bfe_u32 s0, ttmp6, 0x4000c
	s_and_b32 s3, ttmp6, 15
	s_add_co_i32 s0, s0, 1
	v_lshlrev_b32_e32 v13, 5, v2
	s_mul_i32 s4, ttmp9, s0
	v_and_b32_e32 v12, 0x3ff, v0
	s_add_co_i32 s3, s3, s4
	v_lshlrev_b32_e32 v17, 3, v2
	v_mov_b64_e32 v[0:1], 0
	v_mov_b64_e32 v[4:5], 1.0
	v_cmp_eq_u32_e32 vcc_lo, v2, v12
	v_lshl_add_u32 v16, v12, 3, 0x2000
	v_add_lshl_u32 v18, v13, v12, 3
	v_cmp_lt_u32_e64 s0, v12, v2
	s_wait_kmcnt 0x0
	s_add_co_i32 s5, s26, -1
	v_cmp_gt_u32_e64 s1, v12, v2
	s_ashr_i32 s34, s5, 31
	v_mul_u64_e32 v[6:7], s[10:11], v[2:3]
	v_mul_u64_e32 v[8:9], s[16:17], v[2:3]
	;; [unrolled: 1-line block ×3, first 2 shown]
	v_cmp_neq_f64_e64 s22, s[28:29], 0
	s_lshr_b32 s4, s34, 27
	v_add_nc_u32_e32 v19, 0x800, v16
	s_add_co_i32 s4, s5, s4
	v_add_nc_u32_e32 v20, 0x2000, v18
	s_and_b32 s5, s4, 0xffffffe0
	s_ashr_i32 s4, s4, 5
	s_sub_co_i32 s5, s26, s5
	s_cmp_eq_u32 s2, 0
	v_cmp_gt_i32_e64 s2, s27, v2
	s_cselect_b32 s10, ttmp9, s3
	v_cmp_gt_i32_e64 s3, s27, v12
	s_cmp_ge_i32 s10, s4
	v_lshlrev_b32_e32 v2, 3, v12
	s_cselect_b32 s4, s5, 32
	s_lshl_b32 s10, s10, 5
	v_cmp_gt_i32_e64 s4, s4, v12
	s_and_b32 s16, s2, s3
	s_ashr_i32 s11, s10, 31
	v_add_nc_u32_e32 v21, 0x800, v17
	v_add_nc_u32_e32 v22, 0x1000, v16
	s_and_b32 s17, s2, s4
	s_cmp_eq_u32 s25, 0x84
	v_add_nc_u32_e32 v23, 0x1000, v17
	s_cselect_b32 s2, -1, 0
	v_add_nc_u32_e32 v24, 0x1800, v16
	s_and_b32 s23, vcc_lo, s2
	v_add_nc_u32_e32 v25, 0x1800, v17
	s_cmp_lg_u32 s24, 0x79
	s_cselect_b32 s24, -1, 0
	s_lshl_b64 s[2:3], s[12:13], 3
	s_lshl_b64 s[4:5], s[18:19], 3
	;; [unrolled: 1-line block ×4, first 2 shown]
	s_branch .LBB165_4
.LBB165_2:                              ;   in Loop: Header=BB165_4 Depth=1
	s_wait_xcnt 0x0
	s_or_b32 exec_lo, exec_lo, s18
.LBB165_3:                              ;   in Loop: Header=BB165_4 Depth=1
	s_add_co_i32 s6, s6, 0x10000
	s_delay_alu instid0(SALU_CYCLE_1)
	s_cmp_lt_u32 s6, s33
	s_cbranch_scc0 .LBB165_19
.LBB165_4:                              ; =>This Inner Loop Header: Depth=1
	s_and_not1_b32 vcc_lo, exec_lo, s22
	s_cbranch_vccnz .LBB165_3
; %bb.5:                                ;   in Loop: Header=BB165_4 Depth=1
	v_mov_b32_e32 v26, s6
	s_clause 0x1
	global_load_b64 v[14:15], v26, s[14:15] scale_offset
	global_load_b64 v[12:13], v26, s[20:21] scale_offset
	ds_store_b64 v18, v[0:1]
	ds_store_b64 v20, v[0:1]
	s_wait_xcnt 0x0
	s_and_saveexec_b32 s18, s16
	s_cbranch_execnz .LBB165_10
; %bb.6:                                ;   in Loop: Header=BB165_4 Depth=1
	s_or_b32 exec_lo, exec_lo, s18
	s_and_saveexec_b32 s18, s17
	s_cbranch_execnz .LBB165_11
.LBB165_7:                              ;   in Loop: Header=BB165_4 Depth=1
	s_or_b32 exec_lo, exec_lo, s18
	s_and_saveexec_b32 s18, s23
	s_cbranch_execnz .LBB165_12
.LBB165_8:                              ;   in Loop: Header=BB165_4 Depth=1
	s_or_b32 exec_lo, exec_lo, s18
	s_delay_alu instid0(SALU_CYCLE_1)
	s_and_b32 vcc_lo, exec_lo, s24
	s_cbranch_vccz .LBB165_13
.LBB165_9:                              ;   in Loop: Header=BB165_4 Depth=1
	s_and_b32 s18, s0, exec_lo
	s_cbranch_execz .LBB165_14
	s_branch .LBB165_15
.LBB165_10:                             ;   in Loop: Header=BB165_4 Depth=1
	s_lshl_b64 s[26:27], s[6:7], 3
	s_delay_alu instid0(SALU_CYCLE_1) | instskip(SKIP_3) | instid1(VALU_DEP_1)
	s_add_nc_u64 s[26:27], s[8:9], s[26:27]
	global_load_b64 v[26:27], v3, s[26:27]
	s_wait_loadcnt 0x0
	v_add_nc_u64_e32 v[26:27], s[2:3], v[26:27]
	v_lshl_add_u64 v[26:27], v[6:7], 3, v[26:27]
	s_delay_alu instid0(VALU_DEP_1)
	v_add_nc_u64_e32 v[26:27], v[26:27], v[2:3]
	flat_load_b64 v[26:27], v[26:27]
	s_wait_loadcnt_dscnt 0x0
	ds_store_b64 v18, v[26:27]
	s_wait_xcnt 0x0
	s_or_b32 exec_lo, exec_lo, s18
	s_and_saveexec_b32 s18, s17
	s_cbranch_execz .LBB165_7
.LBB165_11:                             ;   in Loop: Header=BB165_4 Depth=1
	s_wait_loadcnt 0x1
	v_add_nc_u64_e32 v[14:15], s[4:5], v[14:15]
	s_delay_alu instid0(VALU_DEP_1) | instskip(NEXT) | instid1(VALU_DEP_1)
	v_add_nc_u64_e32 v[14:15], s[10:11], v[14:15]
	v_lshl_add_u64 v[14:15], v[8:9], 3, v[14:15]
	s_delay_alu instid0(VALU_DEP_1)
	v_add_nc_u64_e32 v[14:15], v[14:15], v[2:3]
	flat_load_b64 v[14:15], v[14:15]
	s_wait_loadcnt_dscnt 0x0
	ds_store_b64 v20, v[14:15]
	s_wait_xcnt 0x0
	s_or_b32 exec_lo, exec_lo, s18
	s_and_saveexec_b32 s18, s23
	s_cbranch_execz .LBB165_8
.LBB165_12:                             ;   in Loop: Header=BB165_4 Depth=1
	ds_store_b64 v18, v[4:5]
	s_or_b32 exec_lo, exec_lo, s18
	s_delay_alu instid0(SALU_CYCLE_1)
	s_and_b32 vcc_lo, exec_lo, s24
	s_cbranch_vccnz .LBB165_9
.LBB165_13:                             ;   in Loop: Header=BB165_4 Depth=1
	s_mov_b32 s18, 0
.LBB165_14:                             ;   in Loop: Header=BB165_4 Depth=1
	s_delay_alu instid0(SALU_CYCLE_1) | instskip(SKIP_1) | instid1(SALU_CYCLE_1)
	s_and_not1_b32 s18, s18, exec_lo
	s_and_b32 s19, s1, exec_lo
	s_or_b32 s18, s18, s19
.LBB165_15:                             ;   in Loop: Header=BB165_4 Depth=1
	s_delay_alu instid0(SALU_CYCLE_1)
	s_and_saveexec_b32 s19, s18
; %bb.16:                               ;   in Loop: Header=BB165_4 Depth=1
	ds_store_b64 v18, v[0:1]
; %bb.17:                               ;   in Loop: Header=BB165_4 Depth=1
	s_or_b32 exec_lo, exec_lo, s19
	s_wait_loadcnt_dscnt 0x0
	s_barrier_signal -1
	s_barrier_wait -1
	s_and_saveexec_b32 s18, s17
	s_cbranch_execz .LBB165_2
; %bb.18:                               ;   in Loop: Header=BB165_4 Depth=1
	ds_load_2addr_b64 v[26:29], v16 offset1:32
	ds_load_2addr_b64 v[30:33], v17 offset1:32
	v_add_nc_u64_e32 v[12:13], s[12:13], v[12:13]
	s_delay_alu instid0(VALU_DEP_1) | instskip(NEXT) | instid1(VALU_DEP_1)
	v_add_nc_u64_e32 v[12:13], s[10:11], v[12:13]
	v_lshl_add_u64 v[12:13], v[10:11], 3, v[12:13]
	s_delay_alu instid0(VALU_DEP_1) | instskip(SKIP_2) | instid1(VALU_DEP_1)
	v_add_nc_u64_e32 v[12:13], v[12:13], v[2:3]
	s_wait_dscnt 0x0
	v_fma_f64 v[14:15], v[26:27], v[30:31], 0
	v_fmac_f64_e32 v[14:15], v[28:29], v[32:33]
	ds_load_2addr_b64 v[26:29], v16 offset0:64 offset1:96
	ds_load_2addr_b64 v[30:33], v17 offset0:64 offset1:96
	s_wait_dscnt 0x0
	v_fmac_f64_e32 v[14:15], v[26:27], v[30:31]
	s_delay_alu instid0(VALU_DEP_1) | instskip(SKIP_4) | instid1(VALU_DEP_1)
	v_fmac_f64_e32 v[14:15], v[28:29], v[32:33]
	ds_load_2addr_b64 v[26:29], v16 offset0:128 offset1:160
	ds_load_2addr_b64 v[30:33], v17 offset0:128 offset1:160
	s_wait_dscnt 0x0
	v_fmac_f64_e32 v[14:15], v[26:27], v[30:31]
	v_fmac_f64_e32 v[14:15], v[28:29], v[32:33]
	ds_load_2addr_b64 v[26:29], v16 offset0:192 offset1:224
	ds_load_2addr_b64 v[30:33], v17 offset0:192 offset1:224
	s_wait_dscnt 0x0
	v_fmac_f64_e32 v[14:15], v[26:27], v[30:31]
	s_delay_alu instid0(VALU_DEP_1) | instskip(SKIP_4) | instid1(VALU_DEP_1)
	v_fmac_f64_e32 v[14:15], v[28:29], v[32:33]
	ds_load_2addr_b64 v[26:29], v19 offset1:32
	ds_load_2addr_b64 v[30:33], v21 offset1:32
	s_wait_dscnt 0x0
	v_fmac_f64_e32 v[14:15], v[26:27], v[30:31]
	v_fmac_f64_e32 v[14:15], v[28:29], v[32:33]
	ds_load_2addr_b64 v[26:29], v19 offset0:64 offset1:96
	ds_load_2addr_b64 v[30:33], v21 offset0:64 offset1:96
	s_wait_dscnt 0x0
	v_fmac_f64_e32 v[14:15], v[26:27], v[30:31]
	s_delay_alu instid0(VALU_DEP_1) | instskip(SKIP_4) | instid1(VALU_DEP_1)
	v_fmac_f64_e32 v[14:15], v[28:29], v[32:33]
	ds_load_2addr_b64 v[26:29], v19 offset0:128 offset1:160
	ds_load_2addr_b64 v[30:33], v21 offset0:128 offset1:160
	s_wait_dscnt 0x0
	v_fmac_f64_e32 v[14:15], v[26:27], v[30:31]
	v_fmac_f64_e32 v[14:15], v[28:29], v[32:33]
	ds_load_2addr_b64 v[26:29], v19 offset0:192 offset1:224
	ds_load_2addr_b64 v[30:33], v21 offset0:192 offset1:224
	s_wait_dscnt 0x0
	v_fmac_f64_e32 v[14:15], v[26:27], v[30:31]
	s_delay_alu instid0(VALU_DEP_1) | instskip(SKIP_4) | instid1(VALU_DEP_1)
	v_fmac_f64_e32 v[14:15], v[28:29], v[32:33]
	ds_load_2addr_b64 v[26:29], v22 offset1:32
	ds_load_2addr_b64 v[30:33], v23 offset1:32
	s_wait_dscnt 0x0
	v_fmac_f64_e32 v[14:15], v[26:27], v[30:31]
	;; [unrolled: 22-line block ×3, first 2 shown]
	v_fmac_f64_e32 v[14:15], v[28:29], v[32:33]
	ds_load_2addr_b64 v[26:29], v24 offset0:64 offset1:96
	ds_load_2addr_b64 v[30:33], v25 offset0:64 offset1:96
	s_wait_dscnt 0x0
	v_fmac_f64_e32 v[14:15], v[26:27], v[30:31]
	s_delay_alu instid0(VALU_DEP_1) | instskip(SKIP_4) | instid1(VALU_DEP_1)
	v_fmac_f64_e32 v[14:15], v[28:29], v[32:33]
	ds_load_2addr_b64 v[26:29], v24 offset0:128 offset1:160
	ds_load_2addr_b64 v[30:33], v25 offset0:128 offset1:160
	s_wait_dscnt 0x0
	v_fmac_f64_e32 v[14:15], v[26:27], v[30:31]
	v_fmac_f64_e32 v[14:15], v[28:29], v[32:33]
	ds_load_2addr_b64 v[26:29], v24 offset0:192 offset1:224
	ds_load_2addr_b64 v[30:33], v25 offset0:192 offset1:224
	s_wait_dscnt 0x0
	v_fmac_f64_e32 v[14:15], v[26:27], v[30:31]
	s_delay_alu instid0(VALU_DEP_1) | instskip(NEXT) | instid1(VALU_DEP_1)
	v_fmac_f64_e32 v[14:15], v[28:29], v[32:33]
	v_mul_f64_e32 v[14:15], s[28:29], v[14:15]
	flat_store_b64 v[12:13], v[14:15]
	s_branch .LBB165_2
.LBB165_19:
	s_endpgm
	.section	.rodata,"a",@progbits
	.p2align	6, 0x0
	.amdhsa_kernel _ZL23rocblas_trmm_rTx_kernelILi32ELb0EddKPKdKPdEv13rocblas_fill_17rocblas_diagonal_iiT2_lPT3_llS9_llPT4_lli
		.amdhsa_group_segment_fixed_size 16384
		.amdhsa_private_segment_fixed_size 0
		.amdhsa_kernarg_size 108
		.amdhsa_user_sgpr_count 2
		.amdhsa_user_sgpr_dispatch_ptr 0
		.amdhsa_user_sgpr_queue_ptr 0
		.amdhsa_user_sgpr_kernarg_segment_ptr 1
		.amdhsa_user_sgpr_dispatch_id 0
		.amdhsa_user_sgpr_kernarg_preload_length 0
		.amdhsa_user_sgpr_kernarg_preload_offset 0
		.amdhsa_user_sgpr_private_segment_size 0
		.amdhsa_wavefront_size32 1
		.amdhsa_uses_dynamic_stack 0
		.amdhsa_enable_private_segment 0
		.amdhsa_system_sgpr_workgroup_id_x 1
		.amdhsa_system_sgpr_workgroup_id_y 0
		.amdhsa_system_sgpr_workgroup_id_z 1
		.amdhsa_system_sgpr_workgroup_info 0
		.amdhsa_system_vgpr_workitem_id 1
		.amdhsa_next_free_vgpr 34
		.amdhsa_next_free_sgpr 35
		.amdhsa_named_barrier_count 0
		.amdhsa_reserve_vcc 1
		.amdhsa_float_round_mode_32 0
		.amdhsa_float_round_mode_16_64 0
		.amdhsa_float_denorm_mode_32 3
		.amdhsa_float_denorm_mode_16_64 3
		.amdhsa_fp16_overflow 0
		.amdhsa_memory_ordered 1
		.amdhsa_forward_progress 1
		.amdhsa_inst_pref_size 11
		.amdhsa_round_robin_scheduling 0
		.amdhsa_exception_fp_ieee_invalid_op 0
		.amdhsa_exception_fp_denorm_src 0
		.amdhsa_exception_fp_ieee_div_zero 0
		.amdhsa_exception_fp_ieee_overflow 0
		.amdhsa_exception_fp_ieee_underflow 0
		.amdhsa_exception_fp_ieee_inexact 0
		.amdhsa_exception_int_div_zero 0
	.end_amdhsa_kernel
	.section	.text._ZL23rocblas_trmm_rTx_kernelILi32ELb0EddKPKdKPdEv13rocblas_fill_17rocblas_diagonal_iiT2_lPT3_llS9_llPT4_lli,"axG",@progbits,_ZL23rocblas_trmm_rTx_kernelILi32ELb0EddKPKdKPdEv13rocblas_fill_17rocblas_diagonal_iiT2_lPT3_llS9_llPT4_lli,comdat
.Lfunc_end165:
	.size	_ZL23rocblas_trmm_rTx_kernelILi32ELb0EddKPKdKPdEv13rocblas_fill_17rocblas_diagonal_iiT2_lPT3_llS9_llPT4_lli, .Lfunc_end165-_ZL23rocblas_trmm_rTx_kernelILi32ELb0EddKPKdKPdEv13rocblas_fill_17rocblas_diagonal_iiT2_lPT3_llS9_llPT4_lli
                                        ; -- End function
	.set _ZL23rocblas_trmm_rTx_kernelILi32ELb0EddKPKdKPdEv13rocblas_fill_17rocblas_diagonal_iiT2_lPT3_llS9_llPT4_lli.num_vgpr, 34
	.set _ZL23rocblas_trmm_rTx_kernelILi32ELb0EddKPKdKPdEv13rocblas_fill_17rocblas_diagonal_iiT2_lPT3_llS9_llPT4_lli.num_agpr, 0
	.set _ZL23rocblas_trmm_rTx_kernelILi32ELb0EddKPKdKPdEv13rocblas_fill_17rocblas_diagonal_iiT2_lPT3_llS9_llPT4_lli.numbered_sgpr, 35
	.set _ZL23rocblas_trmm_rTx_kernelILi32ELb0EddKPKdKPdEv13rocblas_fill_17rocblas_diagonal_iiT2_lPT3_llS9_llPT4_lli.num_named_barrier, 0
	.set _ZL23rocblas_trmm_rTx_kernelILi32ELb0EddKPKdKPdEv13rocblas_fill_17rocblas_diagonal_iiT2_lPT3_llS9_llPT4_lli.private_seg_size, 0
	.set _ZL23rocblas_trmm_rTx_kernelILi32ELb0EddKPKdKPdEv13rocblas_fill_17rocblas_diagonal_iiT2_lPT3_llS9_llPT4_lli.uses_vcc, 1
	.set _ZL23rocblas_trmm_rTx_kernelILi32ELb0EddKPKdKPdEv13rocblas_fill_17rocblas_diagonal_iiT2_lPT3_llS9_llPT4_lli.uses_flat_scratch, 0
	.set _ZL23rocblas_trmm_rTx_kernelILi32ELb0EddKPKdKPdEv13rocblas_fill_17rocblas_diagonal_iiT2_lPT3_llS9_llPT4_lli.has_dyn_sized_stack, 0
	.set _ZL23rocblas_trmm_rTx_kernelILi32ELb0EddKPKdKPdEv13rocblas_fill_17rocblas_diagonal_iiT2_lPT3_llS9_llPT4_lli.has_recursion, 0
	.set _ZL23rocblas_trmm_rTx_kernelILi32ELb0EddKPKdKPdEv13rocblas_fill_17rocblas_diagonal_iiT2_lPT3_llS9_llPT4_lli.has_indirect_call, 0
	.section	.AMDGPU.csdata,"",@progbits
; Kernel info:
; codeLenInByte = 1356
; TotalNumSgprs: 37
; NumVgprs: 34
; ScratchSize: 0
; MemoryBound: 0
; FloatMode: 240
; IeeeMode: 1
; LDSByteSize: 16384 bytes/workgroup (compile time only)
; SGPRBlocks: 0
; VGPRBlocks: 2
; NumSGPRsForWavesPerEU: 37
; NumVGPRsForWavesPerEU: 34
; NamedBarCnt: 0
; Occupancy: 16
; WaveLimiterHint : 1
; COMPUTE_PGM_RSRC2:SCRATCH_EN: 0
; COMPUTE_PGM_RSRC2:USER_SGPR: 2
; COMPUTE_PGM_RSRC2:TRAP_HANDLER: 0
; COMPUTE_PGM_RSRC2:TGID_X_EN: 1
; COMPUTE_PGM_RSRC2:TGID_Y_EN: 0
; COMPUTE_PGM_RSRC2:TGID_Z_EN: 1
; COMPUTE_PGM_RSRC2:TIDIG_COMP_CNT: 1
	.section	.text._ZL23rocblas_trmm_rTx_kernelILi32ELb1EdPKdKS1_KPdEv13rocblas_fill_17rocblas_diagonal_iiT2_lPT3_llS9_llPT4_lli,"axG",@progbits,_ZL23rocblas_trmm_rTx_kernelILi32ELb1EdPKdKS1_KPdEv13rocblas_fill_17rocblas_diagonal_iiT2_lPT3_llS9_llPT4_lli,comdat
	.globl	_ZL23rocblas_trmm_rTx_kernelILi32ELb1EdPKdKS1_KPdEv13rocblas_fill_17rocblas_diagonal_iiT2_lPT3_llS9_llPT4_lli ; -- Begin function _ZL23rocblas_trmm_rTx_kernelILi32ELb1EdPKdKS1_KPdEv13rocblas_fill_17rocblas_diagonal_iiT2_lPT3_llS9_llPT4_lli
	.p2align	8
	.type	_ZL23rocblas_trmm_rTx_kernelILi32ELb1EdPKdKS1_KPdEv13rocblas_fill_17rocblas_diagonal_iiT2_lPT3_llS9_llPT4_lli,@function
_ZL23rocblas_trmm_rTx_kernelILi32ELb1EdPKdKS1_KPdEv13rocblas_fill_17rocblas_diagonal_iiT2_lPT3_llS9_llPT4_lli: ; @_ZL23rocblas_trmm_rTx_kernelILi32ELb1EdPKdKS1_KPdEv13rocblas_fill_17rocblas_diagonal_iiT2_lPT3_llS9_llPT4_lli
; %bb.0:
	s_load_b32 s33, s[0:1], 0x68
	s_bfe_u32 s2, ttmp6, 0x40014
	s_lshr_b32 s3, ttmp7, 16
	s_add_co_i32 s2, s2, 1
	s_bfe_u32 s5, ttmp6, 0x40008
	s_mul_i32 s4, s3, s2
	s_getreg_b32 s2, hwreg(HW_REG_IB_STS2, 6, 4)
	s_add_co_i32 s5, s5, s4
	s_cmp_eq_u32 s2, 0
	s_mov_b32 s7, 0
	s_cselect_b32 s6, s3, s5
	s_wait_kmcnt 0x0
	s_cmp_ge_u32 s6, s33
	s_cbranch_scc1 .LBB166_19
; %bb.1:
	s_clause 0x3
	s_load_b128 s[28:31], s[0:1], 0x0
	s_load_b512 s[8:23], s[0:1], 0x10
	s_load_b64 s[34:35], s[0:1], 0x60
	s_load_b128 s[24:27], s[0:1], 0x50
	s_wait_xcnt 0x0
	s_bfe_u32 s0, ttmp6, 0x4000c
	v_bfe_u32 v2, v0, 10, 10
	v_mov_b32_e32 v3, 0
	s_add_co_i32 s0, s0, 1
	s_and_b32 s3, ttmp6, 15
	s_mul_i32 s4, ttmp9, s0
	v_lshlrev_b32_e32 v13, 5, v2
	s_add_co_i32 s3, s3, s4
	v_and_b32_e32 v12, 0x3ff, v0
	v_lshlrev_b32_e32 v19, 3, v2
	v_mov_b64_e32 v[0:1], 0
	v_mov_b64_e32 v[4:5], 1.0
	s_delay_alu instid0(VALU_DEP_4)
	v_cmp_eq_u32_e32 vcc_lo, v2, v12
	v_lshl_add_u32 v18, v12, 3, 0x2000
	v_add_lshl_u32 v20, v13, v12, 3
	s_wait_kmcnt 0x0
	s_add_co_i32 s5, s30, -1
	v_mul_u64_e32 v[6:7], s[14:15], v[2:3]
	s_ashr_i32 s4, s5, 31
	v_mul_u64_e32 v[8:9], s[20:21], v[2:3]
	v_mul_u64_e32 v[10:11], s[26:27], v[2:3]
	s_lshr_b32 s4, s4, 27
	v_cmp_lt_u32_e64 s0, v12, v2
	s_add_co_i32 s4, s5, s4
	v_cmp_gt_u32_e64 s1, v12, v2
	s_and_b32 s5, s4, 0xffffffe0
	s_ashr_i32 s4, s4, 5
	s_sub_co_i32 s5, s30, s5
	s_cmp_eq_u32 s2, 0
	v_cmp_gt_i32_e64 s2, s31, v2
	s_cselect_b32 s14, ttmp9, s3
	v_cmp_gt_i32_e64 s3, s31, v12
	s_cmp_ge_i32 s14, s4
	v_add_nc_u32_e32 v21, 0x800, v18
	s_cselect_b32 s4, s5, 32
	s_lshl_b32 s14, s14, 5
	v_cmp_gt_i32_e64 s4, s4, v12
	s_and_b32 s26, s2, s3
	s_ashr_i32 s15, s14, 31
	v_add_nc_u32_e32 v23, 0x1000, v18
	v_add_nc_u32_e32 v24, 0x2000, v20
	s_and_b32 s27, s2, s4
	s_cmp_eq_u32 s29, 0x84
	v_lshlrev_b32_e32 v2, 3, v12
	s_cselect_b32 s2, -1, 0
	v_add_nc_u32_e32 v22, 0x800, v19
	s_and_b32 s29, vcc_lo, s2
	v_add_nc_u32_e32 v25, 0x1000, v19
	v_add_nc_u32_e32 v26, 0x1800, v18
	;; [unrolled: 1-line block ×3, first 2 shown]
	s_cmp_lg_u32 s28, 0x79
	s_cselect_b32 s28, -1, 0
	s_lshl_b64 s[2:3], s[16:17], 3
	s_lshl_b64 s[4:5], s[22:23], 3
	;; [unrolled: 1-line block ×4, first 2 shown]
	s_branch .LBB166_4
.LBB166_2:                              ;   in Loop: Header=BB166_4 Depth=1
	s_wait_xcnt 0x0
	s_or_b32 exec_lo, exec_lo, s20
.LBB166_3:                              ;   in Loop: Header=BB166_4 Depth=1
	s_add_co_i32 s6, s6, 0x10000
	s_delay_alu instid0(SALU_CYCLE_1)
	s_cmp_lt_u32 s6, s33
	s_cbranch_scc0 .LBB166_19
.LBB166_4:                              ; =>This Inner Loop Header: Depth=1
	s_wait_xcnt 0x0
	s_mul_u64 s[20:21], s[10:11], s[6:7]
	s_delay_alu instid0(SALU_CYCLE_1) | instskip(NEXT) | instid1(SALU_CYCLE_1)
	s_lshl_b64 s[20:21], s[20:21], 3
	s_add_nc_u64 s[20:21], s[8:9], s[20:21]
	global_load_b64 v[12:13], v3, s[20:21]
	s_wait_loadcnt 0x0
	v_cmp_eq_f64_e32 vcc_lo, 0, v[12:13]
	s_cbranch_vccnz .LBB166_3
; %bb.5:                                ;   in Loop: Header=BB166_4 Depth=1
	s_wait_xcnt 0x0
	s_lshl_b64 s[20:21], s[6:7], 3
	s_delay_alu instid0(SALU_CYCLE_1)
	s_add_nc_u64 s[22:23], s[18:19], s[20:21]
	s_add_nc_u64 s[30:31], s[24:25], s[20:21]
	s_clause 0x1
	global_load_b64 v[16:17], v3, s[22:23]
	global_load_b64 v[14:15], v3, s[30:31]
	ds_store_b64 v20, v[0:1]
	ds_store_b64 v24, v[0:1]
	s_wait_xcnt 0x0
	s_and_saveexec_b32 s22, s26
	s_cbranch_execnz .LBB166_10
; %bb.6:                                ;   in Loop: Header=BB166_4 Depth=1
	s_or_b32 exec_lo, exec_lo, s22
	s_and_saveexec_b32 s20, s27
	s_cbranch_execnz .LBB166_11
.LBB166_7:                              ;   in Loop: Header=BB166_4 Depth=1
	s_or_b32 exec_lo, exec_lo, s20
	s_and_saveexec_b32 s20, s29
	s_cbranch_execnz .LBB166_12
.LBB166_8:                              ;   in Loop: Header=BB166_4 Depth=1
	s_or_b32 exec_lo, exec_lo, s20
	s_delay_alu instid0(SALU_CYCLE_1)
	s_and_b32 vcc_lo, exec_lo, s28
	s_cbranch_vccz .LBB166_13
.LBB166_9:                              ;   in Loop: Header=BB166_4 Depth=1
	s_and_b32 s20, s0, exec_lo
	s_cbranch_execz .LBB166_14
	s_branch .LBB166_15
.LBB166_10:                             ;   in Loop: Header=BB166_4 Depth=1
	s_add_nc_u64 s[20:21], s[12:13], s[20:21]
	global_load_b64 v[28:29], v3, s[20:21]
	s_wait_loadcnt 0x0
	v_add_nc_u64_e32 v[28:29], s[2:3], v[28:29]
	s_delay_alu instid0(VALU_DEP_1) | instskip(NEXT) | instid1(VALU_DEP_1)
	v_lshl_add_u64 v[28:29], v[6:7], 3, v[28:29]
	v_add_nc_u64_e32 v[28:29], v[28:29], v[2:3]
	flat_load_b64 v[28:29], v[28:29]
	s_wait_loadcnt_dscnt 0x0
	ds_store_b64 v20, v[28:29]
	s_wait_xcnt 0x0
	s_or_b32 exec_lo, exec_lo, s22
	s_and_saveexec_b32 s20, s27
	s_cbranch_execz .LBB166_7
.LBB166_11:                             ;   in Loop: Header=BB166_4 Depth=1
	s_wait_loadcnt 0x1
	v_add_nc_u64_e32 v[16:17], s[4:5], v[16:17]
	s_delay_alu instid0(VALU_DEP_1) | instskip(NEXT) | instid1(VALU_DEP_1)
	v_add_nc_u64_e32 v[16:17], s[14:15], v[16:17]
	v_lshl_add_u64 v[16:17], v[8:9], 3, v[16:17]
	s_delay_alu instid0(VALU_DEP_1)
	v_add_nc_u64_e32 v[16:17], v[16:17], v[2:3]
	flat_load_b64 v[16:17], v[16:17]
	s_wait_loadcnt_dscnt 0x0
	ds_store_b64 v24, v[16:17]
	s_wait_xcnt 0x0
	s_or_b32 exec_lo, exec_lo, s20
	s_and_saveexec_b32 s20, s29
	s_cbranch_execz .LBB166_8
.LBB166_12:                             ;   in Loop: Header=BB166_4 Depth=1
	ds_store_b64 v20, v[4:5]
	s_or_b32 exec_lo, exec_lo, s20
	s_delay_alu instid0(SALU_CYCLE_1)
	s_and_b32 vcc_lo, exec_lo, s28
	s_cbranch_vccnz .LBB166_9
.LBB166_13:                             ;   in Loop: Header=BB166_4 Depth=1
	s_mov_b32 s20, 0
.LBB166_14:                             ;   in Loop: Header=BB166_4 Depth=1
	s_delay_alu instid0(SALU_CYCLE_1) | instskip(SKIP_1) | instid1(SALU_CYCLE_1)
	s_and_not1_b32 s20, s20, exec_lo
	s_and_b32 s21, s1, exec_lo
	s_or_b32 s20, s20, s21
.LBB166_15:                             ;   in Loop: Header=BB166_4 Depth=1
	s_delay_alu instid0(SALU_CYCLE_1)
	s_and_saveexec_b32 s21, s20
; %bb.16:                               ;   in Loop: Header=BB166_4 Depth=1
	ds_store_b64 v20, v[0:1]
; %bb.17:                               ;   in Loop: Header=BB166_4 Depth=1
	s_or_b32 exec_lo, exec_lo, s21
	s_wait_loadcnt_dscnt 0x0
	s_barrier_signal -1
	s_barrier_wait -1
	s_and_saveexec_b32 s20, s27
	s_cbranch_execz .LBB166_2
; %bb.18:                               ;   in Loop: Header=BB166_4 Depth=1
	ds_load_2addr_b64 v[28:31], v18 offset1:32
	ds_load_2addr_b64 v[32:35], v19 offset1:32
	v_add_nc_u64_e32 v[14:15], s[16:17], v[14:15]
	s_delay_alu instid0(VALU_DEP_1) | instskip(NEXT) | instid1(VALU_DEP_1)
	v_add_nc_u64_e32 v[14:15], s[14:15], v[14:15]
	v_lshl_add_u64 v[14:15], v[10:11], 3, v[14:15]
	s_delay_alu instid0(VALU_DEP_1) | instskip(SKIP_2) | instid1(VALU_DEP_1)
	v_add_nc_u64_e32 v[14:15], v[14:15], v[2:3]
	s_wait_dscnt 0x0
	v_fma_f64 v[16:17], v[28:29], v[32:33], 0
	v_fmac_f64_e32 v[16:17], v[30:31], v[34:35]
	ds_load_2addr_b64 v[28:31], v18 offset0:64 offset1:96
	ds_load_2addr_b64 v[32:35], v19 offset0:64 offset1:96
	s_wait_dscnt 0x0
	v_fmac_f64_e32 v[16:17], v[28:29], v[32:33]
	s_delay_alu instid0(VALU_DEP_1) | instskip(SKIP_4) | instid1(VALU_DEP_1)
	v_fmac_f64_e32 v[16:17], v[30:31], v[34:35]
	ds_load_2addr_b64 v[28:31], v18 offset0:128 offset1:160
	ds_load_2addr_b64 v[32:35], v19 offset0:128 offset1:160
	s_wait_dscnt 0x0
	v_fmac_f64_e32 v[16:17], v[28:29], v[32:33]
	v_fmac_f64_e32 v[16:17], v[30:31], v[34:35]
	ds_load_2addr_b64 v[28:31], v18 offset0:192 offset1:224
	ds_load_2addr_b64 v[32:35], v19 offset0:192 offset1:224
	s_wait_dscnt 0x0
	v_fmac_f64_e32 v[16:17], v[28:29], v[32:33]
	s_delay_alu instid0(VALU_DEP_1) | instskip(SKIP_4) | instid1(VALU_DEP_1)
	v_fmac_f64_e32 v[16:17], v[30:31], v[34:35]
	ds_load_2addr_b64 v[28:31], v21 offset1:32
	ds_load_2addr_b64 v[32:35], v22 offset1:32
	s_wait_dscnt 0x0
	v_fmac_f64_e32 v[16:17], v[28:29], v[32:33]
	v_fmac_f64_e32 v[16:17], v[30:31], v[34:35]
	ds_load_2addr_b64 v[28:31], v21 offset0:64 offset1:96
	ds_load_2addr_b64 v[32:35], v22 offset0:64 offset1:96
	s_wait_dscnt 0x0
	v_fmac_f64_e32 v[16:17], v[28:29], v[32:33]
	s_delay_alu instid0(VALU_DEP_1) | instskip(SKIP_4) | instid1(VALU_DEP_1)
	v_fmac_f64_e32 v[16:17], v[30:31], v[34:35]
	ds_load_2addr_b64 v[28:31], v21 offset0:128 offset1:160
	ds_load_2addr_b64 v[32:35], v22 offset0:128 offset1:160
	s_wait_dscnt 0x0
	v_fmac_f64_e32 v[16:17], v[28:29], v[32:33]
	v_fmac_f64_e32 v[16:17], v[30:31], v[34:35]
	ds_load_2addr_b64 v[28:31], v21 offset0:192 offset1:224
	ds_load_2addr_b64 v[32:35], v22 offset0:192 offset1:224
	s_wait_dscnt 0x0
	v_fmac_f64_e32 v[16:17], v[28:29], v[32:33]
	s_delay_alu instid0(VALU_DEP_1) | instskip(SKIP_4) | instid1(VALU_DEP_1)
	v_fmac_f64_e32 v[16:17], v[30:31], v[34:35]
	ds_load_2addr_b64 v[28:31], v23 offset1:32
	ds_load_2addr_b64 v[32:35], v25 offset1:32
	s_wait_dscnt 0x0
	v_fmac_f64_e32 v[16:17], v[28:29], v[32:33]
	;; [unrolled: 22-line block ×3, first 2 shown]
	v_fmac_f64_e32 v[16:17], v[30:31], v[34:35]
	ds_load_2addr_b64 v[28:31], v26 offset0:64 offset1:96
	ds_load_2addr_b64 v[32:35], v27 offset0:64 offset1:96
	s_wait_dscnt 0x0
	v_fmac_f64_e32 v[16:17], v[28:29], v[32:33]
	s_delay_alu instid0(VALU_DEP_1) | instskip(SKIP_4) | instid1(VALU_DEP_1)
	v_fmac_f64_e32 v[16:17], v[30:31], v[34:35]
	ds_load_2addr_b64 v[28:31], v26 offset0:128 offset1:160
	ds_load_2addr_b64 v[32:35], v27 offset0:128 offset1:160
	s_wait_dscnt 0x0
	v_fmac_f64_e32 v[16:17], v[28:29], v[32:33]
	v_fmac_f64_e32 v[16:17], v[30:31], v[34:35]
	ds_load_2addr_b64 v[28:31], v26 offset0:192 offset1:224
	ds_load_2addr_b64 v[32:35], v27 offset0:192 offset1:224
	s_wait_dscnt 0x0
	v_fmac_f64_e32 v[16:17], v[28:29], v[32:33]
	s_delay_alu instid0(VALU_DEP_1) | instskip(NEXT) | instid1(VALU_DEP_1)
	v_fmac_f64_e32 v[16:17], v[30:31], v[34:35]
	v_mul_f64_e32 v[12:13], v[12:13], v[16:17]
	flat_store_b64 v[14:15], v[12:13]
	s_branch .LBB166_2
.LBB166_19:
	s_endpgm
	.section	.rodata,"a",@progbits
	.p2align	6, 0x0
	.amdhsa_kernel _ZL23rocblas_trmm_rTx_kernelILi32ELb1EdPKdKS1_KPdEv13rocblas_fill_17rocblas_diagonal_iiT2_lPT3_llS9_llPT4_lli
		.amdhsa_group_segment_fixed_size 16384
		.amdhsa_private_segment_fixed_size 0
		.amdhsa_kernarg_size 108
		.amdhsa_user_sgpr_count 2
		.amdhsa_user_sgpr_dispatch_ptr 0
		.amdhsa_user_sgpr_queue_ptr 0
		.amdhsa_user_sgpr_kernarg_segment_ptr 1
		.amdhsa_user_sgpr_dispatch_id 0
		.amdhsa_user_sgpr_kernarg_preload_length 0
		.amdhsa_user_sgpr_kernarg_preload_offset 0
		.amdhsa_user_sgpr_private_segment_size 0
		.amdhsa_wavefront_size32 1
		.amdhsa_uses_dynamic_stack 0
		.amdhsa_enable_private_segment 0
		.amdhsa_system_sgpr_workgroup_id_x 1
		.amdhsa_system_sgpr_workgroup_id_y 0
		.amdhsa_system_sgpr_workgroup_id_z 1
		.amdhsa_system_sgpr_workgroup_info 0
		.amdhsa_system_vgpr_workitem_id 1
		.amdhsa_next_free_vgpr 36
		.amdhsa_next_free_sgpr 36
		.amdhsa_named_barrier_count 0
		.amdhsa_reserve_vcc 1
		.amdhsa_float_round_mode_32 0
		.amdhsa_float_round_mode_16_64 0
		.amdhsa_float_denorm_mode_32 3
		.amdhsa_float_denorm_mode_16_64 3
		.amdhsa_fp16_overflow 0
		.amdhsa_memory_ordered 1
		.amdhsa_forward_progress 1
		.amdhsa_inst_pref_size 11
		.amdhsa_round_robin_scheduling 0
		.amdhsa_exception_fp_ieee_invalid_op 0
		.amdhsa_exception_fp_denorm_src 0
		.amdhsa_exception_fp_ieee_div_zero 0
		.amdhsa_exception_fp_ieee_overflow 0
		.amdhsa_exception_fp_ieee_underflow 0
		.amdhsa_exception_fp_ieee_inexact 0
		.amdhsa_exception_int_div_zero 0
	.end_amdhsa_kernel
	.section	.text._ZL23rocblas_trmm_rTx_kernelILi32ELb1EdPKdKS1_KPdEv13rocblas_fill_17rocblas_diagonal_iiT2_lPT3_llS9_llPT4_lli,"axG",@progbits,_ZL23rocblas_trmm_rTx_kernelILi32ELb1EdPKdKS1_KPdEv13rocblas_fill_17rocblas_diagonal_iiT2_lPT3_llS9_llPT4_lli,comdat
.Lfunc_end166:
	.size	_ZL23rocblas_trmm_rTx_kernelILi32ELb1EdPKdKS1_KPdEv13rocblas_fill_17rocblas_diagonal_iiT2_lPT3_llS9_llPT4_lli, .Lfunc_end166-_ZL23rocblas_trmm_rTx_kernelILi32ELb1EdPKdKS1_KPdEv13rocblas_fill_17rocblas_diagonal_iiT2_lPT3_llS9_llPT4_lli
                                        ; -- End function
	.set _ZL23rocblas_trmm_rTx_kernelILi32ELb1EdPKdKS1_KPdEv13rocblas_fill_17rocblas_diagonal_iiT2_lPT3_llS9_llPT4_lli.num_vgpr, 36
	.set _ZL23rocblas_trmm_rTx_kernelILi32ELb1EdPKdKS1_KPdEv13rocblas_fill_17rocblas_diagonal_iiT2_lPT3_llS9_llPT4_lli.num_agpr, 0
	.set _ZL23rocblas_trmm_rTx_kernelILi32ELb1EdPKdKS1_KPdEv13rocblas_fill_17rocblas_diagonal_iiT2_lPT3_llS9_llPT4_lli.numbered_sgpr, 36
	.set _ZL23rocblas_trmm_rTx_kernelILi32ELb1EdPKdKS1_KPdEv13rocblas_fill_17rocblas_diagonal_iiT2_lPT3_llS9_llPT4_lli.num_named_barrier, 0
	.set _ZL23rocblas_trmm_rTx_kernelILi32ELb1EdPKdKS1_KPdEv13rocblas_fill_17rocblas_diagonal_iiT2_lPT3_llS9_llPT4_lli.private_seg_size, 0
	.set _ZL23rocblas_trmm_rTx_kernelILi32ELb1EdPKdKS1_KPdEv13rocblas_fill_17rocblas_diagonal_iiT2_lPT3_llS9_llPT4_lli.uses_vcc, 1
	.set _ZL23rocblas_trmm_rTx_kernelILi32ELb1EdPKdKS1_KPdEv13rocblas_fill_17rocblas_diagonal_iiT2_lPT3_llS9_llPT4_lli.uses_flat_scratch, 0
	.set _ZL23rocblas_trmm_rTx_kernelILi32ELb1EdPKdKS1_KPdEv13rocblas_fill_17rocblas_diagonal_iiT2_lPT3_llS9_llPT4_lli.has_dyn_sized_stack, 0
	.set _ZL23rocblas_trmm_rTx_kernelILi32ELb1EdPKdKS1_KPdEv13rocblas_fill_17rocblas_diagonal_iiT2_lPT3_llS9_llPT4_lli.has_recursion, 0
	.set _ZL23rocblas_trmm_rTx_kernelILi32ELb1EdPKdKS1_KPdEv13rocblas_fill_17rocblas_diagonal_iiT2_lPT3_llS9_llPT4_lli.has_indirect_call, 0
	.section	.AMDGPU.csdata,"",@progbits
; Kernel info:
; codeLenInByte = 1396
; TotalNumSgprs: 38
; NumVgprs: 36
; ScratchSize: 0
; MemoryBound: 0
; FloatMode: 240
; IeeeMode: 1
; LDSByteSize: 16384 bytes/workgroup (compile time only)
; SGPRBlocks: 0
; VGPRBlocks: 2
; NumSGPRsForWavesPerEU: 38
; NumVGPRsForWavesPerEU: 36
; NamedBarCnt: 0
; Occupancy: 16
; WaveLimiterHint : 1
; COMPUTE_PGM_RSRC2:SCRATCH_EN: 0
; COMPUTE_PGM_RSRC2:USER_SGPR: 2
; COMPUTE_PGM_RSRC2:TRAP_HANDLER: 0
; COMPUTE_PGM_RSRC2:TGID_X_EN: 1
; COMPUTE_PGM_RSRC2:TGID_Y_EN: 0
; COMPUTE_PGM_RSRC2:TGID_Z_EN: 1
; COMPUTE_PGM_RSRC2:TIDIG_COMP_CNT: 1
	.section	.text._ZL23rocblas_trmm_rTx_kernelILi32ELb1EddKPKdKPdEv13rocblas_fill_17rocblas_diagonal_iiT2_lPT3_llS9_llPT4_lli,"axG",@progbits,_ZL23rocblas_trmm_rTx_kernelILi32ELb1EddKPKdKPdEv13rocblas_fill_17rocblas_diagonal_iiT2_lPT3_llS9_llPT4_lli,comdat
	.globl	_ZL23rocblas_trmm_rTx_kernelILi32ELb1EddKPKdKPdEv13rocblas_fill_17rocblas_diagonal_iiT2_lPT3_llS9_llPT4_lli ; -- Begin function _ZL23rocblas_trmm_rTx_kernelILi32ELb1EddKPKdKPdEv13rocblas_fill_17rocblas_diagonal_iiT2_lPT3_llS9_llPT4_lli
	.p2align	8
	.type	_ZL23rocblas_trmm_rTx_kernelILi32ELb1EddKPKdKPdEv13rocblas_fill_17rocblas_diagonal_iiT2_lPT3_llS9_llPT4_lli,@function
_ZL23rocblas_trmm_rTx_kernelILi32ELb1EddKPKdKPdEv13rocblas_fill_17rocblas_diagonal_iiT2_lPT3_llS9_llPT4_lli: ; @_ZL23rocblas_trmm_rTx_kernelILi32ELb1EddKPKdKPdEv13rocblas_fill_17rocblas_diagonal_iiT2_lPT3_llS9_llPT4_lli
; %bb.0:
	s_load_b32 s33, s[0:1], 0x68
	s_bfe_u32 s2, ttmp6, 0x40014
	s_lshr_b32 s3, ttmp7, 16
	s_add_co_i32 s2, s2, 1
	s_bfe_u32 s5, ttmp6, 0x40008
	s_mul_i32 s4, s3, s2
	s_getreg_b32 s2, hwreg(HW_REG_IB_STS2, 6, 4)
	s_add_co_i32 s5, s5, s4
	s_cmp_eq_u32 s2, 0
	s_mov_b32 s7, 0
	s_cselect_b32 s6, s3, s5
	s_wait_kmcnt 0x0
	s_cmp_ge_u32 s6, s33
	s_cbranch_scc1 .LBB167_19
; %bb.1:
	s_clause 0x3
	s_load_b128 s[24:27], s[0:1], 0x0
	s_load_b64 s[28:29], s[0:1], 0x10
	s_load_b512 s[8:23], s[0:1], 0x20
	s_load_b64 s[30:31], s[0:1], 0x60
	v_bfe_u32 v2, v0, 10, 10
	v_mov_b32_e32 v3, 0
	s_wait_xcnt 0x0
	s_bfe_u32 s0, ttmp6, 0x4000c
	s_and_b32 s3, ttmp6, 15
	s_add_co_i32 s0, s0, 1
	v_lshlrev_b32_e32 v13, 5, v2
	s_mul_i32 s4, ttmp9, s0
	v_and_b32_e32 v12, 0x3ff, v0
	s_add_co_i32 s3, s3, s4
	v_lshlrev_b32_e32 v17, 3, v2
	v_mov_b64_e32 v[0:1], 0
	v_mov_b64_e32 v[4:5], 1.0
	v_cmp_eq_u32_e32 vcc_lo, v2, v12
	v_lshl_add_u32 v16, v12, 3, 0x2000
	v_add_lshl_u32 v18, v13, v12, 3
	v_cmp_lt_u32_e64 s0, v12, v2
	s_wait_kmcnt 0x0
	s_add_co_i32 s5, s26, -1
	v_cmp_gt_u32_e64 s1, v12, v2
	s_ashr_i32 s34, s5, 31
	v_mul_u64_e32 v[6:7], s[10:11], v[2:3]
	v_mul_u64_e32 v[8:9], s[16:17], v[2:3]
	;; [unrolled: 1-line block ×3, first 2 shown]
	v_cmp_neq_f64_e64 s22, s[28:29], 0
	s_lshr_b32 s4, s34, 27
	v_add_nc_u32_e32 v19, 0x800, v16
	s_add_co_i32 s4, s5, s4
	v_add_nc_u32_e32 v20, 0x2000, v18
	s_and_b32 s5, s4, 0xffffffe0
	s_ashr_i32 s4, s4, 5
	s_sub_co_i32 s5, s26, s5
	s_cmp_eq_u32 s2, 0
	v_cmp_gt_i32_e64 s2, s27, v2
	s_cselect_b32 s10, ttmp9, s3
	v_cmp_gt_i32_e64 s3, s27, v12
	s_cmp_ge_i32 s10, s4
	v_lshlrev_b32_e32 v2, 3, v12
	s_cselect_b32 s4, s5, 32
	s_lshl_b32 s10, s10, 5
	v_cmp_gt_i32_e64 s4, s4, v12
	s_and_b32 s16, s2, s3
	s_ashr_i32 s11, s10, 31
	v_add_nc_u32_e32 v21, 0x800, v17
	v_add_nc_u32_e32 v22, 0x1000, v16
	s_and_b32 s17, s2, s4
	s_cmp_eq_u32 s25, 0x84
	v_add_nc_u32_e32 v23, 0x1000, v17
	s_cselect_b32 s2, -1, 0
	v_add_nc_u32_e32 v24, 0x1800, v16
	s_and_b32 s23, vcc_lo, s2
	v_add_nc_u32_e32 v25, 0x1800, v17
	s_cmp_lg_u32 s24, 0x79
	s_cselect_b32 s24, -1, 0
	s_lshl_b64 s[2:3], s[12:13], 3
	s_lshl_b64 s[4:5], s[18:19], 3
	;; [unrolled: 1-line block ×4, first 2 shown]
	s_branch .LBB167_4
.LBB167_2:                              ;   in Loop: Header=BB167_4 Depth=1
	s_wait_xcnt 0x0
	s_or_b32 exec_lo, exec_lo, s18
.LBB167_3:                              ;   in Loop: Header=BB167_4 Depth=1
	s_add_co_i32 s6, s6, 0x10000
	s_delay_alu instid0(SALU_CYCLE_1)
	s_cmp_lt_u32 s6, s33
	s_cbranch_scc0 .LBB167_19
.LBB167_4:                              ; =>This Inner Loop Header: Depth=1
	s_and_not1_b32 vcc_lo, exec_lo, s22
	s_cbranch_vccnz .LBB167_3
; %bb.5:                                ;   in Loop: Header=BB167_4 Depth=1
	v_mov_b32_e32 v26, s6
	s_clause 0x1
	global_load_b64 v[14:15], v26, s[14:15] scale_offset
	global_load_b64 v[12:13], v26, s[20:21] scale_offset
	ds_store_b64 v18, v[0:1]
	ds_store_b64 v20, v[0:1]
	s_wait_xcnt 0x0
	s_and_saveexec_b32 s18, s16
	s_cbranch_execnz .LBB167_10
; %bb.6:                                ;   in Loop: Header=BB167_4 Depth=1
	s_or_b32 exec_lo, exec_lo, s18
	s_and_saveexec_b32 s18, s17
	s_cbranch_execnz .LBB167_11
.LBB167_7:                              ;   in Loop: Header=BB167_4 Depth=1
	s_or_b32 exec_lo, exec_lo, s18
	s_and_saveexec_b32 s18, s23
	s_cbranch_execnz .LBB167_12
.LBB167_8:                              ;   in Loop: Header=BB167_4 Depth=1
	s_or_b32 exec_lo, exec_lo, s18
	s_delay_alu instid0(SALU_CYCLE_1)
	s_and_b32 vcc_lo, exec_lo, s24
	s_cbranch_vccz .LBB167_13
.LBB167_9:                              ;   in Loop: Header=BB167_4 Depth=1
	s_and_b32 s18, s0, exec_lo
	s_cbranch_execz .LBB167_14
	s_branch .LBB167_15
.LBB167_10:                             ;   in Loop: Header=BB167_4 Depth=1
	s_lshl_b64 s[26:27], s[6:7], 3
	s_delay_alu instid0(SALU_CYCLE_1) | instskip(SKIP_3) | instid1(VALU_DEP_1)
	s_add_nc_u64 s[26:27], s[8:9], s[26:27]
	global_load_b64 v[26:27], v3, s[26:27]
	s_wait_loadcnt 0x0
	v_add_nc_u64_e32 v[26:27], s[2:3], v[26:27]
	v_lshl_add_u64 v[26:27], v[6:7], 3, v[26:27]
	s_delay_alu instid0(VALU_DEP_1)
	v_add_nc_u64_e32 v[26:27], v[26:27], v[2:3]
	flat_load_b64 v[26:27], v[26:27]
	s_wait_loadcnt_dscnt 0x0
	ds_store_b64 v18, v[26:27]
	s_wait_xcnt 0x0
	s_or_b32 exec_lo, exec_lo, s18
	s_and_saveexec_b32 s18, s17
	s_cbranch_execz .LBB167_7
.LBB167_11:                             ;   in Loop: Header=BB167_4 Depth=1
	s_wait_loadcnt 0x1
	v_add_nc_u64_e32 v[14:15], s[4:5], v[14:15]
	s_delay_alu instid0(VALU_DEP_1) | instskip(NEXT) | instid1(VALU_DEP_1)
	v_add_nc_u64_e32 v[14:15], s[10:11], v[14:15]
	v_lshl_add_u64 v[14:15], v[8:9], 3, v[14:15]
	s_delay_alu instid0(VALU_DEP_1)
	v_add_nc_u64_e32 v[14:15], v[14:15], v[2:3]
	flat_load_b64 v[14:15], v[14:15]
	s_wait_loadcnt_dscnt 0x0
	ds_store_b64 v20, v[14:15]
	s_wait_xcnt 0x0
	s_or_b32 exec_lo, exec_lo, s18
	s_and_saveexec_b32 s18, s23
	s_cbranch_execz .LBB167_8
.LBB167_12:                             ;   in Loop: Header=BB167_4 Depth=1
	ds_store_b64 v18, v[4:5]
	s_or_b32 exec_lo, exec_lo, s18
	s_delay_alu instid0(SALU_CYCLE_1)
	s_and_b32 vcc_lo, exec_lo, s24
	s_cbranch_vccnz .LBB167_9
.LBB167_13:                             ;   in Loop: Header=BB167_4 Depth=1
	s_mov_b32 s18, 0
.LBB167_14:                             ;   in Loop: Header=BB167_4 Depth=1
	s_delay_alu instid0(SALU_CYCLE_1) | instskip(SKIP_1) | instid1(SALU_CYCLE_1)
	s_and_not1_b32 s18, s18, exec_lo
	s_and_b32 s19, s1, exec_lo
	s_or_b32 s18, s18, s19
.LBB167_15:                             ;   in Loop: Header=BB167_4 Depth=1
	s_delay_alu instid0(SALU_CYCLE_1)
	s_and_saveexec_b32 s19, s18
; %bb.16:                               ;   in Loop: Header=BB167_4 Depth=1
	ds_store_b64 v18, v[0:1]
; %bb.17:                               ;   in Loop: Header=BB167_4 Depth=1
	s_or_b32 exec_lo, exec_lo, s19
	s_wait_loadcnt_dscnt 0x0
	s_barrier_signal -1
	s_barrier_wait -1
	s_and_saveexec_b32 s18, s17
	s_cbranch_execz .LBB167_2
; %bb.18:                               ;   in Loop: Header=BB167_4 Depth=1
	ds_load_2addr_b64 v[26:29], v16 offset1:32
	ds_load_2addr_b64 v[30:33], v17 offset1:32
	v_add_nc_u64_e32 v[12:13], s[12:13], v[12:13]
	s_delay_alu instid0(VALU_DEP_1) | instskip(NEXT) | instid1(VALU_DEP_1)
	v_add_nc_u64_e32 v[12:13], s[10:11], v[12:13]
	v_lshl_add_u64 v[12:13], v[10:11], 3, v[12:13]
	s_delay_alu instid0(VALU_DEP_1) | instskip(SKIP_2) | instid1(VALU_DEP_1)
	v_add_nc_u64_e32 v[12:13], v[12:13], v[2:3]
	s_wait_dscnt 0x0
	v_fma_f64 v[14:15], v[26:27], v[30:31], 0
	v_fmac_f64_e32 v[14:15], v[28:29], v[32:33]
	ds_load_2addr_b64 v[26:29], v16 offset0:64 offset1:96
	ds_load_2addr_b64 v[30:33], v17 offset0:64 offset1:96
	s_wait_dscnt 0x0
	v_fmac_f64_e32 v[14:15], v[26:27], v[30:31]
	s_delay_alu instid0(VALU_DEP_1) | instskip(SKIP_4) | instid1(VALU_DEP_1)
	v_fmac_f64_e32 v[14:15], v[28:29], v[32:33]
	ds_load_2addr_b64 v[26:29], v16 offset0:128 offset1:160
	ds_load_2addr_b64 v[30:33], v17 offset0:128 offset1:160
	s_wait_dscnt 0x0
	v_fmac_f64_e32 v[14:15], v[26:27], v[30:31]
	v_fmac_f64_e32 v[14:15], v[28:29], v[32:33]
	ds_load_2addr_b64 v[26:29], v16 offset0:192 offset1:224
	ds_load_2addr_b64 v[30:33], v17 offset0:192 offset1:224
	s_wait_dscnt 0x0
	v_fmac_f64_e32 v[14:15], v[26:27], v[30:31]
	s_delay_alu instid0(VALU_DEP_1) | instskip(SKIP_4) | instid1(VALU_DEP_1)
	v_fmac_f64_e32 v[14:15], v[28:29], v[32:33]
	ds_load_2addr_b64 v[26:29], v19 offset1:32
	ds_load_2addr_b64 v[30:33], v21 offset1:32
	s_wait_dscnt 0x0
	v_fmac_f64_e32 v[14:15], v[26:27], v[30:31]
	v_fmac_f64_e32 v[14:15], v[28:29], v[32:33]
	ds_load_2addr_b64 v[26:29], v19 offset0:64 offset1:96
	ds_load_2addr_b64 v[30:33], v21 offset0:64 offset1:96
	s_wait_dscnt 0x0
	v_fmac_f64_e32 v[14:15], v[26:27], v[30:31]
	s_delay_alu instid0(VALU_DEP_1) | instskip(SKIP_4) | instid1(VALU_DEP_1)
	v_fmac_f64_e32 v[14:15], v[28:29], v[32:33]
	ds_load_2addr_b64 v[26:29], v19 offset0:128 offset1:160
	ds_load_2addr_b64 v[30:33], v21 offset0:128 offset1:160
	s_wait_dscnt 0x0
	v_fmac_f64_e32 v[14:15], v[26:27], v[30:31]
	v_fmac_f64_e32 v[14:15], v[28:29], v[32:33]
	ds_load_2addr_b64 v[26:29], v19 offset0:192 offset1:224
	ds_load_2addr_b64 v[30:33], v21 offset0:192 offset1:224
	s_wait_dscnt 0x0
	v_fmac_f64_e32 v[14:15], v[26:27], v[30:31]
	s_delay_alu instid0(VALU_DEP_1) | instskip(SKIP_4) | instid1(VALU_DEP_1)
	v_fmac_f64_e32 v[14:15], v[28:29], v[32:33]
	ds_load_2addr_b64 v[26:29], v22 offset1:32
	ds_load_2addr_b64 v[30:33], v23 offset1:32
	s_wait_dscnt 0x0
	v_fmac_f64_e32 v[14:15], v[26:27], v[30:31]
	;; [unrolled: 22-line block ×3, first 2 shown]
	v_fmac_f64_e32 v[14:15], v[28:29], v[32:33]
	ds_load_2addr_b64 v[26:29], v24 offset0:64 offset1:96
	ds_load_2addr_b64 v[30:33], v25 offset0:64 offset1:96
	s_wait_dscnt 0x0
	v_fmac_f64_e32 v[14:15], v[26:27], v[30:31]
	s_delay_alu instid0(VALU_DEP_1) | instskip(SKIP_4) | instid1(VALU_DEP_1)
	v_fmac_f64_e32 v[14:15], v[28:29], v[32:33]
	ds_load_2addr_b64 v[26:29], v24 offset0:128 offset1:160
	ds_load_2addr_b64 v[30:33], v25 offset0:128 offset1:160
	s_wait_dscnt 0x0
	v_fmac_f64_e32 v[14:15], v[26:27], v[30:31]
	v_fmac_f64_e32 v[14:15], v[28:29], v[32:33]
	ds_load_2addr_b64 v[26:29], v24 offset0:192 offset1:224
	ds_load_2addr_b64 v[30:33], v25 offset0:192 offset1:224
	s_wait_dscnt 0x0
	v_fmac_f64_e32 v[14:15], v[26:27], v[30:31]
	s_delay_alu instid0(VALU_DEP_1) | instskip(NEXT) | instid1(VALU_DEP_1)
	v_fmac_f64_e32 v[14:15], v[28:29], v[32:33]
	v_mul_f64_e32 v[14:15], s[28:29], v[14:15]
	flat_store_b64 v[12:13], v[14:15]
	s_branch .LBB167_2
.LBB167_19:
	s_endpgm
	.section	.rodata,"a",@progbits
	.p2align	6, 0x0
	.amdhsa_kernel _ZL23rocblas_trmm_rTx_kernelILi32ELb1EddKPKdKPdEv13rocblas_fill_17rocblas_diagonal_iiT2_lPT3_llS9_llPT4_lli
		.amdhsa_group_segment_fixed_size 16384
		.amdhsa_private_segment_fixed_size 0
		.amdhsa_kernarg_size 108
		.amdhsa_user_sgpr_count 2
		.amdhsa_user_sgpr_dispatch_ptr 0
		.amdhsa_user_sgpr_queue_ptr 0
		.amdhsa_user_sgpr_kernarg_segment_ptr 1
		.amdhsa_user_sgpr_dispatch_id 0
		.amdhsa_user_sgpr_kernarg_preload_length 0
		.amdhsa_user_sgpr_kernarg_preload_offset 0
		.amdhsa_user_sgpr_private_segment_size 0
		.amdhsa_wavefront_size32 1
		.amdhsa_uses_dynamic_stack 0
		.amdhsa_enable_private_segment 0
		.amdhsa_system_sgpr_workgroup_id_x 1
		.amdhsa_system_sgpr_workgroup_id_y 0
		.amdhsa_system_sgpr_workgroup_id_z 1
		.amdhsa_system_sgpr_workgroup_info 0
		.amdhsa_system_vgpr_workitem_id 1
		.amdhsa_next_free_vgpr 34
		.amdhsa_next_free_sgpr 35
		.amdhsa_named_barrier_count 0
		.amdhsa_reserve_vcc 1
		.amdhsa_float_round_mode_32 0
		.amdhsa_float_round_mode_16_64 0
		.amdhsa_float_denorm_mode_32 3
		.amdhsa_float_denorm_mode_16_64 3
		.amdhsa_fp16_overflow 0
		.amdhsa_memory_ordered 1
		.amdhsa_forward_progress 1
		.amdhsa_inst_pref_size 11
		.amdhsa_round_robin_scheduling 0
		.amdhsa_exception_fp_ieee_invalid_op 0
		.amdhsa_exception_fp_denorm_src 0
		.amdhsa_exception_fp_ieee_div_zero 0
		.amdhsa_exception_fp_ieee_overflow 0
		.amdhsa_exception_fp_ieee_underflow 0
		.amdhsa_exception_fp_ieee_inexact 0
		.amdhsa_exception_int_div_zero 0
	.end_amdhsa_kernel
	.section	.text._ZL23rocblas_trmm_rTx_kernelILi32ELb1EddKPKdKPdEv13rocblas_fill_17rocblas_diagonal_iiT2_lPT3_llS9_llPT4_lli,"axG",@progbits,_ZL23rocblas_trmm_rTx_kernelILi32ELb1EddKPKdKPdEv13rocblas_fill_17rocblas_diagonal_iiT2_lPT3_llS9_llPT4_lli,comdat
.Lfunc_end167:
	.size	_ZL23rocblas_trmm_rTx_kernelILi32ELb1EddKPKdKPdEv13rocblas_fill_17rocblas_diagonal_iiT2_lPT3_llS9_llPT4_lli, .Lfunc_end167-_ZL23rocblas_trmm_rTx_kernelILi32ELb1EddKPKdKPdEv13rocblas_fill_17rocblas_diagonal_iiT2_lPT3_llS9_llPT4_lli
                                        ; -- End function
	.set _ZL23rocblas_trmm_rTx_kernelILi32ELb1EddKPKdKPdEv13rocblas_fill_17rocblas_diagonal_iiT2_lPT3_llS9_llPT4_lli.num_vgpr, 34
	.set _ZL23rocblas_trmm_rTx_kernelILi32ELb1EddKPKdKPdEv13rocblas_fill_17rocblas_diagonal_iiT2_lPT3_llS9_llPT4_lli.num_agpr, 0
	.set _ZL23rocblas_trmm_rTx_kernelILi32ELb1EddKPKdKPdEv13rocblas_fill_17rocblas_diagonal_iiT2_lPT3_llS9_llPT4_lli.numbered_sgpr, 35
	.set _ZL23rocblas_trmm_rTx_kernelILi32ELb1EddKPKdKPdEv13rocblas_fill_17rocblas_diagonal_iiT2_lPT3_llS9_llPT4_lli.num_named_barrier, 0
	.set _ZL23rocblas_trmm_rTx_kernelILi32ELb1EddKPKdKPdEv13rocblas_fill_17rocblas_diagonal_iiT2_lPT3_llS9_llPT4_lli.private_seg_size, 0
	.set _ZL23rocblas_trmm_rTx_kernelILi32ELb1EddKPKdKPdEv13rocblas_fill_17rocblas_diagonal_iiT2_lPT3_llS9_llPT4_lli.uses_vcc, 1
	.set _ZL23rocblas_trmm_rTx_kernelILi32ELb1EddKPKdKPdEv13rocblas_fill_17rocblas_diagonal_iiT2_lPT3_llS9_llPT4_lli.uses_flat_scratch, 0
	.set _ZL23rocblas_trmm_rTx_kernelILi32ELb1EddKPKdKPdEv13rocblas_fill_17rocblas_diagonal_iiT2_lPT3_llS9_llPT4_lli.has_dyn_sized_stack, 0
	.set _ZL23rocblas_trmm_rTx_kernelILi32ELb1EddKPKdKPdEv13rocblas_fill_17rocblas_diagonal_iiT2_lPT3_llS9_llPT4_lli.has_recursion, 0
	.set _ZL23rocblas_trmm_rTx_kernelILi32ELb1EddKPKdKPdEv13rocblas_fill_17rocblas_diagonal_iiT2_lPT3_llS9_llPT4_lli.has_indirect_call, 0
	.section	.AMDGPU.csdata,"",@progbits
; Kernel info:
; codeLenInByte = 1356
; TotalNumSgprs: 37
; NumVgprs: 34
; ScratchSize: 0
; MemoryBound: 0
; FloatMode: 240
; IeeeMode: 1
; LDSByteSize: 16384 bytes/workgroup (compile time only)
; SGPRBlocks: 0
; VGPRBlocks: 2
; NumSGPRsForWavesPerEU: 37
; NumVGPRsForWavesPerEU: 34
; NamedBarCnt: 0
; Occupancy: 16
; WaveLimiterHint : 1
; COMPUTE_PGM_RSRC2:SCRATCH_EN: 0
; COMPUTE_PGM_RSRC2:USER_SGPR: 2
; COMPUTE_PGM_RSRC2:TRAP_HANDLER: 0
; COMPUTE_PGM_RSRC2:TGID_X_EN: 1
; COMPUTE_PGM_RSRC2:TGID_Y_EN: 0
; COMPUTE_PGM_RSRC2:TGID_Z_EN: 1
; COMPUTE_PGM_RSRC2:TIDIG_COMP_CNT: 1
	.section	.text._ZL23rocblas_trmm_lNx_kernelILi16E19rocblas_complex_numIfEPKS1_KS3_KPS1_Ev13rocblas_fill_17rocblas_diagonal_iiT1_lPT2_llSB_llPT3_lli,"axG",@progbits,_ZL23rocblas_trmm_lNx_kernelILi16E19rocblas_complex_numIfEPKS1_KS3_KPS1_Ev13rocblas_fill_17rocblas_diagonal_iiT1_lPT2_llSB_llPT3_lli,comdat
	.globl	_ZL23rocblas_trmm_lNx_kernelILi16E19rocblas_complex_numIfEPKS1_KS3_KPS1_Ev13rocblas_fill_17rocblas_diagonal_iiT1_lPT2_llSB_llPT3_lli ; -- Begin function _ZL23rocblas_trmm_lNx_kernelILi16E19rocblas_complex_numIfEPKS1_KS3_KPS1_Ev13rocblas_fill_17rocblas_diagonal_iiT1_lPT2_llSB_llPT3_lli
	.p2align	8
	.type	_ZL23rocblas_trmm_lNx_kernelILi16E19rocblas_complex_numIfEPKS1_KS3_KPS1_Ev13rocblas_fill_17rocblas_diagonal_iiT1_lPT2_llSB_llPT3_lli,@function
_ZL23rocblas_trmm_lNx_kernelILi16E19rocblas_complex_numIfEPKS1_KS3_KPS1_Ev13rocblas_fill_17rocblas_diagonal_iiT1_lPT2_llSB_llPT3_lli: ; @_ZL23rocblas_trmm_lNx_kernelILi16E19rocblas_complex_numIfEPKS1_KS3_KPS1_Ev13rocblas_fill_17rocblas_diagonal_iiT1_lPT2_llSB_llPT3_lli
; %bb.0:
	s_load_b32 s33, s[0:1], 0x68
	s_bfe_u32 s2, ttmp6, 0x40014
	s_lshr_b32 s3, ttmp7, 16
	s_add_co_i32 s2, s2, 1
	s_bfe_u32 s5, ttmp6, 0x40008
	s_mul_i32 s4, s3, s2
	s_getreg_b32 s2, hwreg(HW_REG_IB_STS2, 6, 4)
	s_add_co_i32 s5, s5, s4
	s_cmp_eq_u32 s2, 0
	s_mov_b32 s7, 0
	s_cselect_b32 s6, s3, s5
	s_wait_kmcnt 0x0
	s_cmp_ge_u32 s6, s33
	s_cbranch_scc1 .LBB168_19
; %bb.1:
	s_clause 0x3
	s_load_b128 s[28:31], s[0:1], 0x0
	s_load_b512 s[8:23], s[0:1], 0x10
	s_load_b64 s[34:35], s[0:1], 0x60
	s_load_b128 s[24:27], s[0:1], 0x50
	s_wait_xcnt 0x0
	s_bfe_u32 s0, ttmp6, 0x4000c
	v_bfe_u32 v2, v0, 10, 10
	v_mov_b32_e32 v3, 0
	s_add_co_i32 s0, s0, 1
	s_and_b32 s3, ttmp6, 15
	s_mul_i32 s4, ttmp9, s0
	v_lshlrev_b32_e32 v13, 4, v2
	s_add_co_i32 s3, s3, s4
	v_and_b32_e32 v12, 0x3ff, v0
	v_mov_b64_e32 v[0:1], 0
	v_mov_b64_e32 v[4:5], 0x3f800000
	v_lshl_add_u32 v20, v2, 7, 0x800
	s_delay_alu instid0(VALU_DEP_4)
	v_cmp_eq_u32_e32 vcc_lo, v2, v12
	v_add_lshl_u32 v19, v13, v12, 3
	v_cmp_lt_u32_e64 s0, v12, v2
	s_wait_kmcnt 0x0
	s_add_co_i32 s5, s31, -1
	v_mul_u64_e32 v[6:7], s[14:15], v[2:3]
	s_ashr_i32 s4, s5, 31
	v_mul_u64_e32 v[8:9], s[20:21], v[2:3]
	v_mul_u64_e32 v[10:11], s[26:27], v[2:3]
	s_lshr_b32 s4, s4, 28
	v_cmp_gt_u32_e64 s1, v12, v2
	s_add_co_i32 s5, s5, s4
	v_lshlrev_b32_e32 v18, 3, v12
	s_and_b32 s4, s5, -16
	s_ashr_i32 s5, s5, 4
	s_sub_co_i32 s4, s31, s4
	s_cmp_eq_u32 s2, 0
	v_cmp_gt_i32_e64 s2, s30, v2
	s_cselect_b32 s14, ttmp9, s3
	v_cmp_gt_i32_e64 s3, s30, v12
	s_cmp_ge_i32 s14, s5
	v_add_nc_u32_e32 v21, 0x800, v19
	s_cselect_b32 s4, s4, 16
	s_lshl_b32 s14, s14, 4
	v_cmp_gt_i32_e64 s4, s4, v2
	s_and_b32 s30, s2, s3
	s_ashr_i32 s15, s14, 31
	v_lshlrev_b32_e32 v2, 3, v12
	s_mul_u64 s[36:37], s[26:27], s[14:15]
	s_and_b32 s31, s3, s4
	s_cmp_eq_u32 s29, 0x84
	s_mul_u64 s[2:3], s[20:21], s[14:15]
	s_cselect_b32 s4, -1, 0
	s_delay_alu instid0(SALU_CYCLE_1)
	s_and_b32 s29, vcc_lo, s4
	s_cmp_lg_u32 s28, 0x79
	s_cselect_b32 s26, -1, 0
	s_lshl_b64 s[4:5], s[16:17], 3
	s_lshl_b64 s[14:15], s[22:23], 3
	s_lshl_b64 s[16:17], s[2:3], 3
	s_lshl_b64 s[20:21], s[34:35], 3
	s_lshl_b64 s[22:23], s[36:37], 3
	s_branch .LBB168_4
.LBB168_2:                              ;   in Loop: Header=BB168_4 Depth=1
	s_wait_xcnt 0x0
	s_or_b32 exec_lo, exec_lo, s2
.LBB168_3:                              ;   in Loop: Header=BB168_4 Depth=1
	s_add_co_i32 s6, s6, 0x10000
	s_delay_alu instid0(SALU_CYCLE_1)
	s_cmp_lt_u32 s6, s33
	s_cbranch_scc0 .LBB168_19
.LBB168_4:                              ; =>This Inner Loop Header: Depth=1
	s_mul_u64 s[2:3], s[10:11], s[6:7]
	s_delay_alu instid0(SALU_CYCLE_1) | instskip(NEXT) | instid1(SALU_CYCLE_1)
	s_lshl_b64 s[2:3], s[2:3], 3
	s_add_nc_u64 s[2:3], s[8:9], s[2:3]
	global_load_b64 v[12:13], v3, s[2:3]
	s_wait_loadcnt 0x0
	v_cmp_neq_f32_e32 vcc_lo, 0, v12
	s_wait_xcnt 0x0
	v_cmp_neq_f32_e64 s2, 0, v13
	s_or_b32 s2, vcc_lo, s2
	s_delay_alu instid0(SALU_CYCLE_1)
	s_and_not1_b32 vcc_lo, exec_lo, s2
	s_cbranch_vccnz .LBB168_3
; %bb.5:                                ;   in Loop: Header=BB168_4 Depth=1
	s_lshl_b64 s[2:3], s[6:7], 3
	s_delay_alu instid0(SALU_CYCLE_1)
	s_add_nc_u64 s[34:35], s[18:19], s[2:3]
	s_add_nc_u64 s[36:37], s[24:25], s[2:3]
	s_clause 0x1
	global_load_b64 v[16:17], v3, s[34:35]
	global_load_b64 v[14:15], v3, s[36:37]
	ds_store_b64 v19, v[0:1]
	ds_store_b64 v21, v[0:1]
	s_wait_xcnt 0x0
	s_and_saveexec_b32 s27, s30
	s_cbranch_execnz .LBB168_10
; %bb.6:                                ;   in Loop: Header=BB168_4 Depth=1
	s_or_b32 exec_lo, exec_lo, s27
	s_and_saveexec_b32 s2, s31
	s_cbranch_execnz .LBB168_11
.LBB168_7:                              ;   in Loop: Header=BB168_4 Depth=1
	s_or_b32 exec_lo, exec_lo, s2
	s_and_saveexec_b32 s2, s29
	s_cbranch_execnz .LBB168_12
.LBB168_8:                              ;   in Loop: Header=BB168_4 Depth=1
	s_or_b32 exec_lo, exec_lo, s2
	s_delay_alu instid0(SALU_CYCLE_1)
	s_and_b32 vcc_lo, exec_lo, s26
	s_cbranch_vccz .LBB168_13
.LBB168_9:                              ;   in Loop: Header=BB168_4 Depth=1
	s_and_b32 s2, s0, exec_lo
	s_cbranch_execz .LBB168_14
	s_branch .LBB168_15
.LBB168_10:                             ;   in Loop: Header=BB168_4 Depth=1
	s_add_nc_u64 s[2:3], s[12:13], s[2:3]
	global_load_b64 v[22:23], v3, s[2:3]
	s_wait_loadcnt 0x0
	v_add_nc_u64_e32 v[22:23], s[4:5], v[22:23]
	s_delay_alu instid0(VALU_DEP_1) | instskip(NEXT) | instid1(VALU_DEP_1)
	v_lshl_add_u64 v[22:23], v[6:7], 3, v[22:23]
	v_add_nc_u64_e32 v[22:23], v[22:23], v[2:3]
	flat_load_b64 v[22:23], v[22:23]
	s_wait_loadcnt_dscnt 0x0
	ds_store_b64 v19, v[22:23]
	s_wait_xcnt 0x0
	s_or_b32 exec_lo, exec_lo, s27
	s_and_saveexec_b32 s2, s31
	s_cbranch_execz .LBB168_7
.LBB168_11:                             ;   in Loop: Header=BB168_4 Depth=1
	s_wait_loadcnt 0x1
	v_add_nc_u64_e32 v[16:17], s[14:15], v[16:17]
	s_delay_alu instid0(VALU_DEP_1) | instskip(NEXT) | instid1(VALU_DEP_1)
	v_add_nc_u64_e32 v[16:17], s[16:17], v[16:17]
	v_lshl_add_u64 v[16:17], v[8:9], 3, v[16:17]
	s_delay_alu instid0(VALU_DEP_1)
	v_add_nc_u64_e32 v[16:17], v[16:17], v[2:3]
	flat_load_b64 v[16:17], v[16:17]
	s_wait_loadcnt_dscnt 0x0
	ds_store_b64 v21, v[16:17]
	s_wait_xcnt 0x0
	s_or_b32 exec_lo, exec_lo, s2
	s_and_saveexec_b32 s2, s29
	s_cbranch_execz .LBB168_8
.LBB168_12:                             ;   in Loop: Header=BB168_4 Depth=1
	ds_store_b64 v19, v[4:5]
	s_or_b32 exec_lo, exec_lo, s2
	s_delay_alu instid0(SALU_CYCLE_1)
	s_and_b32 vcc_lo, exec_lo, s26
	s_cbranch_vccnz .LBB168_9
.LBB168_13:                             ;   in Loop: Header=BB168_4 Depth=1
	s_mov_b32 s2, 0
.LBB168_14:                             ;   in Loop: Header=BB168_4 Depth=1
	s_delay_alu instid0(SALU_CYCLE_1) | instskip(SKIP_1) | instid1(SALU_CYCLE_1)
	s_and_not1_b32 s2, s2, exec_lo
	s_and_b32 s3, s1, exec_lo
	s_or_b32 s2, s2, s3
.LBB168_15:                             ;   in Loop: Header=BB168_4 Depth=1
	s_delay_alu instid0(SALU_CYCLE_1)
	s_and_saveexec_b32 s3, s2
; %bb.16:                               ;   in Loop: Header=BB168_4 Depth=1
	ds_store_b64 v19, v[0:1]
; %bb.17:                               ;   in Loop: Header=BB168_4 Depth=1
	s_or_b32 exec_lo, exec_lo, s3
	s_wait_loadcnt_dscnt 0x0
	s_barrier_signal -1
	s_barrier_wait -1
	s_and_saveexec_b32 s2, s31
	s_cbranch_execz .LBB168_2
; %bb.18:                               ;   in Loop: Header=BB168_4 Depth=1
	ds_load_2addr_b64 v[22:25], v18 offset1:16
	ds_load_b128 v[26:29], v20
	ds_load_b128 v[30:33], v20 offset:16
	ds_load_2addr_b64 v[34:37], v18 offset0:32 offset1:48
	ds_load_b128 v[38:41], v20 offset:32
	ds_load_b128 v[42:45], v20 offset:48
	ds_load_2addr_b64 v[46:49], v18 offset0:64 offset1:80
	ds_load_2addr_b64 v[50:53], v18 offset0:96 offset1:112
	;; [unrolled: 1-line block ×3, first 2 shown]
	ds_load_b128 v[58:61], v20 offset:64
	ds_load_b128 v[62:65], v20 offset:80
	v_add_nc_u64_e32 v[14:15], s[20:21], v[14:15]
	s_delay_alu instid0(VALU_DEP_1)
	v_add_nc_u64_e32 v[14:15], s[22:23], v[14:15]
	s_wait_dscnt 0x9
	v_dual_mul_f32 v16, v26, v23 :: v_dual_mul_f32 v17, v28, v25
	s_wait_dscnt 0x7
	v_dual_mul_f32 v66, v30, v35 :: v_dual_mul_f32 v25, v29, v25
	v_dual_mul_f32 v23, v27, v23 :: v_dual_mul_f32 v67, v32, v37
	s_delay_alu instid0(VALU_DEP_3) | instskip(SKIP_2) | instid1(VALU_DEP_3)
	v_dual_fmac_f32 v16, v27, v22 :: v_dual_fmac_f32 v17, v29, v24
	s_wait_dscnt 0x4
	v_mul_f32_e32 v72, v38, v47
	v_dual_fma_f32 v68, v26, v22, -v23 :: v_dual_fma_f32 v69, v28, v24, -v25
	s_delay_alu instid0(VALU_DEP_3) | instskip(SKIP_2) | instid1(VALU_DEP_3)
	v_dual_add_f32 v16, 0, v16 :: v_dual_fmac_f32 v66, v31, v34
	v_dual_fmac_f32 v67, v33, v36 :: v_dual_mul_f32 v26, v31, v35
	v_mul_f32_e32 v27, v33, v37
	v_dual_add_f32 v16, v16, v17 :: v_dual_add_f32 v17, 0, v68
	ds_load_2addr_b64 v[22:25], v18 offset0:160 offset1:176
	v_dual_mul_f32 v73, v40, v49 :: v_dual_mul_f32 v31, v41, v49
	v_fmac_f32_e32 v72, v39, v46
	v_add_f32_e32 v16, v16, v66
	v_dual_fma_f32 v70, v30, v34, -v26 :: v_dual_fma_f32 v71, v32, v36, -v27
	s_delay_alu instid0(VALU_DEP_4) | instskip(SKIP_3) | instid1(VALU_DEP_3)
	v_dual_mul_f32 v30, v39, v47 :: v_dual_fmac_f32 v73, v41, v48
	v_dual_fma_f32 v47, v40, v48, -v31 :: v_dual_add_f32 v17, v17, v69
	s_wait_dscnt 0x4
	v_mul_f32_e32 v48, v42, v51
	v_dual_add_f32 v16, v16, v67 :: v_dual_fma_f32 v46, v38, v46, -v30
	v_dual_mul_f32 v49, v44, v53 :: v_dual_mul_f32 v51, v43, v51
	s_delay_alu instid0(VALU_DEP_2) | instskip(SKIP_2) | instid1(VALU_DEP_2)
	v_dual_add_f32 v17, v17, v70 :: v_dual_add_f32 v16, v16, v72
	s_wait_dscnt 0x2
	v_dual_mul_f32 v53, v45, v53 :: v_dual_mul_f32 v66, v58, v55
	v_dual_fmac_f32 v48, v43, v50 :: v_dual_add_f32 v17, v17, v71
	s_delay_alu instid0(VALU_DEP_3)
	v_add_f32_e32 v16, v16, v73
	v_dual_mul_f32 v43, v60, v57 :: v_dual_fmac_f32 v49, v45, v52
	ds_load_2addr_b64 v[26:29], v18 offset0:192 offset1:208
	s_wait_dscnt 0x1
	v_dual_add_f32 v17, v17, v46 :: v_dual_mul_f32 v46, v62, v23
	v_dual_add_f32 v16, v16, v48 :: v_dual_fma_f32 v42, v42, v50, -v51
	s_delay_alu instid0(VALU_DEP_2) | instskip(NEXT) | instid1(VALU_DEP_2)
	v_dual_mul_f32 v45, v64, v25 :: v_dual_add_f32 v17, v17, v47
	v_dual_fmac_f32 v66, v59, v54 :: v_dual_add_f32 v16, v16, v49
	ds_load_b128 v[30:33], v20 offset:96
	ds_load_b128 v[34:37], v20 offset:112
	ds_load_2addr_b64 v[38:41], v18 offset0:224 offset1:240
	v_dual_mul_f32 v47, v59, v55 :: v_dual_fma_f32 v44, v44, v52, -v53
	v_dual_fmac_f32 v43, v61, v56 :: v_dual_add_f32 v16, v16, v66
	v_add_f32_e32 v17, v17, v42
	s_delay_alu instid0(VALU_DEP_3) | instskip(NEXT) | instid1(VALU_DEP_3)
	v_dual_mul_f32 v42, v61, v57 :: v_dual_fma_f32 v47, v58, v54, -v47
	v_dual_fmac_f32 v46, v63, v22 :: v_dual_add_f32 v16, v16, v43
	s_delay_alu instid0(VALU_DEP_3) | instskip(NEXT) | instid1(VALU_DEP_3)
	v_dual_add_f32 v17, v17, v44 :: v_dual_mul_f32 v23, v63, v23
	v_fma_f32 v42, v60, v56, -v42
	s_delay_alu instid0(VALU_DEP_3) | instskip(NEXT) | instid1(VALU_DEP_3)
	v_dual_fmac_f32 v45, v65, v24 :: v_dual_add_f32 v16, v16, v46
	v_dual_add_f32 v17, v17, v47 :: v_dual_fma_f32 v22, v62, v22, -v23
	s_wait_dscnt 0x2
	v_dual_mul_f32 v23, v65, v25 :: v_dual_mul_f32 v43, v30, v27
	s_delay_alu instid0(VALU_DEP_2) | instskip(SKIP_2) | instid1(VALU_DEP_4)
	v_dual_add_f32 v16, v16, v45 :: v_dual_add_f32 v17, v17, v42
	v_mul_f32_e32 v25, v32, v29
	v_lshl_add_u64 v[14:15], v[10:11], 3, v[14:15]
	v_fmac_f32_e32 v43, v31, v26
	s_delay_alu instid0(VALU_DEP_4) | instskip(NEXT) | instid1(VALU_DEP_4)
	v_dual_add_f32 v17, v17, v22 :: v_dual_fma_f32 v22, v64, v24, -v23
	v_dual_mul_f32 v23, v31, v27 :: v_dual_fmac_f32 v25, v33, v28
	s_delay_alu instid0(VALU_DEP_3) | instskip(SKIP_1) | instid1(VALU_DEP_3)
	v_add_f32_e32 v16, v16, v43
	s_wait_dscnt 0x0
	v_dual_mul_f32 v24, v34, v39 :: v_dual_add_f32 v17, v17, v22
	s_delay_alu instid0(VALU_DEP_3) | instskip(NEXT) | instid1(VALU_DEP_2)
	v_dual_fma_f32 v22, v30, v26, -v23 :: v_dual_mul_f32 v23, v33, v29
	v_dual_add_f32 v16, v16, v25 :: v_dual_fmac_f32 v24, v35, v38
	v_add_nc_u64_e32 v[14:15], v[14:15], v[2:3]
	s_delay_alu instid0(VALU_DEP_3) | instskip(SKIP_1) | instid1(VALU_DEP_2)
	v_dual_add_f32 v17, v17, v22 :: v_dual_fma_f32 v22, v32, v28, -v23
	v_dual_mul_f32 v23, v35, v39 :: v_dual_mul_f32 v25, v36, v41
	v_dual_add_f32 v16, v16, v24 :: v_dual_add_f32 v17, v17, v22
	s_delay_alu instid0(VALU_DEP_2) | instskip(NEXT) | instid1(VALU_DEP_3)
	v_dual_fma_f32 v22, v34, v38, -v23 :: v_dual_mul_f32 v23, v37, v41
	v_fmac_f32_e32 v25, v37, v40
	s_delay_alu instid0(VALU_DEP_2) | instskip(NEXT) | instid1(VALU_DEP_1)
	v_dual_add_f32 v17, v17, v22 :: v_dual_fma_f32 v22, v36, v40, -v23
	v_dual_add_f32 v16, v16, v25 :: v_dual_add_f32 v22, v17, v22
	s_delay_alu instid0(VALU_DEP_1) | instskip(NEXT) | instid1(VALU_DEP_1)
	v_pk_mul_f32 v[16:17], v[12:13], v[16:17] op_sel:[1,0] op_sel_hi:[0,0]
	v_pk_fma_f32 v[24:25], v[12:13], v[22:23], v[16:17] op_sel_hi:[1,0,1]
	v_pk_fma_f32 v[12:13], v[12:13], v[22:23], v[16:17] neg_lo:[0,0,1] neg_hi:[0,0,1]
	s_delay_alu instid0(VALU_DEP_2)
	v_mov_b32_e32 v13, v25
	flat_store_b64 v[14:15], v[12:13]
	s_branch .LBB168_2
.LBB168_19:
	s_sendmsg sendmsg(MSG_DEALLOC_VGPRS)
	s_endpgm
	.section	.rodata,"a",@progbits
	.p2align	6, 0x0
	.amdhsa_kernel _ZL23rocblas_trmm_lNx_kernelILi16E19rocblas_complex_numIfEPKS1_KS3_KPS1_Ev13rocblas_fill_17rocblas_diagonal_iiT1_lPT2_llSB_llPT3_lli
		.amdhsa_group_segment_fixed_size 4096
		.amdhsa_private_segment_fixed_size 0
		.amdhsa_kernarg_size 108
		.amdhsa_user_sgpr_count 2
		.amdhsa_user_sgpr_dispatch_ptr 0
		.amdhsa_user_sgpr_queue_ptr 0
		.amdhsa_user_sgpr_kernarg_segment_ptr 1
		.amdhsa_user_sgpr_dispatch_id 0
		.amdhsa_user_sgpr_kernarg_preload_length 0
		.amdhsa_user_sgpr_kernarg_preload_offset 0
		.amdhsa_user_sgpr_private_segment_size 0
		.amdhsa_wavefront_size32 1
		.amdhsa_uses_dynamic_stack 0
		.amdhsa_enable_private_segment 0
		.amdhsa_system_sgpr_workgroup_id_x 1
		.amdhsa_system_sgpr_workgroup_id_y 0
		.amdhsa_system_sgpr_workgroup_id_z 1
		.amdhsa_system_sgpr_workgroup_info 0
		.amdhsa_system_vgpr_workitem_id 1
		.amdhsa_next_free_vgpr 74
		.amdhsa_next_free_sgpr 38
		.amdhsa_named_barrier_count 0
		.amdhsa_reserve_vcc 1
		.amdhsa_float_round_mode_32 0
		.amdhsa_float_round_mode_16_64 0
		.amdhsa_float_denorm_mode_32 3
		.amdhsa_float_denorm_mode_16_64 3
		.amdhsa_fp16_overflow 0
		.amdhsa_memory_ordered 1
		.amdhsa_forward_progress 1
		.amdhsa_inst_pref_size 13
		.amdhsa_round_robin_scheduling 0
		.amdhsa_exception_fp_ieee_invalid_op 0
		.amdhsa_exception_fp_denorm_src 0
		.amdhsa_exception_fp_ieee_div_zero 0
		.amdhsa_exception_fp_ieee_overflow 0
		.amdhsa_exception_fp_ieee_underflow 0
		.amdhsa_exception_fp_ieee_inexact 0
		.amdhsa_exception_int_div_zero 0
	.end_amdhsa_kernel
	.section	.text._ZL23rocblas_trmm_lNx_kernelILi16E19rocblas_complex_numIfEPKS1_KS3_KPS1_Ev13rocblas_fill_17rocblas_diagonal_iiT1_lPT2_llSB_llPT3_lli,"axG",@progbits,_ZL23rocblas_trmm_lNx_kernelILi16E19rocblas_complex_numIfEPKS1_KS3_KPS1_Ev13rocblas_fill_17rocblas_diagonal_iiT1_lPT2_llSB_llPT3_lli,comdat
.Lfunc_end168:
	.size	_ZL23rocblas_trmm_lNx_kernelILi16E19rocblas_complex_numIfEPKS1_KS3_KPS1_Ev13rocblas_fill_17rocblas_diagonal_iiT1_lPT2_llSB_llPT3_lli, .Lfunc_end168-_ZL23rocblas_trmm_lNx_kernelILi16E19rocblas_complex_numIfEPKS1_KS3_KPS1_Ev13rocblas_fill_17rocblas_diagonal_iiT1_lPT2_llSB_llPT3_lli
                                        ; -- End function
	.set _ZL23rocblas_trmm_lNx_kernelILi16E19rocblas_complex_numIfEPKS1_KS3_KPS1_Ev13rocblas_fill_17rocblas_diagonal_iiT1_lPT2_llSB_llPT3_lli.num_vgpr, 74
	.set _ZL23rocblas_trmm_lNx_kernelILi16E19rocblas_complex_numIfEPKS1_KS3_KPS1_Ev13rocblas_fill_17rocblas_diagonal_iiT1_lPT2_llSB_llPT3_lli.num_agpr, 0
	.set _ZL23rocblas_trmm_lNx_kernelILi16E19rocblas_complex_numIfEPKS1_KS3_KPS1_Ev13rocblas_fill_17rocblas_diagonal_iiT1_lPT2_llSB_llPT3_lli.numbered_sgpr, 38
	.set _ZL23rocblas_trmm_lNx_kernelILi16E19rocblas_complex_numIfEPKS1_KS3_KPS1_Ev13rocblas_fill_17rocblas_diagonal_iiT1_lPT2_llSB_llPT3_lli.num_named_barrier, 0
	.set _ZL23rocblas_trmm_lNx_kernelILi16E19rocblas_complex_numIfEPKS1_KS3_KPS1_Ev13rocblas_fill_17rocblas_diagonal_iiT1_lPT2_llSB_llPT3_lli.private_seg_size, 0
	.set _ZL23rocblas_trmm_lNx_kernelILi16E19rocblas_complex_numIfEPKS1_KS3_KPS1_Ev13rocblas_fill_17rocblas_diagonal_iiT1_lPT2_llSB_llPT3_lli.uses_vcc, 1
	.set _ZL23rocblas_trmm_lNx_kernelILi16E19rocblas_complex_numIfEPKS1_KS3_KPS1_Ev13rocblas_fill_17rocblas_diagonal_iiT1_lPT2_llSB_llPT3_lli.uses_flat_scratch, 0
	.set _ZL23rocblas_trmm_lNx_kernelILi16E19rocblas_complex_numIfEPKS1_KS3_KPS1_Ev13rocblas_fill_17rocblas_diagonal_iiT1_lPT2_llSB_llPT3_lli.has_dyn_sized_stack, 0
	.set _ZL23rocblas_trmm_lNx_kernelILi16E19rocblas_complex_numIfEPKS1_KS3_KPS1_Ev13rocblas_fill_17rocblas_diagonal_iiT1_lPT2_llSB_llPT3_lli.has_recursion, 0
	.set _ZL23rocblas_trmm_lNx_kernelILi16E19rocblas_complex_numIfEPKS1_KS3_KPS1_Ev13rocblas_fill_17rocblas_diagonal_iiT1_lPT2_llSB_llPT3_lli.has_indirect_call, 0
	.section	.AMDGPU.csdata,"",@progbits
; Kernel info:
; codeLenInByte = 1648
; TotalNumSgprs: 40
; NumVgprs: 74
; ScratchSize: 0
; MemoryBound: 0
; FloatMode: 240
; IeeeMode: 1
; LDSByteSize: 4096 bytes/workgroup (compile time only)
; SGPRBlocks: 0
; VGPRBlocks: 4
; NumSGPRsForWavesPerEU: 40
; NumVGPRsForWavesPerEU: 74
; NamedBarCnt: 0
; Occupancy: 12
; WaveLimiterHint : 1
; COMPUTE_PGM_RSRC2:SCRATCH_EN: 0
; COMPUTE_PGM_RSRC2:USER_SGPR: 2
; COMPUTE_PGM_RSRC2:TRAP_HANDLER: 0
; COMPUTE_PGM_RSRC2:TGID_X_EN: 1
; COMPUTE_PGM_RSRC2:TGID_Y_EN: 0
; COMPUTE_PGM_RSRC2:TGID_Z_EN: 1
; COMPUTE_PGM_RSRC2:TIDIG_COMP_CNT: 1
	.section	.text._ZL23rocblas_trmm_lNx_kernelILi16E19rocblas_complex_numIfES1_KPKS1_KPS1_Ev13rocblas_fill_17rocblas_diagonal_iiT1_lPT2_llSB_llPT3_lli,"axG",@progbits,_ZL23rocblas_trmm_lNx_kernelILi16E19rocblas_complex_numIfES1_KPKS1_KPS1_Ev13rocblas_fill_17rocblas_diagonal_iiT1_lPT2_llSB_llPT3_lli,comdat
	.globl	_ZL23rocblas_trmm_lNx_kernelILi16E19rocblas_complex_numIfES1_KPKS1_KPS1_Ev13rocblas_fill_17rocblas_diagonal_iiT1_lPT2_llSB_llPT3_lli ; -- Begin function _ZL23rocblas_trmm_lNx_kernelILi16E19rocblas_complex_numIfES1_KPKS1_KPS1_Ev13rocblas_fill_17rocblas_diagonal_iiT1_lPT2_llSB_llPT3_lli
	.p2align	8
	.type	_ZL23rocblas_trmm_lNx_kernelILi16E19rocblas_complex_numIfES1_KPKS1_KPS1_Ev13rocblas_fill_17rocblas_diagonal_iiT1_lPT2_llSB_llPT3_lli,@function
_ZL23rocblas_trmm_lNx_kernelILi16E19rocblas_complex_numIfES1_KPKS1_KPS1_Ev13rocblas_fill_17rocblas_diagonal_iiT1_lPT2_llSB_llPT3_lli: ; @_ZL23rocblas_trmm_lNx_kernelILi16E19rocblas_complex_numIfES1_KPKS1_KPS1_Ev13rocblas_fill_17rocblas_diagonal_iiT1_lPT2_llSB_llPT3_lli
; %bb.0:
	s_load_b32 s30, s[0:1], 0x68
	s_bfe_u32 s2, ttmp6, 0x40014
	s_lshr_b32 s3, ttmp7, 16
	s_add_co_i32 s2, s2, 1
	s_bfe_u32 s5, ttmp6, 0x40008
	s_mul_i32 s4, s3, s2
	s_getreg_b32 s2, hwreg(HW_REG_IB_STS2, 6, 4)
	s_add_co_i32 s5, s5, s4
	s_cmp_eq_u32 s2, 0
	s_mov_b32 s7, 0
	s_cselect_b32 s6, s3, s5
	s_wait_kmcnt 0x0
	s_cmp_ge_u32 s6, s30
	s_cbranch_scc1 .LBB169_19
; %bb.1:
	s_clause 0x3
	s_load_b64 s[28:29], s[0:1], 0x10
	s_load_b512 s[8:23], s[0:1], 0x20
	s_load_b128 s[24:27], s[0:1], 0x0
	s_load_b64 s[34:35], s[0:1], 0x60
	v_bfe_u32 v2, v0, 10, 10
	v_and_b32_e32 v12, 0x3ff, v0
	v_mov_b32_e32 v3, 0
	v_mov_b64_e32 v[0:1], 0
	v_mov_b64_e32 v[4:5], 0x3f800000
	v_lshlrev_b32_e32 v6, 4, v2
	v_cmp_eq_u32_e32 vcc_lo, v2, v12
	s_wait_xcnt 0x0
	v_cmp_lt_u32_e64 s0, v12, v2
	v_cmp_gt_u32_e64 s1, v12, v2
	v_lshlrev_b32_e32 v17, 3, v12
	v_add_lshl_u32 v16, v6, v12, 3
	v_lshl_add_u32 v18, v2, 7, 0x800
	s_delay_alu instid0(VALU_DEP_2)
	v_add_nc_u32_e32 v19, 0x800, v16
	s_wait_kmcnt 0x0
	s_cmp_neq_f32 s28, 0
	v_mul_u64_e32 v[6:7], s[10:11], v[2:3]
	v_mul_u64_e32 v[8:9], s[16:17], v[2:3]
	;; [unrolled: 1-line block ×3, first 2 shown]
	s_cselect_b32 s3, -1, 0
	s_cmp_neq_f32 s29, 0
	s_cselect_b32 s4, -1, 0
	s_add_co_i32 s5, s27, -1
	s_or_b32 s31, s3, s4
	s_ashr_i32 s3, s5, 31
	s_bfe_u32 s11, ttmp6, 0x4000c
	s_lshr_b32 s3, s3, 28
	s_add_co_i32 s11, s11, 1
	s_add_co_i32 s5, s5, s3
	s_and_b32 s10, ttmp6, 15
	s_mul_i32 s4, ttmp9, s11
	s_and_b32 s3, s5, -16
	s_add_co_i32 s10, s10, s4
	s_ashr_i32 s4, s5, 4
	s_sub_co_i32 s5, s27, s3
	s_cmp_eq_u32 s2, 0
	v_cmp_gt_i32_e64 s2, s26, v2
	s_cselect_b32 s27, ttmp9, s10
	v_cmp_gt_i32_e64 s3, s26, v12
	s_cmp_ge_i32 s27, s4
	s_mov_b32 s10, s29
	s_cselect_b32 s4, s5, 16
	s_lshl_b32 s36, s27, 4
	v_cmp_gt_i32_e64 s4, s4, v2
	s_and_b32 s26, s2, s3
	s_ashr_i32 s37, s36, 31
	v_lshlrev_b32_e32 v2, 3, v12
	s_mul_u64 s[16:17], s[16:17], s[36:37]
	s_and_b32 s27, s3, s4
	s_cmp_eq_u32 s25, 0x84
	s_mul_u64 s[36:37], s[22:23], s[36:37]
	s_cselect_b32 s2, -1, 0
	s_mov_b32 s11, s28
	s_and_b32 s25, vcc_lo, s2
	s_cmp_lg_u32 s24, 0x79
	s_cselect_b32 s22, -1, 0
	s_lshl_b64 s[2:3], s[12:13], 3
	s_lshl_b64 s[4:5], s[18:19], 3
	;; [unrolled: 1-line block ×5, first 2 shown]
	s_branch .LBB169_4
.LBB169_2:                              ;   in Loop: Header=BB169_4 Depth=1
	s_wait_xcnt 0x0
	s_or_b32 exec_lo, exec_lo, s23
.LBB169_3:                              ;   in Loop: Header=BB169_4 Depth=1
	s_add_co_i32 s6, s6, 0x10000
	s_delay_alu instid0(SALU_CYCLE_1)
	s_cmp_lt_u32 s6, s30
	s_cbranch_scc0 .LBB169_19
.LBB169_4:                              ; =>This Inner Loop Header: Depth=1
	s_and_not1_b32 vcc_lo, exec_lo, s31
	s_cbranch_vccnz .LBB169_3
; %bb.5:                                ;   in Loop: Header=BB169_4 Depth=1
	v_mov_b32_e32 v20, s6
	s_clause 0x1
	global_load_b64 v[14:15], v20, s[14:15] scale_offset
	global_load_b64 v[12:13], v20, s[20:21] scale_offset
	ds_store_b64 v16, v[0:1]
	ds_store_b64 v19, v[0:1]
	s_wait_xcnt 0x0
	s_and_saveexec_b32 s23, s26
	s_cbranch_execnz .LBB169_10
; %bb.6:                                ;   in Loop: Header=BB169_4 Depth=1
	s_or_b32 exec_lo, exec_lo, s23
	s_and_saveexec_b32 s23, s27
	s_cbranch_execnz .LBB169_11
.LBB169_7:                              ;   in Loop: Header=BB169_4 Depth=1
	s_or_b32 exec_lo, exec_lo, s23
	s_and_saveexec_b32 s23, s25
	s_cbranch_execnz .LBB169_12
.LBB169_8:                              ;   in Loop: Header=BB169_4 Depth=1
	s_or_b32 exec_lo, exec_lo, s23
	s_delay_alu instid0(SALU_CYCLE_1)
	s_and_b32 vcc_lo, exec_lo, s22
	s_cbranch_vccz .LBB169_13
.LBB169_9:                              ;   in Loop: Header=BB169_4 Depth=1
	s_and_b32 s23, s0, exec_lo
	s_cbranch_execz .LBB169_14
	s_branch .LBB169_15
.LBB169_10:                             ;   in Loop: Header=BB169_4 Depth=1
	s_lshl_b64 s[34:35], s[6:7], 3
	s_delay_alu instid0(SALU_CYCLE_1) | instskip(SKIP_3) | instid1(VALU_DEP_1)
	s_add_nc_u64 s[34:35], s[8:9], s[34:35]
	global_load_b64 v[20:21], v3, s[34:35]
	s_wait_loadcnt 0x0
	v_add_nc_u64_e32 v[20:21], s[2:3], v[20:21]
	v_lshl_add_u64 v[20:21], v[6:7], 3, v[20:21]
	s_delay_alu instid0(VALU_DEP_1)
	v_add_nc_u64_e32 v[20:21], v[20:21], v[2:3]
	flat_load_b64 v[20:21], v[20:21]
	s_wait_loadcnt_dscnt 0x0
	ds_store_b64 v16, v[20:21]
	s_wait_xcnt 0x0
	s_or_b32 exec_lo, exec_lo, s23
	s_and_saveexec_b32 s23, s27
	s_cbranch_execz .LBB169_7
.LBB169_11:                             ;   in Loop: Header=BB169_4 Depth=1
	s_wait_loadcnt 0x1
	v_add_nc_u64_e32 v[14:15], s[4:5], v[14:15]
	s_delay_alu instid0(VALU_DEP_1) | instskip(NEXT) | instid1(VALU_DEP_1)
	v_add_nc_u64_e32 v[14:15], s[12:13], v[14:15]
	v_lshl_add_u64 v[14:15], v[8:9], 3, v[14:15]
	s_delay_alu instid0(VALU_DEP_1)
	v_add_nc_u64_e32 v[14:15], v[14:15], v[2:3]
	flat_load_b64 v[14:15], v[14:15]
	s_wait_loadcnt_dscnt 0x0
	ds_store_b64 v19, v[14:15]
	s_wait_xcnt 0x0
	s_or_b32 exec_lo, exec_lo, s23
	s_and_saveexec_b32 s23, s25
	s_cbranch_execz .LBB169_8
.LBB169_12:                             ;   in Loop: Header=BB169_4 Depth=1
	ds_store_b64 v16, v[4:5]
	s_or_b32 exec_lo, exec_lo, s23
	s_delay_alu instid0(SALU_CYCLE_1)
	s_and_b32 vcc_lo, exec_lo, s22
	s_cbranch_vccnz .LBB169_9
.LBB169_13:                             ;   in Loop: Header=BB169_4 Depth=1
	s_mov_b32 s23, 0
.LBB169_14:                             ;   in Loop: Header=BB169_4 Depth=1
	s_delay_alu instid0(SALU_CYCLE_1) | instskip(SKIP_1) | instid1(SALU_CYCLE_1)
	s_and_not1_b32 s23, s23, exec_lo
	s_and_b32 s24, s1, exec_lo
	s_or_b32 s23, s23, s24
.LBB169_15:                             ;   in Loop: Header=BB169_4 Depth=1
	s_delay_alu instid0(SALU_CYCLE_1)
	s_and_saveexec_b32 s24, s23
; %bb.16:                               ;   in Loop: Header=BB169_4 Depth=1
	ds_store_b64 v16, v[0:1]
; %bb.17:                               ;   in Loop: Header=BB169_4 Depth=1
	s_or_b32 exec_lo, exec_lo, s24
	s_wait_loadcnt_dscnt 0x0
	s_barrier_signal -1
	s_barrier_wait -1
	s_and_saveexec_b32 s23, s27
	s_cbranch_execz .LBB169_2
; %bb.18:                               ;   in Loop: Header=BB169_4 Depth=1
	ds_load_2addr_b64 v[20:23], v17 offset1:16
	ds_load_b128 v[24:27], v18
	ds_load_b128 v[28:31], v18 offset:16
	ds_load_2addr_b64 v[32:35], v17 offset0:32 offset1:48
	ds_load_b128 v[36:39], v18 offset:32
	ds_load_b128 v[40:43], v18 offset:48
	ds_load_2addr_b64 v[44:47], v17 offset0:64 offset1:80
	ds_load_2addr_b64 v[48:51], v17 offset0:96 offset1:112
	;; [unrolled: 1-line block ×3, first 2 shown]
	ds_load_b128 v[56:59], v18 offset:64
	ds_load_b128 v[60:63], v18 offset:80
	ds_load_2addr_b64 v[64:67], v17 offset0:160 offset1:176
	ds_load_2addr_b64 v[68:71], v17 offset0:192 offset1:208
	ds_load_b128 v[72:75], v18 offset:96
	ds_load_b128 v[76:79], v18 offset:112
	ds_load_2addr_b64 v[80:83], v17 offset0:224 offset1:240
	v_add_nc_u64_e32 v[12:13], s[16:17], v[12:13]
	s_wait_dscnt 0xe
	v_dual_mul_f32 v14, v24, v21 :: v_dual_mul_f32 v15, v26, v23
	v_dual_mul_f32 v21, v25, v21 :: v_dual_mul_f32 v23, v27, v23
	s_delay_alu instid0(VALU_DEP_3) | instskip(NEXT) | instid1(VALU_DEP_3)
	v_add_nc_u64_e32 v[12:13], s[18:19], v[12:13]
	v_dual_fmac_f32 v14, v25, v20 :: v_dual_fmac_f32 v15, v27, v22
	s_delay_alu instid0(VALU_DEP_3)
	v_dual_fma_f32 v20, v24, v20, -v21 :: v_dual_fma_f32 v21, v26, v22, -v23
	s_wait_dscnt 0xc
	v_dual_mul_f32 v22, v28, v33 :: v_dual_mul_f32 v23, v30, v35
	s_wait_dscnt 0x9
	v_dual_add_f32 v14, 0, v14 :: v_dual_mul_f32 v26, v36, v45
	v_dual_mul_f32 v24, v29, v33 :: v_dual_mul_f32 v25, v31, v35
	s_delay_alu instid0(VALU_DEP_2) | instskip(SKIP_3) | instid1(VALU_DEP_3)
	v_dual_fmac_f32 v22, v29, v32 :: v_dual_add_f32 v14, v14, v15
	v_dual_mul_f32 v15, v39, v47 :: v_dual_add_f32 v20, 0, v20
	s_wait_dscnt 0x8
	v_dual_mul_f32 v29, v40, v49 :: v_dual_fmac_f32 v23, v31, v34
	v_add_f32_e32 v14, v14, v22
	v_dual_mul_f32 v27, v38, v47 :: v_dual_mul_f32 v33, v37, v45
	v_add_f32_e32 v20, v20, v21
	s_delay_alu instid0(VALU_DEP_3) | instskip(SKIP_3) | instid1(VALU_DEP_3)
	v_dual_fma_f32 v24, v28, v32, -v24 :: v_dual_add_f32 v14, v14, v23
	v_dual_mul_f32 v23, v43, v51 :: v_dual_fmac_f32 v26, v37, v44
	s_wait_dscnt 0x6
	v_dual_fma_f32 v25, v30, v34, -v25 :: v_dual_mul_f32 v28, v56, v53
	v_dual_add_f32 v20, v20, v24 :: v_dual_fmac_f32 v27, v39, v46
	s_delay_alu instid0(VALU_DEP_3) | instskip(NEXT) | instid1(VALU_DEP_2)
	v_dual_add_f32 v14, v14, v26 :: v_dual_fma_f32 v26, v36, v44, -v33
	v_dual_mul_f32 v24, v58, v55 :: v_dual_add_f32 v20, v20, v25
	v_dual_mul_f32 v22, v42, v51 :: v_dual_mul_f32 v21, v41, v49
	s_delay_alu instid0(VALU_DEP_3)
	v_dual_fmac_f32 v29, v41, v48 :: v_dual_add_f32 v14, v14, v27
	s_wait_dscnt 0x4
	v_dual_mul_f32 v25, v60, v65 :: v_dual_fma_f32 v15, v38, v46, -v15
	v_add_f32_e32 v20, v20, v26
	v_dual_fmac_f32 v22, v43, v50 :: v_dual_mul_f32 v26, v62, v67
	v_dual_add_f32 v14, v14, v29 :: v_dual_fma_f32 v21, v40, v48, -v21
	s_delay_alu instid0(VALU_DEP_3) | instskip(NEXT) | instid1(VALU_DEP_2)
	v_dual_add_f32 v15, v20, v15 :: v_dual_fmac_f32 v28, v57, v52
	v_dual_mul_f32 v20, v57, v53 :: v_dual_add_f32 v14, v14, v22
	s_delay_alu instid0(VALU_DEP_2) | instskip(SKIP_1) | instid1(VALU_DEP_3)
	v_dual_fma_f32 v22, v42, v50, -v23 :: v_dual_add_f32 v15, v15, v21
	v_dual_fmac_f32 v24, v59, v54 :: v_dual_mul_f32 v21, v59, v55
	v_add_f32_e32 v14, v14, v28
	s_delay_alu instid0(VALU_DEP_3) | instskip(SKIP_1) | instid1(VALU_DEP_3)
	v_dual_fma_f32 v20, v56, v52, -v20 :: v_dual_add_f32 v15, v15, v22
	v_dual_fmac_f32 v25, v61, v64 :: v_dual_mul_f32 v22, v61, v65
	v_dual_add_f32 v14, v14, v24 :: v_dual_fmac_f32 v26, v63, v66
	s_delay_alu instid0(VALU_DEP_3) | instskip(SKIP_2) | instid1(VALU_DEP_3)
	v_dual_fma_f32 v21, v58, v54, -v21 :: v_dual_add_f32 v15, v15, v20
	s_wait_dscnt 0x2
	v_mul_f32_e32 v20, v72, v69
	v_dual_add_f32 v14, v14, v25 :: v_dual_fma_f32 v22, v60, v64, -v22
	s_delay_alu instid0(VALU_DEP_3) | instskip(NEXT) | instid1(VALU_DEP_2)
	v_dual_mul_f32 v23, v74, v71 :: v_dual_add_f32 v15, v15, v21
	v_dual_mul_f32 v21, v63, v67 :: v_dual_add_f32 v14, v14, v26
	s_delay_alu instid0(VALU_DEP_2) | instskip(NEXT) | instid1(VALU_DEP_3)
	v_dual_fmac_f32 v20, v73, v68 :: v_dual_fmac_f32 v23, v75, v70
	v_dual_add_f32 v15, v15, v22 :: v_dual_mul_f32 v22, v73, v69
	s_delay_alu instid0(VALU_DEP_3) | instskip(SKIP_1) | instid1(VALU_DEP_3)
	v_fma_f32 v21, v62, v66, -v21
	s_wait_dscnt 0x0
	v_dual_add_f32 v14, v14, v20 :: v_dual_mul_f32 v20, v76, v81
	v_lshl_add_u64 v[12:13], v[10:11], 3, v[12:13]
	s_delay_alu instid0(VALU_DEP_3) | instskip(NEXT) | instid1(VALU_DEP_3)
	v_dual_add_f32 v15, v15, v21 :: v_dual_fma_f32 v21, v72, v68, -v22
	v_dual_mul_f32 v22, v75, v71 :: v_dual_fmac_f32 v20, v77, v80
	s_delay_alu instid0(VALU_DEP_4) | instskip(NEXT) | instid1(VALU_DEP_3)
	v_add_f32_e32 v14, v14, v23
	v_dual_mul_f32 v23, v78, v83 :: v_dual_add_f32 v15, v15, v21
	s_delay_alu instid0(VALU_DEP_3) | instskip(NEXT) | instid1(VALU_DEP_2)
	v_dual_fma_f32 v21, v74, v70, -v22 :: v_dual_mul_f32 v22, v77, v81
	v_dual_add_f32 v14, v14, v20 :: v_dual_fmac_f32 v23, v79, v82
	v_add_nc_u64_e32 v[12:13], v[12:13], v[2:3]
	s_delay_alu instid0(VALU_DEP_3) | instskip(NEXT) | instid1(VALU_DEP_3)
	v_dual_fma_f32 v20, v76, v80, -v22 :: v_dual_add_f32 v15, v15, v21
	v_add_f32_e32 v14, v14, v23
	v_mul_f32_e32 v21, v79, v83
	s_delay_alu instid0(VALU_DEP_1) | instskip(SKIP_1) | instid1(VALU_DEP_2)
	v_dual_add_f32 v15, v15, v20 :: v_dual_fma_f32 v22, v78, v82, -v21
	v_mov_b64_e32 v[20:21], s[10:11]
	v_add_f32_e32 v22, v15, v22
	s_delay_alu instid0(VALU_DEP_2) | instskip(SKIP_1) | instid1(VALU_DEP_1)
	v_pk_mul_f32 v[14:15], v[20:21], v[14:15] op_sel_hi:[1,0]
	v_mov_b64_e32 v[20:21], s[28:29]
	v_pk_fma_f32 v[24:25], v[20:21], v[22:23], v[14:15] op_sel_hi:[1,0,1]
	v_pk_fma_f32 v[14:15], v[20:21], v[22:23], v[14:15] neg_lo:[0,0,1] neg_hi:[0,0,1]
	s_delay_alu instid0(VALU_DEP_2)
	v_mov_b32_e32 v15, v25
	flat_store_b64 v[12:13], v[14:15]
	s_branch .LBB169_2
.LBB169_19:
	s_sendmsg sendmsg(MSG_DEALLOC_VGPRS)
	s_endpgm
	.section	.rodata,"a",@progbits
	.p2align	6, 0x0
	.amdhsa_kernel _ZL23rocblas_trmm_lNx_kernelILi16E19rocblas_complex_numIfES1_KPKS1_KPS1_Ev13rocblas_fill_17rocblas_diagonal_iiT1_lPT2_llSB_llPT3_lli
		.amdhsa_group_segment_fixed_size 4096
		.amdhsa_private_segment_fixed_size 0
		.amdhsa_kernarg_size 108
		.amdhsa_user_sgpr_count 2
		.amdhsa_user_sgpr_dispatch_ptr 0
		.amdhsa_user_sgpr_queue_ptr 0
		.amdhsa_user_sgpr_kernarg_segment_ptr 1
		.amdhsa_user_sgpr_dispatch_id 0
		.amdhsa_user_sgpr_kernarg_preload_length 0
		.amdhsa_user_sgpr_kernarg_preload_offset 0
		.amdhsa_user_sgpr_private_segment_size 0
		.amdhsa_wavefront_size32 1
		.amdhsa_uses_dynamic_stack 0
		.amdhsa_enable_private_segment 0
		.amdhsa_system_sgpr_workgroup_id_x 1
		.amdhsa_system_sgpr_workgroup_id_y 0
		.amdhsa_system_sgpr_workgroup_id_z 1
		.amdhsa_system_sgpr_workgroup_info 0
		.amdhsa_system_vgpr_workitem_id 1
		.amdhsa_next_free_vgpr 84
		.amdhsa_next_free_sgpr 38
		.amdhsa_named_barrier_count 0
		.amdhsa_reserve_vcc 1
		.amdhsa_float_round_mode_32 0
		.amdhsa_float_round_mode_16_64 0
		.amdhsa_float_denorm_mode_32 3
		.amdhsa_float_denorm_mode_16_64 3
		.amdhsa_fp16_overflow 0
		.amdhsa_memory_ordered 1
		.amdhsa_forward_progress 1
		.amdhsa_inst_pref_size 13
		.amdhsa_round_robin_scheduling 0
		.amdhsa_exception_fp_ieee_invalid_op 0
		.amdhsa_exception_fp_denorm_src 0
		.amdhsa_exception_fp_ieee_div_zero 0
		.amdhsa_exception_fp_ieee_overflow 0
		.amdhsa_exception_fp_ieee_underflow 0
		.amdhsa_exception_fp_ieee_inexact 0
		.amdhsa_exception_int_div_zero 0
	.end_amdhsa_kernel
	.section	.text._ZL23rocblas_trmm_lNx_kernelILi16E19rocblas_complex_numIfES1_KPKS1_KPS1_Ev13rocblas_fill_17rocblas_diagonal_iiT1_lPT2_llSB_llPT3_lli,"axG",@progbits,_ZL23rocblas_trmm_lNx_kernelILi16E19rocblas_complex_numIfES1_KPKS1_KPS1_Ev13rocblas_fill_17rocblas_diagonal_iiT1_lPT2_llSB_llPT3_lli,comdat
.Lfunc_end169:
	.size	_ZL23rocblas_trmm_lNx_kernelILi16E19rocblas_complex_numIfES1_KPKS1_KPS1_Ev13rocblas_fill_17rocblas_diagonal_iiT1_lPT2_llSB_llPT3_lli, .Lfunc_end169-_ZL23rocblas_trmm_lNx_kernelILi16E19rocblas_complex_numIfES1_KPKS1_KPS1_Ev13rocblas_fill_17rocblas_diagonal_iiT1_lPT2_llSB_llPT3_lli
                                        ; -- End function
	.set _ZL23rocblas_trmm_lNx_kernelILi16E19rocblas_complex_numIfES1_KPKS1_KPS1_Ev13rocblas_fill_17rocblas_diagonal_iiT1_lPT2_llSB_llPT3_lli.num_vgpr, 84
	.set _ZL23rocblas_trmm_lNx_kernelILi16E19rocblas_complex_numIfES1_KPKS1_KPS1_Ev13rocblas_fill_17rocblas_diagonal_iiT1_lPT2_llSB_llPT3_lli.num_agpr, 0
	.set _ZL23rocblas_trmm_lNx_kernelILi16E19rocblas_complex_numIfES1_KPKS1_KPS1_Ev13rocblas_fill_17rocblas_diagonal_iiT1_lPT2_llSB_llPT3_lli.numbered_sgpr, 38
	.set _ZL23rocblas_trmm_lNx_kernelILi16E19rocblas_complex_numIfES1_KPKS1_KPS1_Ev13rocblas_fill_17rocblas_diagonal_iiT1_lPT2_llSB_llPT3_lli.num_named_barrier, 0
	.set _ZL23rocblas_trmm_lNx_kernelILi16E19rocblas_complex_numIfES1_KPKS1_KPS1_Ev13rocblas_fill_17rocblas_diagonal_iiT1_lPT2_llSB_llPT3_lli.private_seg_size, 0
	.set _ZL23rocblas_trmm_lNx_kernelILi16E19rocblas_complex_numIfES1_KPKS1_KPS1_Ev13rocblas_fill_17rocblas_diagonal_iiT1_lPT2_llSB_llPT3_lli.uses_vcc, 1
	.set _ZL23rocblas_trmm_lNx_kernelILi16E19rocblas_complex_numIfES1_KPKS1_KPS1_Ev13rocblas_fill_17rocblas_diagonal_iiT1_lPT2_llSB_llPT3_lli.uses_flat_scratch, 0
	.set _ZL23rocblas_trmm_lNx_kernelILi16E19rocblas_complex_numIfES1_KPKS1_KPS1_Ev13rocblas_fill_17rocblas_diagonal_iiT1_lPT2_llSB_llPT3_lli.has_dyn_sized_stack, 0
	.set _ZL23rocblas_trmm_lNx_kernelILi16E19rocblas_complex_numIfES1_KPKS1_KPS1_Ev13rocblas_fill_17rocblas_diagonal_iiT1_lPT2_llSB_llPT3_lli.has_recursion, 0
	.set _ZL23rocblas_trmm_lNx_kernelILi16E19rocblas_complex_numIfES1_KPKS1_KPS1_Ev13rocblas_fill_17rocblas_diagonal_iiT1_lPT2_llSB_llPT3_lli.has_indirect_call, 0
	.section	.AMDGPU.csdata,"",@progbits
; Kernel info:
; codeLenInByte = 1624
; TotalNumSgprs: 40
; NumVgprs: 84
; ScratchSize: 0
; MemoryBound: 0
; FloatMode: 240
; IeeeMode: 1
; LDSByteSize: 4096 bytes/workgroup (compile time only)
; SGPRBlocks: 0
; VGPRBlocks: 5
; NumSGPRsForWavesPerEU: 40
; NumVGPRsForWavesPerEU: 84
; NamedBarCnt: 0
; Occupancy: 10
; WaveLimiterHint : 1
; COMPUTE_PGM_RSRC2:SCRATCH_EN: 0
; COMPUTE_PGM_RSRC2:USER_SGPR: 2
; COMPUTE_PGM_RSRC2:TRAP_HANDLER: 0
; COMPUTE_PGM_RSRC2:TGID_X_EN: 1
; COMPUTE_PGM_RSRC2:TGID_Y_EN: 0
; COMPUTE_PGM_RSRC2:TGID_Z_EN: 1
; COMPUTE_PGM_RSRC2:TIDIG_COMP_CNT: 1
	.section	.text._ZL23rocblas_trmm_lTx_kernelILi16ELb0E19rocblas_complex_numIfEPKS1_KS3_KPS1_Ev13rocblas_fill_17rocblas_diagonal_iiT2_lPT3_llSB_llPT4_lli,"axG",@progbits,_ZL23rocblas_trmm_lTx_kernelILi16ELb0E19rocblas_complex_numIfEPKS1_KS3_KPS1_Ev13rocblas_fill_17rocblas_diagonal_iiT2_lPT3_llSB_llPT4_lli,comdat
	.globl	_ZL23rocblas_trmm_lTx_kernelILi16ELb0E19rocblas_complex_numIfEPKS1_KS3_KPS1_Ev13rocblas_fill_17rocblas_diagonal_iiT2_lPT3_llSB_llPT4_lli ; -- Begin function _ZL23rocblas_trmm_lTx_kernelILi16ELb0E19rocblas_complex_numIfEPKS1_KS3_KPS1_Ev13rocblas_fill_17rocblas_diagonal_iiT2_lPT3_llSB_llPT4_lli
	.p2align	8
	.type	_ZL23rocblas_trmm_lTx_kernelILi16ELb0E19rocblas_complex_numIfEPKS1_KS3_KPS1_Ev13rocblas_fill_17rocblas_diagonal_iiT2_lPT3_llSB_llPT4_lli,@function
_ZL23rocblas_trmm_lTx_kernelILi16ELb0E19rocblas_complex_numIfEPKS1_KS3_KPS1_Ev13rocblas_fill_17rocblas_diagonal_iiT2_lPT3_llSB_llPT4_lli: ; @_ZL23rocblas_trmm_lTx_kernelILi16ELb0E19rocblas_complex_numIfEPKS1_KS3_KPS1_Ev13rocblas_fill_17rocblas_diagonal_iiT2_lPT3_llSB_llPT4_lli
; %bb.0:
	s_load_b32 s33, s[0:1], 0x68
	s_bfe_u32 s2, ttmp6, 0x40014
	s_lshr_b32 s3, ttmp7, 16
	s_add_co_i32 s2, s2, 1
	s_bfe_u32 s5, ttmp6, 0x40008
	s_mul_i32 s4, s3, s2
	s_getreg_b32 s2, hwreg(HW_REG_IB_STS2, 6, 4)
	s_add_co_i32 s5, s5, s4
	s_cmp_eq_u32 s2, 0
	s_mov_b32 s7, 0
	s_cselect_b32 s6, s3, s5
	s_wait_kmcnt 0x0
	s_cmp_ge_u32 s6, s33
	s_cbranch_scc1 .LBB170_19
; %bb.1:
	s_clause 0x3
	s_load_b128 s[28:31], s[0:1], 0x0
	s_load_b512 s[8:23], s[0:1], 0x10
	s_load_b64 s[34:35], s[0:1], 0x60
	s_load_b128 s[24:27], s[0:1], 0x50
	s_wait_xcnt 0x0
	s_bfe_u32 s0, ttmp6, 0x4000c
	v_bfe_u32 v2, v0, 10, 10
	v_mov_b32_e32 v3, 0
	s_add_co_i32 s0, s0, 1
	s_and_b32 s3, ttmp6, 15
	s_mul_i32 s4, ttmp9, s0
	v_lshlrev_b32_e32 v10, 3, v2
	s_add_co_i32 s3, s3, s4
	v_and_b32_e32 v12, 0x3ff, v0
	v_lshlrev_b32_e32 v11, 4, v2
	v_mov_b64_e32 v[0:1], 0
	v_lshl_add_u32 v21, v2, 7, 0x800
	s_delay_alu instid0(VALU_DEP_4)
	v_lshlrev_b32_e32 v13, 7, v12
	v_cmp_eq_u32_e32 vcc_lo, v2, v12
	v_add_lshl_u32 v22, v11, v12, 3
	s_wait_kmcnt 0x0
	s_add_co_i32 s5, s31, -1
	v_mul_u64_e32 v[4:5], s[14:15], v[2:3]
	s_ashr_i32 s4, s5, 31
	v_mul_u64_e32 v[6:7], s[20:21], v[2:3]
	v_mul_u64_e32 v[8:9], s[26:27], v[2:3]
	s_lshr_b32 s4, s4, 28
	v_dual_lshlrev_b32 v20, 3, v12 :: v_dual_add_nc_u32 v23, v10, v13
	s_add_co_i32 s5, s5, s4
	v_mov_b64_e32 v[10:11], 0x3f800000
	s_and_b32 s4, s5, -16
	s_ashr_i32 s5, s5, 4
	s_sub_co_i32 s4, s31, s4
	s_cmp_eq_u32 s2, 0
	v_cmp_gt_i32_e64 s2, s30, v2
	s_cselect_b32 s14, ttmp9, s3
	v_cmp_gt_i32_e64 s3, s30, v12
	s_cmp_ge_i32 s14, s5
	v_cmp_lt_u32_e64 s0, v12, v2
	s_cselect_b32 s4, s4, 16
	s_lshl_b32 s14, s14, 4
	v_cmp_gt_i32_e64 s4, s4, v2
	s_and_b32 s30, s2, s3
	s_ashr_i32 s15, s14, 31
	v_cmp_gt_u32_e64 s1, v12, v2
	v_add_nc_u32_e32 v24, 0x800, v22
	s_and_b32 s3, s3, s4
	s_cmp_eq_u32 s29, 0x84
	v_lshlrev_b32_e32 v2, 3, v12
	s_cselect_b32 s2, -1, 0
	s_mul_u64 s[20:21], s[20:21], s[14:15]
	s_and_b32 s29, vcc_lo, s2
	s_cmp_lg_u32 s28, 0x7a
	s_mul_u64 s[36:37], s[26:27], s[14:15]
	s_cselect_b32 s26, -1, 0
	s_lshl_b64 s[4:5], s[16:17], 3
	s_lshl_b64 s[14:15], s[22:23], 3
	;; [unrolled: 1-line block ×5, first 2 shown]
	s_branch .LBB170_4
.LBB170_2:                              ;   in Loop: Header=BB170_4 Depth=1
	s_wait_xcnt 0x0
	s_or_b32 exec_lo, exec_lo, s2
.LBB170_3:                              ;   in Loop: Header=BB170_4 Depth=1
	s_add_co_i32 s6, s6, 0x10000
	s_delay_alu instid0(SALU_CYCLE_1)
	s_cmp_lt_u32 s6, s33
	s_cbranch_scc0 .LBB170_19
.LBB170_4:                              ; =>This Inner Loop Header: Depth=1
	s_wait_xcnt 0x0
	s_mul_u64 s[34:35], s[10:11], s[6:7]
	s_delay_alu instid0(SALU_CYCLE_1) | instskip(NEXT) | instid1(SALU_CYCLE_1)
	s_lshl_b64 s[34:35], s[34:35], 3
	s_add_nc_u64 s[34:35], s[8:9], s[34:35]
	global_load_b64 v[12:13], v3, s[34:35]
	s_wait_loadcnt 0x0
	v_cmp_neq_f32_e32 vcc_lo, 0, v12
	v_cmp_neq_f32_e64 s2, 0, v13
	s_or_b32 s2, vcc_lo, s2
	s_delay_alu instid0(SALU_CYCLE_1)
	s_and_not1_b32 vcc_lo, exec_lo, s2
	s_cbranch_vccnz .LBB170_3
; %bb.5:                                ;   in Loop: Header=BB170_4 Depth=1
	s_wait_xcnt 0x0
	s_lshl_b64 s[34:35], s[6:7], 3
	s_delay_alu instid0(SALU_CYCLE_1)
	s_add_nc_u64 s[36:37], s[12:13], s[34:35]
	s_add_nc_u64 s[38:39], s[18:19], s[34:35]
	s_add_nc_u64 s[34:35], s[24:25], s[34:35]
	s_clause 0x2
	global_load_b64 v[18:19], v3, s[36:37]
	global_load_b64 v[16:17], v3, s[38:39]
	;; [unrolled: 1-line block ×3, first 2 shown]
	ds_store_b64 v22, v[0:1]
	ds_store_b64 v24, v[0:1]
	s_wait_loadcnt_dscnt 0x0
	s_barrier_signal -1
	s_barrier_wait -1
	s_wait_xcnt 0x0
	s_and_saveexec_b32 s2, s30
	s_cbranch_execnz .LBB170_11
; %bb.6:                                ;   in Loop: Header=BB170_4 Depth=1
	s_or_b32 exec_lo, exec_lo, s2
	s_and_saveexec_b32 s2, s3
	s_cbranch_execnz .LBB170_12
.LBB170_7:                              ;   in Loop: Header=BB170_4 Depth=1
	s_or_b32 exec_lo, exec_lo, s2
	s_and_saveexec_b32 s2, s29
.LBB170_8:                              ;   in Loop: Header=BB170_4 Depth=1
	ds_store_b64 v22, v[10:11]
.LBB170_9:                              ;   in Loop: Header=BB170_4 Depth=1
	s_or_b32 exec_lo, exec_lo, s2
	s_delay_alu instid0(SALU_CYCLE_1)
	s_and_b32 vcc_lo, exec_lo, s26
	s_wait_dscnt 0x0
	s_barrier_signal -1
	s_barrier_wait -1
	s_cbranch_vccz .LBB170_13
; %bb.10:                               ;   in Loop: Header=BB170_4 Depth=1
	s_and_b32 s2, s0, exec_lo
	s_cbranch_execz .LBB170_14
	s_branch .LBB170_15
.LBB170_11:                             ;   in Loop: Header=BB170_4 Depth=1
	v_add_nc_u64_e32 v[18:19], s[4:5], v[18:19]
	s_delay_alu instid0(VALU_DEP_1) | instskip(NEXT) | instid1(VALU_DEP_1)
	v_lshl_add_u64 v[18:19], v[4:5], 3, v[18:19]
	v_add_nc_u64_e32 v[18:19], v[18:19], v[2:3]
	flat_load_b64 v[18:19], v[18:19]
	s_wait_loadcnt_dscnt 0x0
	ds_store_b64 v23, v[18:19]
	s_wait_xcnt 0x0
	s_or_b32 exec_lo, exec_lo, s2
	s_and_saveexec_b32 s2, s3
	s_cbranch_execz .LBB170_7
.LBB170_12:                             ;   in Loop: Header=BB170_4 Depth=1
	v_add_nc_u64_e32 v[16:17], s[14:15], v[16:17]
	s_delay_alu instid0(VALU_DEP_1) | instskip(NEXT) | instid1(VALU_DEP_1)
	v_add_nc_u64_e32 v[16:17], s[16:17], v[16:17]
	v_lshl_add_u64 v[16:17], v[6:7], 3, v[16:17]
	s_delay_alu instid0(VALU_DEP_1)
	v_add_nc_u64_e32 v[16:17], v[16:17], v[2:3]
	flat_load_b64 v[16:17], v[16:17]
	s_wait_loadcnt_dscnt 0x0
	ds_store_b64 v24, v[16:17]
	s_wait_xcnt 0x0
	s_or_b32 exec_lo, exec_lo, s2
	s_and_saveexec_b32 s2, s29
	s_cbranch_execnz .LBB170_8
	s_branch .LBB170_9
.LBB170_13:                             ;   in Loop: Header=BB170_4 Depth=1
	s_mov_b32 s2, 0
.LBB170_14:                             ;   in Loop: Header=BB170_4 Depth=1
	s_delay_alu instid0(SALU_CYCLE_1) | instskip(SKIP_1) | instid1(SALU_CYCLE_1)
	s_and_not1_b32 s2, s2, exec_lo
	s_and_b32 s27, s1, exec_lo
	s_or_b32 s2, s2, s27
.LBB170_15:                             ;   in Loop: Header=BB170_4 Depth=1
	s_delay_alu instid0(SALU_CYCLE_1)
	s_and_saveexec_b32 s27, s2
; %bb.16:                               ;   in Loop: Header=BB170_4 Depth=1
	ds_store_b64 v22, v[0:1]
; %bb.17:                               ;   in Loop: Header=BB170_4 Depth=1
	s_or_b32 exec_lo, exec_lo, s27
	s_wait_dscnt 0x0
	s_barrier_signal -1
	s_barrier_wait -1
	s_and_saveexec_b32 s2, s3
	s_cbranch_execz .LBB170_2
; %bb.18:                               ;   in Loop: Header=BB170_4 Depth=1
	ds_load_2addr_b64 v[16:19], v20 offset1:16
	ds_load_b128 v[26:29], v21
	ds_load_b128 v[30:33], v21 offset:16
	ds_load_2addr_b64 v[34:37], v20 offset0:32 offset1:48
	ds_load_b128 v[38:41], v21 offset:32
	ds_load_b128 v[42:45], v21 offset:48
	ds_load_2addr_b64 v[46:49], v20 offset0:64 offset1:80
	ds_load_2addr_b64 v[50:53], v20 offset0:96 offset1:112
	;; [unrolled: 1-line block ×3, first 2 shown]
	ds_load_b128 v[58:61], v21 offset:64
	ds_load_b128 v[62:65], v21 offset:80
	ds_load_2addr_b64 v[66:69], v20 offset0:160 offset1:176
	ds_load_2addr_b64 v[70:73], v20 offset0:192 offset1:208
	ds_load_b128 v[74:77], v21 offset:96
	ds_load_b128 v[78:81], v21 offset:112
	v_add_nc_u64_e32 v[14:15], s[20:21], v[14:15]
	s_delay_alu instid0(VALU_DEP_1) | instskip(SKIP_4) | instid1(VALU_DEP_2)
	v_add_nc_u64_e32 v[14:15], s[22:23], v[14:15]
	s_wait_dscnt 0xd
	v_dual_mul_f32 v25, v26, v17 :: v_dual_mul_f32 v82, v28, v19
	v_dual_mul_f32 v17, v27, v17 :: v_dual_mul_f32 v19, v29, v19
	s_wait_dscnt 0x8
	v_dual_mul_f32 v83, v38, v47 :: v_dual_fmac_f32 v25, v27, v16
	s_delay_alu instid0(VALU_DEP_2) | instskip(NEXT) | instid1(VALU_DEP_3)
	v_dual_fmac_f32 v82, v29, v18 :: v_dual_fma_f32 v26, v26, v16, -v17
	v_dual_fma_f32 v27, v28, v18, -v19 :: v_dual_mul_f32 v28, v30, v35
	v_mul_f32_e32 v29, v32, v37
	s_delay_alu instid0(VALU_DEP_4) | instskip(NEXT) | instid1(VALU_DEP_3)
	v_dual_add_f32 v25, 0, v25 :: v_dual_mul_f32 v35, v31, v35
	v_dual_mul_f32 v84, v40, v49 :: v_dual_fmac_f32 v28, v31, v34
	v_add_f32_e32 v26, 0, v26
	s_delay_alu instid0(VALU_DEP_3) | instskip(SKIP_3) | instid1(VALU_DEP_3)
	v_add_f32_e32 v25, v25, v82
	v_dual_mul_f32 v37, v33, v37 :: v_dual_mul_f32 v47, v39, v47
	v_dual_fmac_f32 v29, v33, v36 :: v_dual_fma_f32 v30, v30, v34, -v35
	s_wait_dscnt 0x7
	v_dual_mul_f32 v33, v42, v51 :: v_dual_add_f32 v25, v25, v28
	v_dual_mul_f32 v28, v44, v53 :: v_dual_add_f32 v26, v26, v27
	v_dual_fmac_f32 v83, v39, v46 :: v_dual_fma_f32 v31, v32, v36, -v37
	v_dual_mul_f32 v32, v41, v49 :: v_dual_mul_f32 v34, v43, v51
	s_delay_alu instid0(VALU_DEP_3) | instskip(SKIP_2) | instid1(VALU_DEP_2)
	v_dual_add_f32 v25, v25, v29 :: v_dual_add_f32 v26, v26, v30
	s_wait_dscnt 0x5
	v_dual_fmac_f32 v84, v41, v48 :: v_dual_mul_f32 v30, v60, v57
	v_dual_fmac_f32 v33, v43, v50 :: v_dual_add_f32 v25, v25, v83
	v_fma_f32 v35, v38, v46, -v47
	v_add_f32_e32 v26, v26, v31
	s_wait_dscnt 0x3
	v_dual_mul_f32 v31, v62, v67 :: v_dual_fma_f32 v32, v40, v48, -v32
	v_add_f32_e32 v25, v25, v84
	v_dual_mul_f32 v27, v45, v53 :: v_dual_mul_f32 v29, v58, v55
	v_dual_add_f32 v26, v26, v35 :: v_dual_fmac_f32 v28, v45, v52
	s_delay_alu instid0(VALU_DEP_3) | instskip(NEXT) | instid1(VALU_DEP_2)
	v_dual_add_f32 v25, v25, v33 :: v_dual_fma_f32 v34, v42, v50, -v34
	v_dual_mul_f32 v33, v64, v69 :: v_dual_add_f32 v26, v26, v32
	s_delay_alu instid0(VALU_DEP_2) | instskip(SKIP_1) | instid1(VALU_DEP_3)
	v_dual_fmac_f32 v29, v59, v54 :: v_dual_add_f32 v25, v25, v28
	v_dual_mul_f32 v28, v59, v55 :: v_dual_fma_f32 v27, v44, v52, -v27
	v_dual_add_f32 v26, v26, v34 :: v_dual_fmac_f32 v30, v61, v56
	ds_load_2addr_b64 v[16:19], v20 offset0:224 offset1:240
	v_dual_add_f32 v25, v25, v29 :: v_dual_fma_f32 v28, v58, v54, -v28
	v_dual_mul_f32 v29, v61, v57 :: v_dual_add_f32 v26, v26, v27
	v_dual_fmac_f32 v31, v63, v66 :: v_dual_mul_f32 v27, v63, v67
	s_delay_alu instid0(VALU_DEP_2) | instskip(NEXT) | instid1(VALU_DEP_3)
	v_dual_add_f32 v25, v25, v30 :: v_dual_fma_f32 v29, v60, v56, -v29
	v_add_f32_e32 v26, v26, v28
	s_wait_dscnt 0x2
	v_dual_fmac_f32 v33, v65, v68 :: v_dual_mul_f32 v28, v74, v71
	s_delay_alu instid0(VALU_DEP_3) | instskip(NEXT) | instid1(VALU_DEP_3)
	v_dual_add_f32 v25, v25, v31 :: v_dual_fma_f32 v27, v62, v66, -v27
	v_add_f32_e32 v26, v26, v29
	s_delay_alu instid0(VALU_DEP_3) | instskip(NEXT) | instid1(VALU_DEP_3)
	v_dual_mul_f32 v29, v65, v69 :: v_dual_fmac_f32 v28, v75, v70
	v_add_f32_e32 v25, v25, v33
	s_delay_alu instid0(VALU_DEP_3) | instskip(NEXT) | instid1(VALU_DEP_3)
	v_dual_mul_f32 v30, v76, v73 :: v_dual_add_f32 v26, v26, v27
	v_dual_fma_f32 v27, v64, v68, -v29 :: v_dual_mul_f32 v29, v75, v71
	s_delay_alu instid0(VALU_DEP_3) | instskip(SKIP_1) | instid1(VALU_DEP_3)
	v_add_f32_e32 v25, v25, v28
	s_wait_dscnt 0x0
	v_dual_fmac_f32 v30, v77, v72 :: v_dual_mul_f32 v28, v78, v17
	s_delay_alu instid0(VALU_DEP_3) | instskip(SKIP_1) | instid1(VALU_DEP_3)
	v_add_f32_e32 v26, v26, v27
	v_dual_fma_f32 v27, v74, v70, -v29 :: v_dual_mul_f32 v29, v77, v73
	v_dual_add_f32 v25, v25, v30 :: v_dual_fmac_f32 v28, v79, v16
	s_delay_alu instid0(VALU_DEP_2) | instskip(NEXT) | instid1(VALU_DEP_3)
	v_dual_mul_f32 v17, v79, v17 :: v_dual_add_f32 v26, v26, v27
	v_fma_f32 v27, v76, v72, -v29
	s_delay_alu instid0(VALU_DEP_3) | instskip(NEXT) | instid1(VALU_DEP_3)
	v_dual_mul_f32 v29, v80, v19 :: v_dual_add_f32 v25, v25, v28
	v_dual_fma_f32 v16, v78, v16, -v17 :: v_dual_mul_f32 v17, v81, v19
	s_delay_alu instid0(VALU_DEP_2) | instskip(SKIP_1) | instid1(VALU_DEP_2)
	v_dual_add_f32 v26, v26, v27 :: v_dual_fmac_f32 v29, v81, v18
	v_lshl_add_u64 v[14:15], v[8:9], 3, v[14:15]
	v_dual_fma_f32 v17, v80, v18, -v17 :: v_dual_add_f32 v19, v26, v16
	s_delay_alu instid0(VALU_DEP_3) | instskip(NEXT) | instid1(VALU_DEP_3)
	v_add_f32_e32 v16, v25, v29
	v_add_nc_u64_e32 v[14:15], v[14:15], v[2:3]
	s_delay_alu instid0(VALU_DEP_3) | instskip(NEXT) | instid1(VALU_DEP_3)
	v_add_f32_e32 v18, v19, v17
	v_pk_mul_f32 v[16:17], v[12:13], v[16:17] op_sel:[1,0] op_sel_hi:[0,0]
	s_delay_alu instid0(VALU_DEP_1) | instskip(SKIP_1) | instid1(VALU_DEP_2)
	v_pk_fma_f32 v[26:27], v[12:13], v[18:19], v[16:17] op_sel_hi:[1,0,1]
	v_pk_fma_f32 v[12:13], v[12:13], v[18:19], v[16:17] neg_lo:[0,0,1] neg_hi:[0,0,1]
	v_mov_b32_e32 v13, v27
	flat_store_b64 v[14:15], v[12:13]
	s_branch .LBB170_2
.LBB170_19:
	s_sendmsg sendmsg(MSG_DEALLOC_VGPRS)
	s_endpgm
	.section	.rodata,"a",@progbits
	.p2align	6, 0x0
	.amdhsa_kernel _ZL23rocblas_trmm_lTx_kernelILi16ELb0E19rocblas_complex_numIfEPKS1_KS3_KPS1_Ev13rocblas_fill_17rocblas_diagonal_iiT2_lPT3_llSB_llPT4_lli
		.amdhsa_group_segment_fixed_size 4096
		.amdhsa_private_segment_fixed_size 0
		.amdhsa_kernarg_size 108
		.amdhsa_user_sgpr_count 2
		.amdhsa_user_sgpr_dispatch_ptr 0
		.amdhsa_user_sgpr_queue_ptr 0
		.amdhsa_user_sgpr_kernarg_segment_ptr 1
		.amdhsa_user_sgpr_dispatch_id 0
		.amdhsa_user_sgpr_kernarg_preload_length 0
		.amdhsa_user_sgpr_kernarg_preload_offset 0
		.amdhsa_user_sgpr_private_segment_size 0
		.amdhsa_wavefront_size32 1
		.amdhsa_uses_dynamic_stack 0
		.amdhsa_enable_private_segment 0
		.amdhsa_system_sgpr_workgroup_id_x 1
		.amdhsa_system_sgpr_workgroup_id_y 0
		.amdhsa_system_sgpr_workgroup_id_z 1
		.amdhsa_system_sgpr_workgroup_info 0
		.amdhsa_system_vgpr_workitem_id 1
		.amdhsa_next_free_vgpr 85
		.amdhsa_next_free_sgpr 40
		.amdhsa_named_barrier_count 0
		.amdhsa_reserve_vcc 1
		.amdhsa_float_round_mode_32 0
		.amdhsa_float_round_mode_16_64 0
		.amdhsa_float_denorm_mode_32 3
		.amdhsa_float_denorm_mode_16_64 3
		.amdhsa_fp16_overflow 0
		.amdhsa_memory_ordered 1
		.amdhsa_forward_progress 1
		.amdhsa_inst_pref_size 14
		.amdhsa_round_robin_scheduling 0
		.amdhsa_exception_fp_ieee_invalid_op 0
		.amdhsa_exception_fp_denorm_src 0
		.amdhsa_exception_fp_ieee_div_zero 0
		.amdhsa_exception_fp_ieee_overflow 0
		.amdhsa_exception_fp_ieee_underflow 0
		.amdhsa_exception_fp_ieee_inexact 0
		.amdhsa_exception_int_div_zero 0
	.end_amdhsa_kernel
	.section	.text._ZL23rocblas_trmm_lTx_kernelILi16ELb0E19rocblas_complex_numIfEPKS1_KS3_KPS1_Ev13rocblas_fill_17rocblas_diagonal_iiT2_lPT3_llSB_llPT4_lli,"axG",@progbits,_ZL23rocblas_trmm_lTx_kernelILi16ELb0E19rocblas_complex_numIfEPKS1_KS3_KPS1_Ev13rocblas_fill_17rocblas_diagonal_iiT2_lPT3_llSB_llPT4_lli,comdat
.Lfunc_end170:
	.size	_ZL23rocblas_trmm_lTx_kernelILi16ELb0E19rocblas_complex_numIfEPKS1_KS3_KPS1_Ev13rocblas_fill_17rocblas_diagonal_iiT2_lPT3_llSB_llPT4_lli, .Lfunc_end170-_ZL23rocblas_trmm_lTx_kernelILi16ELb0E19rocblas_complex_numIfEPKS1_KS3_KPS1_Ev13rocblas_fill_17rocblas_diagonal_iiT2_lPT3_llSB_llPT4_lli
                                        ; -- End function
	.set _ZL23rocblas_trmm_lTx_kernelILi16ELb0E19rocblas_complex_numIfEPKS1_KS3_KPS1_Ev13rocblas_fill_17rocblas_diagonal_iiT2_lPT3_llSB_llPT4_lli.num_vgpr, 85
	.set _ZL23rocblas_trmm_lTx_kernelILi16ELb0E19rocblas_complex_numIfEPKS1_KS3_KPS1_Ev13rocblas_fill_17rocblas_diagonal_iiT2_lPT3_llSB_llPT4_lli.num_agpr, 0
	.set _ZL23rocblas_trmm_lTx_kernelILi16ELb0E19rocblas_complex_numIfEPKS1_KS3_KPS1_Ev13rocblas_fill_17rocblas_diagonal_iiT2_lPT3_llSB_llPT4_lli.numbered_sgpr, 40
	.set _ZL23rocblas_trmm_lTx_kernelILi16ELb0E19rocblas_complex_numIfEPKS1_KS3_KPS1_Ev13rocblas_fill_17rocblas_diagonal_iiT2_lPT3_llSB_llPT4_lli.num_named_barrier, 0
	.set _ZL23rocblas_trmm_lTx_kernelILi16ELb0E19rocblas_complex_numIfEPKS1_KS3_KPS1_Ev13rocblas_fill_17rocblas_diagonal_iiT2_lPT3_llSB_llPT4_lli.private_seg_size, 0
	.set _ZL23rocblas_trmm_lTx_kernelILi16ELb0E19rocblas_complex_numIfEPKS1_KS3_KPS1_Ev13rocblas_fill_17rocblas_diagonal_iiT2_lPT3_llSB_llPT4_lli.uses_vcc, 1
	.set _ZL23rocblas_trmm_lTx_kernelILi16ELb0E19rocblas_complex_numIfEPKS1_KS3_KPS1_Ev13rocblas_fill_17rocblas_diagonal_iiT2_lPT3_llSB_llPT4_lli.uses_flat_scratch, 0
	.set _ZL23rocblas_trmm_lTx_kernelILi16ELb0E19rocblas_complex_numIfEPKS1_KS3_KPS1_Ev13rocblas_fill_17rocblas_diagonal_iiT2_lPT3_llSB_llPT4_lli.has_dyn_sized_stack, 0
	.set _ZL23rocblas_trmm_lTx_kernelILi16ELb0E19rocblas_complex_numIfEPKS1_KS3_KPS1_Ev13rocblas_fill_17rocblas_diagonal_iiT2_lPT3_llSB_llPT4_lli.has_recursion, 0
	.set _ZL23rocblas_trmm_lTx_kernelILi16ELb0E19rocblas_complex_numIfEPKS1_KS3_KPS1_Ev13rocblas_fill_17rocblas_diagonal_iiT2_lPT3_llSB_llPT4_lli.has_indirect_call, 0
	.section	.AMDGPU.csdata,"",@progbits
; Kernel info:
; codeLenInByte = 1684
; TotalNumSgprs: 42
; NumVgprs: 85
; ScratchSize: 0
; MemoryBound: 0
; FloatMode: 240
; IeeeMode: 1
; LDSByteSize: 4096 bytes/workgroup (compile time only)
; SGPRBlocks: 0
; VGPRBlocks: 5
; NumSGPRsForWavesPerEU: 42
; NumVGPRsForWavesPerEU: 85
; NamedBarCnt: 0
; Occupancy: 10
; WaveLimiterHint : 1
; COMPUTE_PGM_RSRC2:SCRATCH_EN: 0
; COMPUTE_PGM_RSRC2:USER_SGPR: 2
; COMPUTE_PGM_RSRC2:TRAP_HANDLER: 0
; COMPUTE_PGM_RSRC2:TGID_X_EN: 1
; COMPUTE_PGM_RSRC2:TGID_Y_EN: 0
; COMPUTE_PGM_RSRC2:TGID_Z_EN: 1
; COMPUTE_PGM_RSRC2:TIDIG_COMP_CNT: 1
	.section	.text._ZL23rocblas_trmm_lTx_kernelILi16ELb0E19rocblas_complex_numIfES1_KPKS1_KPS1_Ev13rocblas_fill_17rocblas_diagonal_iiT2_lPT3_llSB_llPT4_lli,"axG",@progbits,_ZL23rocblas_trmm_lTx_kernelILi16ELb0E19rocblas_complex_numIfES1_KPKS1_KPS1_Ev13rocblas_fill_17rocblas_diagonal_iiT2_lPT3_llSB_llPT4_lli,comdat
	.globl	_ZL23rocblas_trmm_lTx_kernelILi16ELb0E19rocblas_complex_numIfES1_KPKS1_KPS1_Ev13rocblas_fill_17rocblas_diagonal_iiT2_lPT3_llSB_llPT4_lli ; -- Begin function _ZL23rocblas_trmm_lTx_kernelILi16ELb0E19rocblas_complex_numIfES1_KPKS1_KPS1_Ev13rocblas_fill_17rocblas_diagonal_iiT2_lPT3_llSB_llPT4_lli
	.p2align	8
	.type	_ZL23rocblas_trmm_lTx_kernelILi16ELb0E19rocblas_complex_numIfES1_KPKS1_KPS1_Ev13rocblas_fill_17rocblas_diagonal_iiT2_lPT3_llSB_llPT4_lli,@function
_ZL23rocblas_trmm_lTx_kernelILi16ELb0E19rocblas_complex_numIfES1_KPKS1_KPS1_Ev13rocblas_fill_17rocblas_diagonal_iiT2_lPT3_llSB_llPT4_lli: ; @_ZL23rocblas_trmm_lTx_kernelILi16ELb0E19rocblas_complex_numIfES1_KPKS1_KPS1_Ev13rocblas_fill_17rocblas_diagonal_iiT2_lPT3_llSB_llPT4_lli
; %bb.0:
	s_load_b32 s30, s[0:1], 0x68
	s_bfe_u32 s2, ttmp6, 0x40014
	s_lshr_b32 s3, ttmp7, 16
	s_add_co_i32 s2, s2, 1
	s_bfe_u32 s5, ttmp6, 0x40008
	s_mul_i32 s4, s3, s2
	s_getreg_b32 s2, hwreg(HW_REG_IB_STS2, 6, 4)
	s_add_co_i32 s5, s5, s4
	s_cmp_eq_u32 s2, 0
	s_cselect_b32 s31, s3, s5
	s_wait_kmcnt 0x0
	s_cmp_ge_u32 s31, s30
	s_cbranch_scc1 .LBB171_19
; %bb.1:
	s_clause 0x2
	s_load_b64 s[6:7], s[0:1], 0x10
	s_load_b512 s[8:23], s[0:1], 0x20
	s_load_b128 s[24:27], s[0:1], 0x0
	v_bfe_u32 v2, v0, 10, 10
	v_and_b32_e32 v12, 0x3ff, v0
	v_mov_b32_e32 v3, 0
	s_load_b64 s[28:29], s[0:1], 0x60
	v_mov_b64_e32 v[0:1], 0
	v_dual_lshlrev_b32 v4, 3, v2 :: v_dual_lshlrev_b32 v5, 4, v2
	v_dual_lshlrev_b32 v6, 7, v12 :: v_dual_lshlrev_b32 v18, 3, v12
	v_cmp_eq_u32_e32 vcc_lo, v2, v12
	v_mov_b64_e32 v[10:11], 0x3f800000
	s_delay_alu instid0(VALU_DEP_4) | instskip(NEXT) | instid1(VALU_DEP_4)
	v_add_lshl_u32 v20, v5, v12, 3
	v_add_nc_u32_e32 v21, v4, v6
	s_wait_xcnt 0x0
	v_cmp_lt_u32_e64 s0, v12, v2
	v_cmp_gt_u32_e64 s1, v12, v2
	v_lshl_add_u32 v19, v2, 7, 0x800
	v_add_nc_u32_e32 v22, 0x800, v20
	s_wait_kmcnt 0x0
	s_cmp_neq_f32 s6, 0
	v_mul_u64_e32 v[4:5], s[10:11], v[2:3]
	v_mul_u64_e32 v[6:7], s[16:17], v[2:3]
	v_mul_u64_e32 v[8:9], s[22:23], v[2:3]
	s_cselect_b32 s3, -1, 0
	s_cmp_neq_f32 s7, 0
	s_cselect_b32 s4, -1, 0
	s_add_co_i32 s5, s27, -1
	s_or_b32 s33, s3, s4
	s_ashr_i32 s3, s5, 31
	s_bfe_u32 s11, ttmp6, 0x4000c
	s_lshr_b32 s3, s3, 28
	s_add_co_i32 s11, s11, 1
	s_add_co_i32 s5, s5, s3
	s_and_b32 s10, ttmp6, 15
	s_mul_i32 s4, ttmp9, s11
	s_and_b32 s3, s5, -16
	s_add_co_i32 s10, s10, s4
	s_ashr_i32 s4, s5, 4
	s_sub_co_i32 s5, s27, s3
	s_cmp_eq_u32 s2, 0
	v_cmp_gt_i32_e64 s2, s26, v2
	s_cselect_b32 s27, ttmp9, s10
	v_cmp_gt_i32_e64 s3, s26, v12
	s_cmp_ge_i32 s27, s4
	s_mov_b32 s10, s7
	s_cselect_b32 s4, s5, 16
	s_lshl_b32 s34, s27, 4
	v_cmp_gt_i32_e64 s4, s4, v2
	s_and_b32 s26, s2, s3
	s_ashr_i32 s35, s34, 31
	v_lshlrev_b32_e32 v2, 3, v12
	s_mul_u64 s[16:17], s[16:17], s[34:35]
	s_and_b32 s27, s3, s4
	s_cmp_eq_u32 s25, 0x84
	s_mul_u64 s[34:35], s[22:23], s[34:35]
	s_cselect_b32 s2, -1, 0
	s_mov_b32 s11, s6
	s_and_b32 s25, vcc_lo, s2
	s_cmp_lg_u32 s24, 0x7a
	s_cselect_b32 s22, -1, 0
	s_lshl_b64 s[2:3], s[12:13], 3
	s_lshl_b64 s[4:5], s[18:19], 3
	;; [unrolled: 1-line block ×5, first 2 shown]
	s_branch .LBB171_4
.LBB171_2:                              ;   in Loop: Header=BB171_4 Depth=1
	s_wait_xcnt 0x0
	s_or_b32 exec_lo, exec_lo, s23
.LBB171_3:                              ;   in Loop: Header=BB171_4 Depth=1
	s_add_co_i32 s31, s31, 0x10000
	s_delay_alu instid0(SALU_CYCLE_1)
	s_cmp_lt_u32 s31, s30
	s_cbranch_scc0 .LBB171_19
.LBB171_4:                              ; =>This Inner Loop Header: Depth=1
	s_and_not1_b32 vcc_lo, exec_lo, s33
	s_cbranch_vccnz .LBB171_3
; %bb.5:                                ;   in Loop: Header=BB171_4 Depth=1
	v_mov_b32_e32 v23, s31
	s_clause 0x2
	global_load_b64 v[16:17], v23, s[8:9] scale_offset
	global_load_b64 v[14:15], v23, s[14:15] scale_offset
	;; [unrolled: 1-line block ×3, first 2 shown]
	ds_store_b64 v20, v[0:1]
	ds_store_b64 v22, v[0:1]
	s_wait_loadcnt_dscnt 0x0
	s_barrier_signal -1
	s_barrier_wait -1
	s_wait_xcnt 0x0
	s_and_saveexec_b32 s23, s26
	s_cbranch_execnz .LBB171_11
; %bb.6:                                ;   in Loop: Header=BB171_4 Depth=1
	s_or_b32 exec_lo, exec_lo, s23
	s_and_saveexec_b32 s23, s27
	s_cbranch_execnz .LBB171_12
.LBB171_7:                              ;   in Loop: Header=BB171_4 Depth=1
	s_or_b32 exec_lo, exec_lo, s23
	s_and_saveexec_b32 s23, s25
.LBB171_8:                              ;   in Loop: Header=BB171_4 Depth=1
	ds_store_b64 v20, v[10:11]
.LBB171_9:                              ;   in Loop: Header=BB171_4 Depth=1
	s_or_b32 exec_lo, exec_lo, s23
	s_delay_alu instid0(SALU_CYCLE_1)
	s_and_b32 vcc_lo, exec_lo, s22
	s_wait_dscnt 0x0
	s_barrier_signal -1
	s_barrier_wait -1
	s_cbranch_vccz .LBB171_13
; %bb.10:                               ;   in Loop: Header=BB171_4 Depth=1
	s_and_b32 s23, s0, exec_lo
	s_cbranch_execz .LBB171_14
	s_branch .LBB171_15
.LBB171_11:                             ;   in Loop: Header=BB171_4 Depth=1
	v_add_nc_u64_e32 v[16:17], s[2:3], v[16:17]
	s_delay_alu instid0(VALU_DEP_1) | instskip(NEXT) | instid1(VALU_DEP_1)
	v_lshl_add_u64 v[16:17], v[4:5], 3, v[16:17]
	v_add_nc_u64_e32 v[16:17], v[16:17], v[2:3]
	flat_load_b64 v[16:17], v[16:17]
	s_wait_loadcnt_dscnt 0x0
	ds_store_b64 v21, v[16:17]
	s_wait_xcnt 0x0
	s_or_b32 exec_lo, exec_lo, s23
	s_and_saveexec_b32 s23, s27
	s_cbranch_execz .LBB171_7
.LBB171_12:                             ;   in Loop: Header=BB171_4 Depth=1
	v_add_nc_u64_e32 v[14:15], s[4:5], v[14:15]
	s_delay_alu instid0(VALU_DEP_1) | instskip(NEXT) | instid1(VALU_DEP_1)
	v_add_nc_u64_e32 v[14:15], s[12:13], v[14:15]
	v_lshl_add_u64 v[14:15], v[6:7], 3, v[14:15]
	s_delay_alu instid0(VALU_DEP_1)
	v_add_nc_u64_e32 v[14:15], v[14:15], v[2:3]
	flat_load_b64 v[14:15], v[14:15]
	s_wait_loadcnt_dscnt 0x0
	ds_store_b64 v22, v[14:15]
	s_wait_xcnt 0x0
	s_or_b32 exec_lo, exec_lo, s23
	s_and_saveexec_b32 s23, s25
	s_cbranch_execnz .LBB171_8
	s_branch .LBB171_9
.LBB171_13:                             ;   in Loop: Header=BB171_4 Depth=1
	s_mov_b32 s23, 0
.LBB171_14:                             ;   in Loop: Header=BB171_4 Depth=1
	s_delay_alu instid0(SALU_CYCLE_1) | instskip(SKIP_1) | instid1(SALU_CYCLE_1)
	s_and_not1_b32 s23, s23, exec_lo
	s_and_b32 s24, s1, exec_lo
	s_or_b32 s23, s23, s24
.LBB171_15:                             ;   in Loop: Header=BB171_4 Depth=1
	s_delay_alu instid0(SALU_CYCLE_1)
	s_and_saveexec_b32 s24, s23
; %bb.16:                               ;   in Loop: Header=BB171_4 Depth=1
	ds_store_b64 v20, v[0:1]
; %bb.17:                               ;   in Loop: Header=BB171_4 Depth=1
	s_or_b32 exec_lo, exec_lo, s24
	s_wait_dscnt 0x0
	s_barrier_signal -1
	s_barrier_wait -1
	s_and_saveexec_b32 s23, s27
	s_cbranch_execz .LBB171_2
; %bb.18:                               ;   in Loop: Header=BB171_4 Depth=1
	ds_load_2addr_b64 v[14:17], v18 offset1:16
	ds_load_b128 v[24:27], v19
	ds_load_b128 v[28:31], v19 offset:16
	ds_load_2addr_b64 v[32:35], v18 offset0:32 offset1:48
	ds_load_b128 v[36:39], v19 offset:32
	ds_load_b128 v[40:43], v19 offset:48
	ds_load_2addr_b64 v[44:47], v18 offset0:64 offset1:80
	ds_load_2addr_b64 v[48:51], v18 offset0:96 offset1:112
	;; [unrolled: 1-line block ×3, first 2 shown]
	ds_load_b128 v[56:59], v19 offset:64
	ds_load_b128 v[60:63], v19 offset:80
	ds_load_2addr_b64 v[64:67], v18 offset0:160 offset1:176
	ds_load_2addr_b64 v[68:71], v18 offset0:192 offset1:208
	ds_load_b128 v[72:75], v19 offset:96
	ds_load_b128 v[76:79], v19 offset:112
	ds_load_2addr_b64 v[80:83], v18 offset0:224 offset1:240
	v_add_nc_u64_e32 v[12:13], s[16:17], v[12:13]
	s_wait_dscnt 0xe
	v_dual_mul_f32 v23, v24, v15 :: v_dual_mul_f32 v84, v26, v17
	v_dual_mul_f32 v15, v25, v15 :: v_dual_mul_f32 v17, v27, v17
	s_delay_alu instid0(VALU_DEP_3) | instskip(NEXT) | instid1(VALU_DEP_3)
	v_add_nc_u64_e32 v[12:13], s[18:19], v[12:13]
	v_dual_fmac_f32 v23, v25, v14 :: v_dual_fmac_f32 v84, v27, v16
	s_delay_alu instid0(VALU_DEP_3)
	v_dual_fma_f32 v14, v24, v14, -v15 :: v_dual_fma_f32 v15, v26, v16, -v17
	s_wait_dscnt 0xc
	v_dual_mul_f32 v16, v28, v33 :: v_dual_mul_f32 v17, v30, v35
	s_wait_dscnt 0x9
	v_dual_add_f32 v23, 0, v23 :: v_dual_mul_f32 v26, v36, v45
	v_dual_mul_f32 v24, v29, v33 :: v_dual_mul_f32 v25, v31, v35
	s_delay_alu instid0(VALU_DEP_3) | instskip(NEXT) | instid1(VALU_DEP_3)
	v_dual_fmac_f32 v16, v29, v32 :: v_dual_mul_f32 v29, v39, v47
	v_dual_add_f32 v23, v23, v84 :: v_dual_add_f32 v14, 0, v14
	s_wait_dscnt 0x8
	v_dual_mul_f32 v35, v40, v49 :: v_dual_fmac_f32 v17, v31, v34
	v_fma_f32 v24, v28, v32, -v24
	s_delay_alu instid0(VALU_DEP_3) | instskip(SKIP_2) | instid1(VALU_DEP_3)
	v_dual_add_f32 v16, v23, v16 :: v_dual_mul_f32 v23, v42, v51
	v_dual_add_f32 v14, v14, v15 :: v_dual_mul_f32 v15, v41, v49
	v_dual_mul_f32 v27, v38, v47 :: v_dual_mul_f32 v33, v37, v45
	v_dual_add_f32 v16, v16, v17 :: v_dual_fmac_f32 v26, v37, v44
	v_dual_mul_f32 v17, v43, v51 :: v_dual_fma_f32 v25, v30, v34, -v25
	s_wait_dscnt 0x6
	v_dual_mul_f32 v28, v56, v53 :: v_dual_add_f32 v14, v14, v24
	v_fmac_f32_e32 v27, v39, v46
	v_dual_add_f32 v16, v16, v26 :: v_dual_mul_f32 v24, v58, v55
	s_delay_alu instid0(VALU_DEP_3) | instskip(NEXT) | instid1(VALU_DEP_2)
	v_dual_fma_f32 v26, v36, v44, -v33 :: v_dual_add_f32 v14, v14, v25
	v_dual_fmac_f32 v35, v41, v48 :: v_dual_add_f32 v16, v16, v27
	s_wait_dscnt 0x4
	v_dual_mul_f32 v25, v60, v65 :: v_dual_fma_f32 v27, v38, v46, -v29
	s_delay_alu instid0(VALU_DEP_3) | instskip(SKIP_2) | instid1(VALU_DEP_3)
	v_add_f32_e32 v14, v14, v26
	v_dual_fmac_f32 v23, v43, v50 :: v_dual_mul_f32 v26, v62, v67
	v_add_f32_e32 v16, v16, v35
	v_dual_fma_f32 v15, v40, v48, -v15 :: v_dual_add_f32 v14, v14, v27
	v_dual_fmac_f32 v28, v57, v52 :: v_dual_fma_f32 v17, v42, v50, -v17
	s_delay_alu instid0(VALU_DEP_3) | instskip(NEXT) | instid1(VALU_DEP_3)
	v_dual_add_f32 v16, v16, v23 :: v_dual_mul_f32 v23, v57, v53
	v_dual_add_f32 v14, v14, v15 :: v_dual_fmac_f32 v24, v59, v54
	v_fmac_f32_e32 v25, v61, v64
	s_delay_alu instid0(VALU_DEP_3) | instskip(NEXT) | instid1(VALU_DEP_3)
	v_dual_add_f32 v15, v16, v28 :: v_dual_mul_f32 v16, v59, v55
	v_dual_fma_f32 v23, v56, v52, -v23 :: v_dual_add_f32 v14, v14, v17
	s_delay_alu instid0(VALU_DEP_2) | instskip(NEXT) | instid1(VALU_DEP_3)
	v_dual_mul_f32 v17, v61, v65 :: v_dual_add_f32 v15, v15, v24
	v_fma_f32 v16, v58, v54, -v16
	s_delay_alu instid0(VALU_DEP_3)
	v_dual_fmac_f32 v26, v63, v66 :: v_dual_add_f32 v14, v14, v23
	s_wait_dscnt 0x2
	v_mul_f32_e32 v23, v72, v69
	v_dual_add_f32 v15, v15, v25 :: v_dual_fma_f32 v17, v60, v64, -v17
	v_mul_f32_e32 v24, v74, v71
	v_dual_add_f32 v14, v14, v16 :: v_dual_mul_f32 v16, v63, v67
	s_delay_alu instid0(VALU_DEP_3) | instskip(NEXT) | instid1(VALU_DEP_2)
	v_dual_fmac_f32 v23, v73, v68 :: v_dual_add_f32 v15, v15, v26
	v_dual_fmac_f32 v24, v75, v70 :: v_dual_add_f32 v14, v14, v17
	s_delay_alu instid0(VALU_DEP_3) | instskip(SKIP_1) | instid1(VALU_DEP_3)
	v_dual_fma_f32 v16, v62, v66, -v16 :: v_dual_mul_f32 v17, v73, v69
	s_wait_dscnt 0x0
	v_dual_add_f32 v15, v15, v23 :: v_dual_mul_f32 v23, v76, v81
	v_lshl_add_u64 v[12:13], v[8:9], 3, v[12:13]
	s_delay_alu instid0(VALU_DEP_3) | instskip(SKIP_1) | instid1(VALU_DEP_4)
	v_add_f32_e32 v14, v14, v16
	v_dual_fma_f32 v16, v72, v68, -v17 :: v_dual_mul_f32 v17, v75, v71
	v_add_f32_e32 v15, v15, v24
	v_dual_fmac_f32 v23, v77, v80 :: v_dual_mul_f32 v24, v78, v83
	s_delay_alu instid0(VALU_DEP_3) | instskip(NEXT) | instid1(VALU_DEP_4)
	v_add_f32_e32 v14, v14, v16
	v_dual_fma_f32 v16, v74, v70, -v17 :: v_dual_mul_f32 v17, v77, v81
	s_delay_alu instid0(VALU_DEP_3) | instskip(NEXT) | instid1(VALU_DEP_4)
	v_add_f32_e32 v15, v15, v23
	v_dual_fmac_f32 v24, v79, v82 :: v_dual_mul_f32 v23, v79, v83
	s_delay_alu instid0(VALU_DEP_3) | instskip(NEXT) | instid1(VALU_DEP_4)
	v_add_f32_e32 v16, v14, v16
	v_fma_f32 v17, v76, v80, -v17
	v_add_nc_u64_e32 v[12:13], v[12:13], v[2:3]
	s_delay_alu instid0(VALU_DEP_4) | instskip(NEXT) | instid1(VALU_DEP_3)
	v_dual_add_f32 v14, v15, v24 :: v_dual_fma_f32 v23, v78, v82, -v23
	v_add_f32_e32 v15, v16, v17
	v_mov_b64_e32 v[16:17], s[10:11]
	s_delay_alu instid0(VALU_DEP_2) | instskip(NEXT) | instid1(VALU_DEP_2)
	v_add_f32_e32 v24, v15, v23
	v_pk_mul_f32 v[14:15], v[16:17], v[14:15] op_sel_hi:[1,0]
	v_mov_b64_e32 v[16:17], s[6:7]
	s_delay_alu instid0(VALU_DEP_1) | instskip(SKIP_1) | instid1(VALU_DEP_2)
	v_pk_fma_f32 v[26:27], v[16:17], v[24:25], v[14:15] op_sel_hi:[1,0,1]
	v_pk_fma_f32 v[14:15], v[16:17], v[24:25], v[14:15] neg_lo:[0,0,1] neg_hi:[0,0,1]
	v_mov_b32_e32 v15, v27
	flat_store_b64 v[12:13], v[14:15]
	s_branch .LBB171_2
.LBB171_19:
	s_sendmsg sendmsg(MSG_DEALLOC_VGPRS)
	s_endpgm
	.section	.rodata,"a",@progbits
	.p2align	6, 0x0
	.amdhsa_kernel _ZL23rocblas_trmm_lTx_kernelILi16ELb0E19rocblas_complex_numIfES1_KPKS1_KPS1_Ev13rocblas_fill_17rocblas_diagonal_iiT2_lPT3_llSB_llPT4_lli
		.amdhsa_group_segment_fixed_size 4096
		.amdhsa_private_segment_fixed_size 0
		.amdhsa_kernarg_size 108
		.amdhsa_user_sgpr_count 2
		.amdhsa_user_sgpr_dispatch_ptr 0
		.amdhsa_user_sgpr_queue_ptr 0
		.amdhsa_user_sgpr_kernarg_segment_ptr 1
		.amdhsa_user_sgpr_dispatch_id 0
		.amdhsa_user_sgpr_kernarg_preload_length 0
		.amdhsa_user_sgpr_kernarg_preload_offset 0
		.amdhsa_user_sgpr_private_segment_size 0
		.amdhsa_wavefront_size32 1
		.amdhsa_uses_dynamic_stack 0
		.amdhsa_enable_private_segment 0
		.amdhsa_system_sgpr_workgroup_id_x 1
		.amdhsa_system_sgpr_workgroup_id_y 0
		.amdhsa_system_sgpr_workgroup_id_z 1
		.amdhsa_system_sgpr_workgroup_info 0
		.amdhsa_system_vgpr_workitem_id 1
		.amdhsa_next_free_vgpr 85
		.amdhsa_next_free_sgpr 36
		.amdhsa_named_barrier_count 0
		.amdhsa_reserve_vcc 1
		.amdhsa_float_round_mode_32 0
		.amdhsa_float_round_mode_16_64 0
		.amdhsa_float_denorm_mode_32 3
		.amdhsa_float_denorm_mode_16_64 3
		.amdhsa_fp16_overflow 0
		.amdhsa_memory_ordered 1
		.amdhsa_forward_progress 1
		.amdhsa_inst_pref_size 13
		.amdhsa_round_robin_scheduling 0
		.amdhsa_exception_fp_ieee_invalid_op 0
		.amdhsa_exception_fp_denorm_src 0
		.amdhsa_exception_fp_ieee_div_zero 0
		.amdhsa_exception_fp_ieee_overflow 0
		.amdhsa_exception_fp_ieee_underflow 0
		.amdhsa_exception_fp_ieee_inexact 0
		.amdhsa_exception_int_div_zero 0
	.end_amdhsa_kernel
	.section	.text._ZL23rocblas_trmm_lTx_kernelILi16ELb0E19rocblas_complex_numIfES1_KPKS1_KPS1_Ev13rocblas_fill_17rocblas_diagonal_iiT2_lPT3_llSB_llPT4_lli,"axG",@progbits,_ZL23rocblas_trmm_lTx_kernelILi16ELb0E19rocblas_complex_numIfES1_KPKS1_KPS1_Ev13rocblas_fill_17rocblas_diagonal_iiT2_lPT3_llSB_llPT4_lli,comdat
.Lfunc_end171:
	.size	_ZL23rocblas_trmm_lTx_kernelILi16ELb0E19rocblas_complex_numIfES1_KPKS1_KPS1_Ev13rocblas_fill_17rocblas_diagonal_iiT2_lPT3_llSB_llPT4_lli, .Lfunc_end171-_ZL23rocblas_trmm_lTx_kernelILi16ELb0E19rocblas_complex_numIfES1_KPKS1_KPS1_Ev13rocblas_fill_17rocblas_diagonal_iiT2_lPT3_llSB_llPT4_lli
                                        ; -- End function
	.set _ZL23rocblas_trmm_lTx_kernelILi16ELb0E19rocblas_complex_numIfES1_KPKS1_KPS1_Ev13rocblas_fill_17rocblas_diagonal_iiT2_lPT3_llSB_llPT4_lli.num_vgpr, 85
	.set _ZL23rocblas_trmm_lTx_kernelILi16ELb0E19rocblas_complex_numIfES1_KPKS1_KPS1_Ev13rocblas_fill_17rocblas_diagonal_iiT2_lPT3_llSB_llPT4_lli.num_agpr, 0
	.set _ZL23rocblas_trmm_lTx_kernelILi16ELb0E19rocblas_complex_numIfES1_KPKS1_KPS1_Ev13rocblas_fill_17rocblas_diagonal_iiT2_lPT3_llSB_llPT4_lli.numbered_sgpr, 36
	.set _ZL23rocblas_trmm_lTx_kernelILi16ELb0E19rocblas_complex_numIfES1_KPKS1_KPS1_Ev13rocblas_fill_17rocblas_diagonal_iiT2_lPT3_llSB_llPT4_lli.num_named_barrier, 0
	.set _ZL23rocblas_trmm_lTx_kernelILi16ELb0E19rocblas_complex_numIfES1_KPKS1_KPS1_Ev13rocblas_fill_17rocblas_diagonal_iiT2_lPT3_llSB_llPT4_lli.private_seg_size, 0
	.set _ZL23rocblas_trmm_lTx_kernelILi16ELb0E19rocblas_complex_numIfES1_KPKS1_KPS1_Ev13rocblas_fill_17rocblas_diagonal_iiT2_lPT3_llSB_llPT4_lli.uses_vcc, 1
	.set _ZL23rocblas_trmm_lTx_kernelILi16ELb0E19rocblas_complex_numIfES1_KPKS1_KPS1_Ev13rocblas_fill_17rocblas_diagonal_iiT2_lPT3_llSB_llPT4_lli.uses_flat_scratch, 0
	.set _ZL23rocblas_trmm_lTx_kernelILi16ELb0E19rocblas_complex_numIfES1_KPKS1_KPS1_Ev13rocblas_fill_17rocblas_diagonal_iiT2_lPT3_llSB_llPT4_lli.has_dyn_sized_stack, 0
	.set _ZL23rocblas_trmm_lTx_kernelILi16ELb0E19rocblas_complex_numIfES1_KPKS1_KPS1_Ev13rocblas_fill_17rocblas_diagonal_iiT2_lPT3_llSB_llPT4_lli.has_recursion, 0
	.set _ZL23rocblas_trmm_lTx_kernelILi16ELb0E19rocblas_complex_numIfES1_KPKS1_KPS1_Ev13rocblas_fill_17rocblas_diagonal_iiT2_lPT3_llSB_llPT4_lli.has_indirect_call, 0
	.section	.AMDGPU.csdata,"",@progbits
; Kernel info:
; codeLenInByte = 1624
; TotalNumSgprs: 38
; NumVgprs: 85
; ScratchSize: 0
; MemoryBound: 0
; FloatMode: 240
; IeeeMode: 1
; LDSByteSize: 4096 bytes/workgroup (compile time only)
; SGPRBlocks: 0
; VGPRBlocks: 5
; NumSGPRsForWavesPerEU: 38
; NumVGPRsForWavesPerEU: 85
; NamedBarCnt: 0
; Occupancy: 10
; WaveLimiterHint : 1
; COMPUTE_PGM_RSRC2:SCRATCH_EN: 0
; COMPUTE_PGM_RSRC2:USER_SGPR: 2
; COMPUTE_PGM_RSRC2:TRAP_HANDLER: 0
; COMPUTE_PGM_RSRC2:TGID_X_EN: 1
; COMPUTE_PGM_RSRC2:TGID_Y_EN: 0
; COMPUTE_PGM_RSRC2:TGID_Z_EN: 1
; COMPUTE_PGM_RSRC2:TIDIG_COMP_CNT: 1
	.section	.text._ZL23rocblas_trmm_lTx_kernelILi16ELb1E19rocblas_complex_numIfEPKS1_KS3_KPS1_Ev13rocblas_fill_17rocblas_diagonal_iiT2_lPT3_llSB_llPT4_lli,"axG",@progbits,_ZL23rocblas_trmm_lTx_kernelILi16ELb1E19rocblas_complex_numIfEPKS1_KS3_KPS1_Ev13rocblas_fill_17rocblas_diagonal_iiT2_lPT3_llSB_llPT4_lli,comdat
	.globl	_ZL23rocblas_trmm_lTx_kernelILi16ELb1E19rocblas_complex_numIfEPKS1_KS3_KPS1_Ev13rocblas_fill_17rocblas_diagonal_iiT2_lPT3_llSB_llPT4_lli ; -- Begin function _ZL23rocblas_trmm_lTx_kernelILi16ELb1E19rocblas_complex_numIfEPKS1_KS3_KPS1_Ev13rocblas_fill_17rocblas_diagonal_iiT2_lPT3_llSB_llPT4_lli
	.p2align	8
	.type	_ZL23rocblas_trmm_lTx_kernelILi16ELb1E19rocblas_complex_numIfEPKS1_KS3_KPS1_Ev13rocblas_fill_17rocblas_diagonal_iiT2_lPT3_llSB_llPT4_lli,@function
_ZL23rocblas_trmm_lTx_kernelILi16ELb1E19rocblas_complex_numIfEPKS1_KS3_KPS1_Ev13rocblas_fill_17rocblas_diagonal_iiT2_lPT3_llSB_llPT4_lli: ; @_ZL23rocblas_trmm_lTx_kernelILi16ELb1E19rocblas_complex_numIfEPKS1_KS3_KPS1_Ev13rocblas_fill_17rocblas_diagonal_iiT2_lPT3_llSB_llPT4_lli
; %bb.0:
	s_load_b32 s33, s[0:1], 0x68
	s_bfe_u32 s2, ttmp6, 0x40014
	s_lshr_b32 s3, ttmp7, 16
	s_add_co_i32 s2, s2, 1
	s_bfe_u32 s5, ttmp6, 0x40008
	s_mul_i32 s4, s3, s2
	s_getreg_b32 s2, hwreg(HW_REG_IB_STS2, 6, 4)
	s_add_co_i32 s5, s5, s4
	s_cmp_eq_u32 s2, 0
	s_mov_b32 s7, 0
	s_cselect_b32 s6, s3, s5
	s_wait_kmcnt 0x0
	s_cmp_ge_u32 s6, s33
	s_cbranch_scc1 .LBB172_19
; %bb.1:
	s_clause 0x3
	s_load_b128 s[28:31], s[0:1], 0x0
	s_load_b512 s[8:23], s[0:1], 0x10
	s_load_b64 s[34:35], s[0:1], 0x60
	s_load_b128 s[24:27], s[0:1], 0x50
	s_wait_xcnt 0x0
	s_bfe_u32 s0, ttmp6, 0x4000c
	v_bfe_u32 v2, v0, 10, 10
	v_mov_b32_e32 v3, 0
	s_add_co_i32 s0, s0, 1
	s_and_b32 s3, ttmp6, 15
	s_mul_i32 s4, ttmp9, s0
	v_lshlrev_b32_e32 v10, 3, v2
	s_add_co_i32 s3, s3, s4
	v_and_b32_e32 v12, 0x3ff, v0
	v_lshlrev_b32_e32 v11, 4, v2
	v_mov_b64_e32 v[0:1], 0
	v_lshl_add_u32 v21, v2, 7, 0x800
	s_delay_alu instid0(VALU_DEP_4)
	v_lshlrev_b32_e32 v13, 7, v12
	v_cmp_eq_u32_e32 vcc_lo, v2, v12
	v_add_lshl_u32 v22, v11, v12, 3
	s_wait_kmcnt 0x0
	s_add_co_i32 s5, s31, -1
	v_mul_u64_e32 v[4:5], s[14:15], v[2:3]
	s_ashr_i32 s4, s5, 31
	v_mul_u64_e32 v[6:7], s[20:21], v[2:3]
	v_mul_u64_e32 v[8:9], s[26:27], v[2:3]
	s_lshr_b32 s4, s4, 28
	v_dual_lshlrev_b32 v20, 3, v12 :: v_dual_add_nc_u32 v23, v10, v13
	s_add_co_i32 s5, s5, s4
	v_mov_b64_e32 v[10:11], 0x3f800000
	s_and_b32 s4, s5, -16
	s_ashr_i32 s5, s5, 4
	s_sub_co_i32 s4, s31, s4
	s_cmp_eq_u32 s2, 0
	v_cmp_gt_i32_e64 s2, s30, v2
	s_cselect_b32 s14, ttmp9, s3
	v_cmp_gt_i32_e64 s3, s30, v12
	s_cmp_ge_i32 s14, s5
	v_cmp_lt_u32_e64 s0, v12, v2
	s_cselect_b32 s4, s4, 16
	s_lshl_b32 s14, s14, 4
	v_cmp_gt_i32_e64 s4, s4, v2
	s_and_b32 s30, s2, s3
	s_ashr_i32 s15, s14, 31
	v_cmp_gt_u32_e64 s1, v12, v2
	v_add_nc_u32_e32 v24, 0x800, v22
	s_and_b32 s3, s3, s4
	s_cmp_eq_u32 s29, 0x84
	v_lshlrev_b32_e32 v2, 3, v12
	s_cselect_b32 s2, -1, 0
	s_mul_u64 s[20:21], s[20:21], s[14:15]
	s_and_b32 s29, vcc_lo, s2
	s_cmp_lg_u32 s28, 0x7a
	s_mul_u64 s[36:37], s[26:27], s[14:15]
	s_cselect_b32 s26, -1, 0
	s_lshl_b64 s[4:5], s[16:17], 3
	s_lshl_b64 s[14:15], s[22:23], 3
	;; [unrolled: 1-line block ×5, first 2 shown]
	s_branch .LBB172_4
.LBB172_2:                              ;   in Loop: Header=BB172_4 Depth=1
	s_wait_xcnt 0x0
	s_or_b32 exec_lo, exec_lo, s2
.LBB172_3:                              ;   in Loop: Header=BB172_4 Depth=1
	s_add_co_i32 s6, s6, 0x10000
	s_delay_alu instid0(SALU_CYCLE_1)
	s_cmp_lt_u32 s6, s33
	s_cbranch_scc0 .LBB172_19
.LBB172_4:                              ; =>This Inner Loop Header: Depth=1
	s_wait_xcnt 0x0
	s_mul_u64 s[34:35], s[10:11], s[6:7]
	s_delay_alu instid0(SALU_CYCLE_1) | instskip(NEXT) | instid1(SALU_CYCLE_1)
	s_lshl_b64 s[34:35], s[34:35], 3
	s_add_nc_u64 s[34:35], s[8:9], s[34:35]
	global_load_b64 v[12:13], v3, s[34:35]
	s_wait_loadcnt 0x0
	v_cmp_neq_f32_e32 vcc_lo, 0, v12
	v_cmp_neq_f32_e64 s2, 0, v13
	s_or_b32 s2, vcc_lo, s2
	s_delay_alu instid0(SALU_CYCLE_1)
	s_and_not1_b32 vcc_lo, exec_lo, s2
	s_cbranch_vccnz .LBB172_3
; %bb.5:                                ;   in Loop: Header=BB172_4 Depth=1
	s_wait_xcnt 0x0
	s_lshl_b64 s[34:35], s[6:7], 3
	s_delay_alu instid0(SALU_CYCLE_1)
	s_add_nc_u64 s[36:37], s[12:13], s[34:35]
	s_add_nc_u64 s[38:39], s[18:19], s[34:35]
	;; [unrolled: 1-line block ×3, first 2 shown]
	s_clause 0x2
	global_load_b64 v[18:19], v3, s[36:37]
	global_load_b64 v[16:17], v3, s[38:39]
	;; [unrolled: 1-line block ×3, first 2 shown]
	ds_store_b64 v22, v[0:1]
	ds_store_b64 v24, v[0:1]
	s_wait_loadcnt_dscnt 0x0
	s_barrier_signal -1
	s_barrier_wait -1
	s_wait_xcnt 0x0
	s_and_saveexec_b32 s2, s30
	s_cbranch_execnz .LBB172_11
; %bb.6:                                ;   in Loop: Header=BB172_4 Depth=1
	s_or_b32 exec_lo, exec_lo, s2
	s_and_saveexec_b32 s2, s3
	s_cbranch_execnz .LBB172_12
.LBB172_7:                              ;   in Loop: Header=BB172_4 Depth=1
	s_or_b32 exec_lo, exec_lo, s2
	s_and_saveexec_b32 s2, s29
.LBB172_8:                              ;   in Loop: Header=BB172_4 Depth=1
	ds_store_b64 v22, v[10:11]
.LBB172_9:                              ;   in Loop: Header=BB172_4 Depth=1
	s_or_b32 exec_lo, exec_lo, s2
	s_delay_alu instid0(SALU_CYCLE_1)
	s_and_b32 vcc_lo, exec_lo, s26
	s_wait_dscnt 0x0
	s_barrier_signal -1
	s_barrier_wait -1
	s_cbranch_vccz .LBB172_13
; %bb.10:                               ;   in Loop: Header=BB172_4 Depth=1
	s_and_b32 s2, s0, exec_lo
	s_cbranch_execz .LBB172_14
	s_branch .LBB172_15
.LBB172_11:                             ;   in Loop: Header=BB172_4 Depth=1
	v_add_nc_u64_e32 v[18:19], s[4:5], v[18:19]
	s_delay_alu instid0(VALU_DEP_1) | instskip(NEXT) | instid1(VALU_DEP_1)
	v_lshl_add_u64 v[18:19], v[4:5], 3, v[18:19]
	v_add_nc_u64_e32 v[18:19], v[18:19], v[2:3]
	flat_load_b64 v[18:19], v[18:19]
	s_wait_loadcnt_dscnt 0x0
	s_wait_xcnt 0x0
	v_xor_b32_e32 v19, 0x80000000, v19
	ds_store_b64 v23, v[18:19]
	s_or_b32 exec_lo, exec_lo, s2
	s_and_saveexec_b32 s2, s3
	s_cbranch_execz .LBB172_7
.LBB172_12:                             ;   in Loop: Header=BB172_4 Depth=1
	v_add_nc_u64_e32 v[16:17], s[14:15], v[16:17]
	s_delay_alu instid0(VALU_DEP_1) | instskip(NEXT) | instid1(VALU_DEP_1)
	v_add_nc_u64_e32 v[16:17], s[16:17], v[16:17]
	v_lshl_add_u64 v[16:17], v[6:7], 3, v[16:17]
	s_delay_alu instid0(VALU_DEP_1)
	v_add_nc_u64_e32 v[16:17], v[16:17], v[2:3]
	flat_load_b64 v[16:17], v[16:17]
	s_wait_loadcnt_dscnt 0x0
	ds_store_b64 v24, v[16:17]
	s_wait_xcnt 0x0
	s_or_b32 exec_lo, exec_lo, s2
	s_and_saveexec_b32 s2, s29
	s_cbranch_execnz .LBB172_8
	s_branch .LBB172_9
.LBB172_13:                             ;   in Loop: Header=BB172_4 Depth=1
	s_mov_b32 s2, 0
.LBB172_14:                             ;   in Loop: Header=BB172_4 Depth=1
	s_delay_alu instid0(SALU_CYCLE_1) | instskip(SKIP_1) | instid1(SALU_CYCLE_1)
	s_and_not1_b32 s2, s2, exec_lo
	s_and_b32 s27, s1, exec_lo
	s_or_b32 s2, s2, s27
.LBB172_15:                             ;   in Loop: Header=BB172_4 Depth=1
	s_delay_alu instid0(SALU_CYCLE_1)
	s_and_saveexec_b32 s27, s2
; %bb.16:                               ;   in Loop: Header=BB172_4 Depth=1
	ds_store_b64 v22, v[0:1]
; %bb.17:                               ;   in Loop: Header=BB172_4 Depth=1
	s_or_b32 exec_lo, exec_lo, s27
	s_wait_dscnt 0x0
	s_barrier_signal -1
	s_barrier_wait -1
	s_and_saveexec_b32 s2, s3
	s_cbranch_execz .LBB172_2
; %bb.18:                               ;   in Loop: Header=BB172_4 Depth=1
	ds_load_2addr_b64 v[16:19], v20 offset1:16
	ds_load_b128 v[26:29], v21
	ds_load_b128 v[30:33], v21 offset:16
	ds_load_2addr_b64 v[34:37], v20 offset0:32 offset1:48
	ds_load_b128 v[38:41], v21 offset:32
	ds_load_b128 v[42:45], v21 offset:48
	ds_load_2addr_b64 v[46:49], v20 offset0:64 offset1:80
	ds_load_2addr_b64 v[50:53], v20 offset0:96 offset1:112
	;; [unrolled: 1-line block ×3, first 2 shown]
	ds_load_b128 v[58:61], v21 offset:64
	ds_load_b128 v[62:65], v21 offset:80
	ds_load_2addr_b64 v[66:69], v20 offset0:160 offset1:176
	ds_load_2addr_b64 v[70:73], v20 offset0:192 offset1:208
	ds_load_b128 v[74:77], v21 offset:96
	ds_load_b128 v[78:81], v21 offset:112
	v_add_nc_u64_e32 v[14:15], s[20:21], v[14:15]
	s_delay_alu instid0(VALU_DEP_1) | instskip(SKIP_4) | instid1(VALU_DEP_2)
	v_add_nc_u64_e32 v[14:15], s[22:23], v[14:15]
	s_wait_dscnt 0xd
	v_dual_mul_f32 v25, v26, v17 :: v_dual_mul_f32 v82, v28, v19
	v_dual_mul_f32 v17, v27, v17 :: v_dual_mul_f32 v19, v29, v19
	s_wait_dscnt 0x8
	v_dual_mul_f32 v83, v38, v47 :: v_dual_fmac_f32 v25, v27, v16
	s_delay_alu instid0(VALU_DEP_2) | instskip(NEXT) | instid1(VALU_DEP_3)
	v_dual_fmac_f32 v82, v29, v18 :: v_dual_fma_f32 v26, v26, v16, -v17
	v_dual_fma_f32 v27, v28, v18, -v19 :: v_dual_mul_f32 v28, v30, v35
	v_mul_f32_e32 v29, v32, v37
	s_delay_alu instid0(VALU_DEP_4) | instskip(NEXT) | instid1(VALU_DEP_3)
	v_dual_add_f32 v25, 0, v25 :: v_dual_mul_f32 v35, v31, v35
	v_dual_mul_f32 v84, v40, v49 :: v_dual_fmac_f32 v28, v31, v34
	v_add_f32_e32 v26, 0, v26
	s_delay_alu instid0(VALU_DEP_3) | instskip(SKIP_3) | instid1(VALU_DEP_3)
	v_add_f32_e32 v25, v25, v82
	v_dual_mul_f32 v37, v33, v37 :: v_dual_mul_f32 v47, v39, v47
	v_dual_fmac_f32 v29, v33, v36 :: v_dual_fma_f32 v30, v30, v34, -v35
	s_wait_dscnt 0x7
	v_dual_mul_f32 v33, v42, v51 :: v_dual_add_f32 v25, v25, v28
	v_dual_mul_f32 v28, v44, v53 :: v_dual_add_f32 v26, v26, v27
	v_dual_fmac_f32 v83, v39, v46 :: v_dual_fma_f32 v31, v32, v36, -v37
	v_dual_mul_f32 v32, v41, v49 :: v_dual_mul_f32 v34, v43, v51
	s_delay_alu instid0(VALU_DEP_3) | instskip(SKIP_2) | instid1(VALU_DEP_2)
	v_dual_add_f32 v25, v25, v29 :: v_dual_add_f32 v26, v26, v30
	s_wait_dscnt 0x5
	v_dual_fmac_f32 v84, v41, v48 :: v_dual_mul_f32 v30, v60, v57
	v_dual_fmac_f32 v33, v43, v50 :: v_dual_add_f32 v25, v25, v83
	v_fma_f32 v35, v38, v46, -v47
	v_add_f32_e32 v26, v26, v31
	s_wait_dscnt 0x3
	v_dual_mul_f32 v31, v62, v67 :: v_dual_fma_f32 v32, v40, v48, -v32
	v_add_f32_e32 v25, v25, v84
	v_dual_mul_f32 v27, v45, v53 :: v_dual_mul_f32 v29, v58, v55
	v_dual_add_f32 v26, v26, v35 :: v_dual_fmac_f32 v28, v45, v52
	s_delay_alu instid0(VALU_DEP_3) | instskip(NEXT) | instid1(VALU_DEP_2)
	v_dual_add_f32 v25, v25, v33 :: v_dual_fma_f32 v34, v42, v50, -v34
	v_dual_mul_f32 v33, v64, v69 :: v_dual_add_f32 v26, v26, v32
	s_delay_alu instid0(VALU_DEP_2) | instskip(SKIP_1) | instid1(VALU_DEP_3)
	v_dual_fmac_f32 v29, v59, v54 :: v_dual_add_f32 v25, v25, v28
	v_dual_mul_f32 v28, v59, v55 :: v_dual_fma_f32 v27, v44, v52, -v27
	v_dual_add_f32 v26, v26, v34 :: v_dual_fmac_f32 v30, v61, v56
	ds_load_2addr_b64 v[16:19], v20 offset0:224 offset1:240
	v_dual_add_f32 v25, v25, v29 :: v_dual_fma_f32 v28, v58, v54, -v28
	v_dual_mul_f32 v29, v61, v57 :: v_dual_add_f32 v26, v26, v27
	v_dual_fmac_f32 v31, v63, v66 :: v_dual_mul_f32 v27, v63, v67
	s_delay_alu instid0(VALU_DEP_2) | instskip(NEXT) | instid1(VALU_DEP_3)
	v_dual_add_f32 v25, v25, v30 :: v_dual_fma_f32 v29, v60, v56, -v29
	v_add_f32_e32 v26, v26, v28
	s_wait_dscnt 0x2
	v_dual_fmac_f32 v33, v65, v68 :: v_dual_mul_f32 v28, v74, v71
	s_delay_alu instid0(VALU_DEP_3) | instskip(NEXT) | instid1(VALU_DEP_3)
	v_dual_add_f32 v25, v25, v31 :: v_dual_fma_f32 v27, v62, v66, -v27
	v_add_f32_e32 v26, v26, v29
	s_delay_alu instid0(VALU_DEP_3) | instskip(NEXT) | instid1(VALU_DEP_3)
	v_dual_mul_f32 v29, v65, v69 :: v_dual_fmac_f32 v28, v75, v70
	v_add_f32_e32 v25, v25, v33
	s_delay_alu instid0(VALU_DEP_3) | instskip(NEXT) | instid1(VALU_DEP_3)
	v_dual_mul_f32 v30, v76, v73 :: v_dual_add_f32 v26, v26, v27
	v_dual_fma_f32 v27, v64, v68, -v29 :: v_dual_mul_f32 v29, v75, v71
	s_delay_alu instid0(VALU_DEP_3) | instskip(SKIP_1) | instid1(VALU_DEP_3)
	v_add_f32_e32 v25, v25, v28
	s_wait_dscnt 0x0
	v_dual_fmac_f32 v30, v77, v72 :: v_dual_mul_f32 v28, v78, v17
	s_delay_alu instid0(VALU_DEP_3) | instskip(SKIP_1) | instid1(VALU_DEP_3)
	v_add_f32_e32 v26, v26, v27
	v_dual_fma_f32 v27, v74, v70, -v29 :: v_dual_mul_f32 v29, v77, v73
	v_dual_add_f32 v25, v25, v30 :: v_dual_fmac_f32 v28, v79, v16
	s_delay_alu instid0(VALU_DEP_2) | instskip(NEXT) | instid1(VALU_DEP_3)
	v_dual_mul_f32 v17, v79, v17 :: v_dual_add_f32 v26, v26, v27
	v_fma_f32 v27, v76, v72, -v29
	s_delay_alu instid0(VALU_DEP_3) | instskip(NEXT) | instid1(VALU_DEP_3)
	v_dual_mul_f32 v29, v80, v19 :: v_dual_add_f32 v25, v25, v28
	v_dual_fma_f32 v16, v78, v16, -v17 :: v_dual_mul_f32 v17, v81, v19
	s_delay_alu instid0(VALU_DEP_2) | instskip(SKIP_1) | instid1(VALU_DEP_2)
	v_dual_add_f32 v26, v26, v27 :: v_dual_fmac_f32 v29, v81, v18
	v_lshl_add_u64 v[14:15], v[8:9], 3, v[14:15]
	v_dual_fma_f32 v17, v80, v18, -v17 :: v_dual_add_f32 v19, v26, v16
	s_delay_alu instid0(VALU_DEP_3) | instskip(NEXT) | instid1(VALU_DEP_3)
	v_add_f32_e32 v16, v25, v29
	v_add_nc_u64_e32 v[14:15], v[14:15], v[2:3]
	s_delay_alu instid0(VALU_DEP_3) | instskip(NEXT) | instid1(VALU_DEP_3)
	v_add_f32_e32 v18, v19, v17
	v_pk_mul_f32 v[16:17], v[12:13], v[16:17] op_sel:[1,0] op_sel_hi:[0,0]
	s_delay_alu instid0(VALU_DEP_1) | instskip(SKIP_1) | instid1(VALU_DEP_2)
	v_pk_fma_f32 v[26:27], v[12:13], v[18:19], v[16:17] op_sel_hi:[1,0,1]
	v_pk_fma_f32 v[12:13], v[12:13], v[18:19], v[16:17] neg_lo:[0,0,1] neg_hi:[0,0,1]
	v_mov_b32_e32 v13, v27
	flat_store_b64 v[14:15], v[12:13]
	s_branch .LBB172_2
.LBB172_19:
	s_sendmsg sendmsg(MSG_DEALLOC_VGPRS)
	s_endpgm
	.section	.rodata,"a",@progbits
	.p2align	6, 0x0
	.amdhsa_kernel _ZL23rocblas_trmm_lTx_kernelILi16ELb1E19rocblas_complex_numIfEPKS1_KS3_KPS1_Ev13rocblas_fill_17rocblas_diagonal_iiT2_lPT3_llSB_llPT4_lli
		.amdhsa_group_segment_fixed_size 4096
		.amdhsa_private_segment_fixed_size 0
		.amdhsa_kernarg_size 108
		.amdhsa_user_sgpr_count 2
		.amdhsa_user_sgpr_dispatch_ptr 0
		.amdhsa_user_sgpr_queue_ptr 0
		.amdhsa_user_sgpr_kernarg_segment_ptr 1
		.amdhsa_user_sgpr_dispatch_id 0
		.amdhsa_user_sgpr_kernarg_preload_length 0
		.amdhsa_user_sgpr_kernarg_preload_offset 0
		.amdhsa_user_sgpr_private_segment_size 0
		.amdhsa_wavefront_size32 1
		.amdhsa_uses_dynamic_stack 0
		.amdhsa_enable_private_segment 0
		.amdhsa_system_sgpr_workgroup_id_x 1
		.amdhsa_system_sgpr_workgroup_id_y 0
		.amdhsa_system_sgpr_workgroup_id_z 1
		.amdhsa_system_sgpr_workgroup_info 0
		.amdhsa_system_vgpr_workitem_id 1
		.amdhsa_next_free_vgpr 85
		.amdhsa_next_free_sgpr 40
		.amdhsa_named_barrier_count 0
		.amdhsa_reserve_vcc 1
		.amdhsa_float_round_mode_32 0
		.amdhsa_float_round_mode_16_64 0
		.amdhsa_float_denorm_mode_32 3
		.amdhsa_float_denorm_mode_16_64 3
		.amdhsa_fp16_overflow 0
		.amdhsa_memory_ordered 1
		.amdhsa_forward_progress 1
		.amdhsa_inst_pref_size 14
		.amdhsa_round_robin_scheduling 0
		.amdhsa_exception_fp_ieee_invalid_op 0
		.amdhsa_exception_fp_denorm_src 0
		.amdhsa_exception_fp_ieee_div_zero 0
		.amdhsa_exception_fp_ieee_overflow 0
		.amdhsa_exception_fp_ieee_underflow 0
		.amdhsa_exception_fp_ieee_inexact 0
		.amdhsa_exception_int_div_zero 0
	.end_amdhsa_kernel
	.section	.text._ZL23rocblas_trmm_lTx_kernelILi16ELb1E19rocblas_complex_numIfEPKS1_KS3_KPS1_Ev13rocblas_fill_17rocblas_diagonal_iiT2_lPT3_llSB_llPT4_lli,"axG",@progbits,_ZL23rocblas_trmm_lTx_kernelILi16ELb1E19rocblas_complex_numIfEPKS1_KS3_KPS1_Ev13rocblas_fill_17rocblas_diagonal_iiT2_lPT3_llSB_llPT4_lli,comdat
.Lfunc_end172:
	.size	_ZL23rocblas_trmm_lTx_kernelILi16ELb1E19rocblas_complex_numIfEPKS1_KS3_KPS1_Ev13rocblas_fill_17rocblas_diagonal_iiT2_lPT3_llSB_llPT4_lli, .Lfunc_end172-_ZL23rocblas_trmm_lTx_kernelILi16ELb1E19rocblas_complex_numIfEPKS1_KS3_KPS1_Ev13rocblas_fill_17rocblas_diagonal_iiT2_lPT3_llSB_llPT4_lli
                                        ; -- End function
	.set _ZL23rocblas_trmm_lTx_kernelILi16ELb1E19rocblas_complex_numIfEPKS1_KS3_KPS1_Ev13rocblas_fill_17rocblas_diagonal_iiT2_lPT3_llSB_llPT4_lli.num_vgpr, 85
	.set _ZL23rocblas_trmm_lTx_kernelILi16ELb1E19rocblas_complex_numIfEPKS1_KS3_KPS1_Ev13rocblas_fill_17rocblas_diagonal_iiT2_lPT3_llSB_llPT4_lli.num_agpr, 0
	.set _ZL23rocblas_trmm_lTx_kernelILi16ELb1E19rocblas_complex_numIfEPKS1_KS3_KPS1_Ev13rocblas_fill_17rocblas_diagonal_iiT2_lPT3_llSB_llPT4_lli.numbered_sgpr, 40
	.set _ZL23rocblas_trmm_lTx_kernelILi16ELb1E19rocblas_complex_numIfEPKS1_KS3_KPS1_Ev13rocblas_fill_17rocblas_diagonal_iiT2_lPT3_llSB_llPT4_lli.num_named_barrier, 0
	.set _ZL23rocblas_trmm_lTx_kernelILi16ELb1E19rocblas_complex_numIfEPKS1_KS3_KPS1_Ev13rocblas_fill_17rocblas_diagonal_iiT2_lPT3_llSB_llPT4_lli.private_seg_size, 0
	.set _ZL23rocblas_trmm_lTx_kernelILi16ELb1E19rocblas_complex_numIfEPKS1_KS3_KPS1_Ev13rocblas_fill_17rocblas_diagonal_iiT2_lPT3_llSB_llPT4_lli.uses_vcc, 1
	.set _ZL23rocblas_trmm_lTx_kernelILi16ELb1E19rocblas_complex_numIfEPKS1_KS3_KPS1_Ev13rocblas_fill_17rocblas_diagonal_iiT2_lPT3_llSB_llPT4_lli.uses_flat_scratch, 0
	.set _ZL23rocblas_trmm_lTx_kernelILi16ELb1E19rocblas_complex_numIfEPKS1_KS3_KPS1_Ev13rocblas_fill_17rocblas_diagonal_iiT2_lPT3_llSB_llPT4_lli.has_dyn_sized_stack, 0
	.set _ZL23rocblas_trmm_lTx_kernelILi16ELb1E19rocblas_complex_numIfEPKS1_KS3_KPS1_Ev13rocblas_fill_17rocblas_diagonal_iiT2_lPT3_llSB_llPT4_lli.has_recursion, 0
	.set _ZL23rocblas_trmm_lTx_kernelILi16ELb1E19rocblas_complex_numIfEPKS1_KS3_KPS1_Ev13rocblas_fill_17rocblas_diagonal_iiT2_lPT3_llSB_llPT4_lli.has_indirect_call, 0
	.section	.AMDGPU.csdata,"",@progbits
; Kernel info:
; codeLenInByte = 1692
; TotalNumSgprs: 42
; NumVgprs: 85
; ScratchSize: 0
; MemoryBound: 0
; FloatMode: 240
; IeeeMode: 1
; LDSByteSize: 4096 bytes/workgroup (compile time only)
; SGPRBlocks: 0
; VGPRBlocks: 5
; NumSGPRsForWavesPerEU: 42
; NumVGPRsForWavesPerEU: 85
; NamedBarCnt: 0
; Occupancy: 10
; WaveLimiterHint : 1
; COMPUTE_PGM_RSRC2:SCRATCH_EN: 0
; COMPUTE_PGM_RSRC2:USER_SGPR: 2
; COMPUTE_PGM_RSRC2:TRAP_HANDLER: 0
; COMPUTE_PGM_RSRC2:TGID_X_EN: 1
; COMPUTE_PGM_RSRC2:TGID_Y_EN: 0
; COMPUTE_PGM_RSRC2:TGID_Z_EN: 1
; COMPUTE_PGM_RSRC2:TIDIG_COMP_CNT: 1
	.section	.text._ZL23rocblas_trmm_lTx_kernelILi16ELb1E19rocblas_complex_numIfES1_KPKS1_KPS1_Ev13rocblas_fill_17rocblas_diagonal_iiT2_lPT3_llSB_llPT4_lli,"axG",@progbits,_ZL23rocblas_trmm_lTx_kernelILi16ELb1E19rocblas_complex_numIfES1_KPKS1_KPS1_Ev13rocblas_fill_17rocblas_diagonal_iiT2_lPT3_llSB_llPT4_lli,comdat
	.globl	_ZL23rocblas_trmm_lTx_kernelILi16ELb1E19rocblas_complex_numIfES1_KPKS1_KPS1_Ev13rocblas_fill_17rocblas_diagonal_iiT2_lPT3_llSB_llPT4_lli ; -- Begin function _ZL23rocblas_trmm_lTx_kernelILi16ELb1E19rocblas_complex_numIfES1_KPKS1_KPS1_Ev13rocblas_fill_17rocblas_diagonal_iiT2_lPT3_llSB_llPT4_lli
	.p2align	8
	.type	_ZL23rocblas_trmm_lTx_kernelILi16ELb1E19rocblas_complex_numIfES1_KPKS1_KPS1_Ev13rocblas_fill_17rocblas_diagonal_iiT2_lPT3_llSB_llPT4_lli,@function
_ZL23rocblas_trmm_lTx_kernelILi16ELb1E19rocblas_complex_numIfES1_KPKS1_KPS1_Ev13rocblas_fill_17rocblas_diagonal_iiT2_lPT3_llSB_llPT4_lli: ; @_ZL23rocblas_trmm_lTx_kernelILi16ELb1E19rocblas_complex_numIfES1_KPKS1_KPS1_Ev13rocblas_fill_17rocblas_diagonal_iiT2_lPT3_llSB_llPT4_lli
; %bb.0:
	s_load_b32 s30, s[0:1], 0x68
	s_bfe_u32 s2, ttmp6, 0x40014
	s_lshr_b32 s3, ttmp7, 16
	s_add_co_i32 s2, s2, 1
	s_bfe_u32 s5, ttmp6, 0x40008
	s_mul_i32 s4, s3, s2
	s_getreg_b32 s2, hwreg(HW_REG_IB_STS2, 6, 4)
	s_add_co_i32 s5, s5, s4
	s_cmp_eq_u32 s2, 0
	s_cselect_b32 s31, s3, s5
	s_wait_kmcnt 0x0
	s_cmp_ge_u32 s31, s30
	s_cbranch_scc1 .LBB173_19
; %bb.1:
	s_clause 0x2
	s_load_b64 s[6:7], s[0:1], 0x10
	s_load_b512 s[8:23], s[0:1], 0x20
	s_load_b128 s[24:27], s[0:1], 0x0
	v_bfe_u32 v2, v0, 10, 10
	v_and_b32_e32 v12, 0x3ff, v0
	v_mov_b32_e32 v3, 0
	s_load_b64 s[28:29], s[0:1], 0x60
	v_mov_b64_e32 v[0:1], 0
	v_dual_lshlrev_b32 v4, 3, v2 :: v_dual_lshlrev_b32 v5, 4, v2
	v_dual_lshlrev_b32 v6, 7, v12 :: v_dual_lshlrev_b32 v18, 3, v12
	v_cmp_eq_u32_e32 vcc_lo, v2, v12
	v_mov_b64_e32 v[10:11], 0x3f800000
	s_delay_alu instid0(VALU_DEP_4) | instskip(NEXT) | instid1(VALU_DEP_4)
	v_add_lshl_u32 v20, v5, v12, 3
	v_add_nc_u32_e32 v21, v4, v6
	s_wait_xcnt 0x0
	v_cmp_lt_u32_e64 s0, v12, v2
	v_cmp_gt_u32_e64 s1, v12, v2
	v_lshl_add_u32 v19, v2, 7, 0x800
	v_add_nc_u32_e32 v22, 0x800, v20
	s_wait_kmcnt 0x0
	s_cmp_neq_f32 s6, 0
	v_mul_u64_e32 v[4:5], s[10:11], v[2:3]
	v_mul_u64_e32 v[6:7], s[16:17], v[2:3]
	;; [unrolled: 1-line block ×3, first 2 shown]
	s_cselect_b32 s3, -1, 0
	s_cmp_neq_f32 s7, 0
	s_cselect_b32 s4, -1, 0
	s_add_co_i32 s5, s27, -1
	s_or_b32 s33, s3, s4
	s_ashr_i32 s3, s5, 31
	s_bfe_u32 s11, ttmp6, 0x4000c
	s_lshr_b32 s3, s3, 28
	s_add_co_i32 s11, s11, 1
	s_add_co_i32 s5, s5, s3
	s_and_b32 s10, ttmp6, 15
	s_mul_i32 s4, ttmp9, s11
	s_and_b32 s3, s5, -16
	s_add_co_i32 s10, s10, s4
	s_ashr_i32 s4, s5, 4
	s_sub_co_i32 s5, s27, s3
	s_cmp_eq_u32 s2, 0
	v_cmp_gt_i32_e64 s2, s26, v2
	s_cselect_b32 s27, ttmp9, s10
	v_cmp_gt_i32_e64 s3, s26, v12
	s_cmp_ge_i32 s27, s4
	s_mov_b32 s10, s7
	s_cselect_b32 s4, s5, 16
	s_lshl_b32 s34, s27, 4
	v_cmp_gt_i32_e64 s4, s4, v2
	s_and_b32 s26, s2, s3
	s_ashr_i32 s35, s34, 31
	v_lshlrev_b32_e32 v2, 3, v12
	s_mul_u64 s[16:17], s[16:17], s[34:35]
	s_and_b32 s27, s3, s4
	s_cmp_eq_u32 s25, 0x84
	s_mul_u64 s[34:35], s[22:23], s[34:35]
	s_cselect_b32 s2, -1, 0
	s_mov_b32 s11, s6
	s_and_b32 s25, vcc_lo, s2
	s_cmp_lg_u32 s24, 0x7a
	s_cselect_b32 s22, -1, 0
	s_lshl_b64 s[2:3], s[12:13], 3
	s_lshl_b64 s[4:5], s[18:19], 3
	;; [unrolled: 1-line block ×5, first 2 shown]
	s_branch .LBB173_4
.LBB173_2:                              ;   in Loop: Header=BB173_4 Depth=1
	s_wait_xcnt 0x0
	s_or_b32 exec_lo, exec_lo, s23
.LBB173_3:                              ;   in Loop: Header=BB173_4 Depth=1
	s_add_co_i32 s31, s31, 0x10000
	s_delay_alu instid0(SALU_CYCLE_1)
	s_cmp_lt_u32 s31, s30
	s_cbranch_scc0 .LBB173_19
.LBB173_4:                              ; =>This Inner Loop Header: Depth=1
	s_and_not1_b32 vcc_lo, exec_lo, s33
	s_cbranch_vccnz .LBB173_3
; %bb.5:                                ;   in Loop: Header=BB173_4 Depth=1
	v_mov_b32_e32 v23, s31
	s_clause 0x2
	global_load_b64 v[16:17], v23, s[8:9] scale_offset
	global_load_b64 v[14:15], v23, s[14:15] scale_offset
	;; [unrolled: 1-line block ×3, first 2 shown]
	ds_store_b64 v20, v[0:1]
	ds_store_b64 v22, v[0:1]
	s_wait_loadcnt_dscnt 0x0
	s_barrier_signal -1
	s_barrier_wait -1
	s_wait_xcnt 0x0
	s_and_saveexec_b32 s23, s26
	s_cbranch_execnz .LBB173_11
; %bb.6:                                ;   in Loop: Header=BB173_4 Depth=1
	s_or_b32 exec_lo, exec_lo, s23
	s_and_saveexec_b32 s23, s27
	s_cbranch_execnz .LBB173_12
.LBB173_7:                              ;   in Loop: Header=BB173_4 Depth=1
	s_or_b32 exec_lo, exec_lo, s23
	s_and_saveexec_b32 s23, s25
.LBB173_8:                              ;   in Loop: Header=BB173_4 Depth=1
	ds_store_b64 v20, v[10:11]
.LBB173_9:                              ;   in Loop: Header=BB173_4 Depth=1
	s_or_b32 exec_lo, exec_lo, s23
	s_delay_alu instid0(SALU_CYCLE_1)
	s_and_b32 vcc_lo, exec_lo, s22
	s_wait_dscnt 0x0
	s_barrier_signal -1
	s_barrier_wait -1
	s_cbranch_vccz .LBB173_13
; %bb.10:                               ;   in Loop: Header=BB173_4 Depth=1
	s_and_b32 s23, s0, exec_lo
	s_cbranch_execz .LBB173_14
	s_branch .LBB173_15
.LBB173_11:                             ;   in Loop: Header=BB173_4 Depth=1
	v_add_nc_u64_e32 v[16:17], s[2:3], v[16:17]
	s_delay_alu instid0(VALU_DEP_1) | instskip(NEXT) | instid1(VALU_DEP_1)
	v_lshl_add_u64 v[16:17], v[4:5], 3, v[16:17]
	v_add_nc_u64_e32 v[16:17], v[16:17], v[2:3]
	flat_load_b64 v[16:17], v[16:17]
	s_wait_loadcnt_dscnt 0x0
	s_wait_xcnt 0x0
	v_xor_b32_e32 v17, 0x80000000, v17
	ds_store_b64 v21, v[16:17]
	s_or_b32 exec_lo, exec_lo, s23
	s_and_saveexec_b32 s23, s27
	s_cbranch_execz .LBB173_7
.LBB173_12:                             ;   in Loop: Header=BB173_4 Depth=1
	v_add_nc_u64_e32 v[14:15], s[4:5], v[14:15]
	s_delay_alu instid0(VALU_DEP_1) | instskip(NEXT) | instid1(VALU_DEP_1)
	v_add_nc_u64_e32 v[14:15], s[12:13], v[14:15]
	v_lshl_add_u64 v[14:15], v[6:7], 3, v[14:15]
	s_delay_alu instid0(VALU_DEP_1)
	v_add_nc_u64_e32 v[14:15], v[14:15], v[2:3]
	flat_load_b64 v[14:15], v[14:15]
	s_wait_loadcnt_dscnt 0x0
	ds_store_b64 v22, v[14:15]
	s_wait_xcnt 0x0
	s_or_b32 exec_lo, exec_lo, s23
	s_and_saveexec_b32 s23, s25
	s_cbranch_execnz .LBB173_8
	s_branch .LBB173_9
.LBB173_13:                             ;   in Loop: Header=BB173_4 Depth=1
	s_mov_b32 s23, 0
.LBB173_14:                             ;   in Loop: Header=BB173_4 Depth=1
	s_delay_alu instid0(SALU_CYCLE_1) | instskip(SKIP_1) | instid1(SALU_CYCLE_1)
	s_and_not1_b32 s23, s23, exec_lo
	s_and_b32 s24, s1, exec_lo
	s_or_b32 s23, s23, s24
.LBB173_15:                             ;   in Loop: Header=BB173_4 Depth=1
	s_delay_alu instid0(SALU_CYCLE_1)
	s_and_saveexec_b32 s24, s23
; %bb.16:                               ;   in Loop: Header=BB173_4 Depth=1
	ds_store_b64 v20, v[0:1]
; %bb.17:                               ;   in Loop: Header=BB173_4 Depth=1
	s_or_b32 exec_lo, exec_lo, s24
	s_wait_dscnt 0x0
	s_barrier_signal -1
	s_barrier_wait -1
	s_and_saveexec_b32 s23, s27
	s_cbranch_execz .LBB173_2
; %bb.18:                               ;   in Loop: Header=BB173_4 Depth=1
	ds_load_2addr_b64 v[14:17], v18 offset1:16
	ds_load_b128 v[24:27], v19
	ds_load_b128 v[28:31], v19 offset:16
	ds_load_2addr_b64 v[32:35], v18 offset0:32 offset1:48
	ds_load_b128 v[36:39], v19 offset:32
	ds_load_b128 v[40:43], v19 offset:48
	ds_load_2addr_b64 v[44:47], v18 offset0:64 offset1:80
	ds_load_2addr_b64 v[48:51], v18 offset0:96 offset1:112
	;; [unrolled: 1-line block ×3, first 2 shown]
	ds_load_b128 v[56:59], v19 offset:64
	ds_load_b128 v[60:63], v19 offset:80
	ds_load_2addr_b64 v[64:67], v18 offset0:160 offset1:176
	ds_load_2addr_b64 v[68:71], v18 offset0:192 offset1:208
	ds_load_b128 v[72:75], v19 offset:96
	ds_load_b128 v[76:79], v19 offset:112
	ds_load_2addr_b64 v[80:83], v18 offset0:224 offset1:240
	v_add_nc_u64_e32 v[12:13], s[16:17], v[12:13]
	s_wait_dscnt 0xe
	v_dual_mul_f32 v23, v24, v15 :: v_dual_mul_f32 v84, v26, v17
	v_dual_mul_f32 v15, v25, v15 :: v_dual_mul_f32 v17, v27, v17
	s_delay_alu instid0(VALU_DEP_3) | instskip(NEXT) | instid1(VALU_DEP_3)
	v_add_nc_u64_e32 v[12:13], s[18:19], v[12:13]
	v_dual_fmac_f32 v23, v25, v14 :: v_dual_fmac_f32 v84, v27, v16
	s_delay_alu instid0(VALU_DEP_3)
	v_dual_fma_f32 v14, v24, v14, -v15 :: v_dual_fma_f32 v15, v26, v16, -v17
	s_wait_dscnt 0xc
	v_dual_mul_f32 v16, v28, v33 :: v_dual_mul_f32 v17, v30, v35
	s_wait_dscnt 0x9
	v_dual_add_f32 v23, 0, v23 :: v_dual_mul_f32 v26, v36, v45
	v_dual_mul_f32 v24, v29, v33 :: v_dual_mul_f32 v25, v31, v35
	s_delay_alu instid0(VALU_DEP_3) | instskip(NEXT) | instid1(VALU_DEP_3)
	v_dual_fmac_f32 v16, v29, v32 :: v_dual_mul_f32 v29, v39, v47
	v_dual_add_f32 v23, v23, v84 :: v_dual_add_f32 v14, 0, v14
	s_wait_dscnt 0x8
	v_dual_mul_f32 v35, v40, v49 :: v_dual_fmac_f32 v17, v31, v34
	v_fma_f32 v24, v28, v32, -v24
	s_delay_alu instid0(VALU_DEP_3) | instskip(SKIP_2) | instid1(VALU_DEP_3)
	v_dual_add_f32 v16, v23, v16 :: v_dual_mul_f32 v23, v42, v51
	v_dual_add_f32 v14, v14, v15 :: v_dual_mul_f32 v15, v41, v49
	v_dual_mul_f32 v27, v38, v47 :: v_dual_mul_f32 v33, v37, v45
	v_dual_add_f32 v16, v16, v17 :: v_dual_fmac_f32 v26, v37, v44
	v_dual_mul_f32 v17, v43, v51 :: v_dual_fma_f32 v25, v30, v34, -v25
	s_wait_dscnt 0x6
	v_dual_mul_f32 v28, v56, v53 :: v_dual_add_f32 v14, v14, v24
	v_fmac_f32_e32 v27, v39, v46
	v_dual_add_f32 v16, v16, v26 :: v_dual_mul_f32 v24, v58, v55
	s_delay_alu instid0(VALU_DEP_3) | instskip(NEXT) | instid1(VALU_DEP_2)
	v_dual_fma_f32 v26, v36, v44, -v33 :: v_dual_add_f32 v14, v14, v25
	v_dual_fmac_f32 v35, v41, v48 :: v_dual_add_f32 v16, v16, v27
	s_wait_dscnt 0x4
	v_dual_mul_f32 v25, v60, v65 :: v_dual_fma_f32 v27, v38, v46, -v29
	s_delay_alu instid0(VALU_DEP_3) | instskip(SKIP_2) | instid1(VALU_DEP_3)
	v_add_f32_e32 v14, v14, v26
	v_dual_fmac_f32 v23, v43, v50 :: v_dual_mul_f32 v26, v62, v67
	v_add_f32_e32 v16, v16, v35
	v_dual_fma_f32 v15, v40, v48, -v15 :: v_dual_add_f32 v14, v14, v27
	v_dual_fmac_f32 v28, v57, v52 :: v_dual_fma_f32 v17, v42, v50, -v17
	s_delay_alu instid0(VALU_DEP_3) | instskip(NEXT) | instid1(VALU_DEP_3)
	v_dual_add_f32 v16, v16, v23 :: v_dual_mul_f32 v23, v57, v53
	v_dual_add_f32 v14, v14, v15 :: v_dual_fmac_f32 v24, v59, v54
	v_fmac_f32_e32 v25, v61, v64
	s_delay_alu instid0(VALU_DEP_3) | instskip(NEXT) | instid1(VALU_DEP_3)
	v_dual_add_f32 v15, v16, v28 :: v_dual_mul_f32 v16, v59, v55
	v_dual_fma_f32 v23, v56, v52, -v23 :: v_dual_add_f32 v14, v14, v17
	s_delay_alu instid0(VALU_DEP_2) | instskip(NEXT) | instid1(VALU_DEP_3)
	v_dual_mul_f32 v17, v61, v65 :: v_dual_add_f32 v15, v15, v24
	v_fma_f32 v16, v58, v54, -v16
	s_delay_alu instid0(VALU_DEP_3)
	v_dual_fmac_f32 v26, v63, v66 :: v_dual_add_f32 v14, v14, v23
	s_wait_dscnt 0x2
	v_mul_f32_e32 v23, v72, v69
	v_dual_add_f32 v15, v15, v25 :: v_dual_fma_f32 v17, v60, v64, -v17
	v_mul_f32_e32 v24, v74, v71
	v_dual_add_f32 v14, v14, v16 :: v_dual_mul_f32 v16, v63, v67
	s_delay_alu instid0(VALU_DEP_3) | instskip(NEXT) | instid1(VALU_DEP_2)
	v_dual_fmac_f32 v23, v73, v68 :: v_dual_add_f32 v15, v15, v26
	v_dual_fmac_f32 v24, v75, v70 :: v_dual_add_f32 v14, v14, v17
	s_delay_alu instid0(VALU_DEP_3) | instskip(SKIP_1) | instid1(VALU_DEP_3)
	v_dual_fma_f32 v16, v62, v66, -v16 :: v_dual_mul_f32 v17, v73, v69
	s_wait_dscnt 0x0
	v_dual_add_f32 v15, v15, v23 :: v_dual_mul_f32 v23, v76, v81
	v_lshl_add_u64 v[12:13], v[8:9], 3, v[12:13]
	s_delay_alu instid0(VALU_DEP_3) | instskip(SKIP_1) | instid1(VALU_DEP_4)
	v_add_f32_e32 v14, v14, v16
	v_dual_fma_f32 v16, v72, v68, -v17 :: v_dual_mul_f32 v17, v75, v71
	v_add_f32_e32 v15, v15, v24
	v_dual_fmac_f32 v23, v77, v80 :: v_dual_mul_f32 v24, v78, v83
	s_delay_alu instid0(VALU_DEP_3) | instskip(NEXT) | instid1(VALU_DEP_4)
	v_add_f32_e32 v14, v14, v16
	v_dual_fma_f32 v16, v74, v70, -v17 :: v_dual_mul_f32 v17, v77, v81
	s_delay_alu instid0(VALU_DEP_3) | instskip(NEXT) | instid1(VALU_DEP_4)
	v_add_f32_e32 v15, v15, v23
	v_dual_fmac_f32 v24, v79, v82 :: v_dual_mul_f32 v23, v79, v83
	s_delay_alu instid0(VALU_DEP_3) | instskip(NEXT) | instid1(VALU_DEP_4)
	v_add_f32_e32 v16, v14, v16
	v_fma_f32 v17, v76, v80, -v17
	v_add_nc_u64_e32 v[12:13], v[12:13], v[2:3]
	s_delay_alu instid0(VALU_DEP_4) | instskip(NEXT) | instid1(VALU_DEP_3)
	v_dual_add_f32 v14, v15, v24 :: v_dual_fma_f32 v23, v78, v82, -v23
	v_add_f32_e32 v15, v16, v17
	v_mov_b64_e32 v[16:17], s[10:11]
	s_delay_alu instid0(VALU_DEP_2) | instskip(NEXT) | instid1(VALU_DEP_2)
	v_add_f32_e32 v24, v15, v23
	v_pk_mul_f32 v[14:15], v[16:17], v[14:15] op_sel_hi:[1,0]
	v_mov_b64_e32 v[16:17], s[6:7]
	s_delay_alu instid0(VALU_DEP_1) | instskip(SKIP_1) | instid1(VALU_DEP_2)
	v_pk_fma_f32 v[26:27], v[16:17], v[24:25], v[14:15] op_sel_hi:[1,0,1]
	v_pk_fma_f32 v[14:15], v[16:17], v[24:25], v[14:15] neg_lo:[0,0,1] neg_hi:[0,0,1]
	v_mov_b32_e32 v15, v27
	flat_store_b64 v[12:13], v[14:15]
	s_branch .LBB173_2
.LBB173_19:
	s_sendmsg sendmsg(MSG_DEALLOC_VGPRS)
	s_endpgm
	.section	.rodata,"a",@progbits
	.p2align	6, 0x0
	.amdhsa_kernel _ZL23rocblas_trmm_lTx_kernelILi16ELb1E19rocblas_complex_numIfES1_KPKS1_KPS1_Ev13rocblas_fill_17rocblas_diagonal_iiT2_lPT3_llSB_llPT4_lli
		.amdhsa_group_segment_fixed_size 4096
		.amdhsa_private_segment_fixed_size 0
		.amdhsa_kernarg_size 108
		.amdhsa_user_sgpr_count 2
		.amdhsa_user_sgpr_dispatch_ptr 0
		.amdhsa_user_sgpr_queue_ptr 0
		.amdhsa_user_sgpr_kernarg_segment_ptr 1
		.amdhsa_user_sgpr_dispatch_id 0
		.amdhsa_user_sgpr_kernarg_preload_length 0
		.amdhsa_user_sgpr_kernarg_preload_offset 0
		.amdhsa_user_sgpr_private_segment_size 0
		.amdhsa_wavefront_size32 1
		.amdhsa_uses_dynamic_stack 0
		.amdhsa_enable_private_segment 0
		.amdhsa_system_sgpr_workgroup_id_x 1
		.amdhsa_system_sgpr_workgroup_id_y 0
		.amdhsa_system_sgpr_workgroup_id_z 1
		.amdhsa_system_sgpr_workgroup_info 0
		.amdhsa_system_vgpr_workitem_id 1
		.amdhsa_next_free_vgpr 85
		.amdhsa_next_free_sgpr 36
		.amdhsa_named_barrier_count 0
		.amdhsa_reserve_vcc 1
		.amdhsa_float_round_mode_32 0
		.amdhsa_float_round_mode_16_64 0
		.amdhsa_float_denorm_mode_32 3
		.amdhsa_float_denorm_mode_16_64 3
		.amdhsa_fp16_overflow 0
		.amdhsa_memory_ordered 1
		.amdhsa_forward_progress 1
		.amdhsa_inst_pref_size 13
		.amdhsa_round_robin_scheduling 0
		.amdhsa_exception_fp_ieee_invalid_op 0
		.amdhsa_exception_fp_denorm_src 0
		.amdhsa_exception_fp_ieee_div_zero 0
		.amdhsa_exception_fp_ieee_overflow 0
		.amdhsa_exception_fp_ieee_underflow 0
		.amdhsa_exception_fp_ieee_inexact 0
		.amdhsa_exception_int_div_zero 0
	.end_amdhsa_kernel
	.section	.text._ZL23rocblas_trmm_lTx_kernelILi16ELb1E19rocblas_complex_numIfES1_KPKS1_KPS1_Ev13rocblas_fill_17rocblas_diagonal_iiT2_lPT3_llSB_llPT4_lli,"axG",@progbits,_ZL23rocblas_trmm_lTx_kernelILi16ELb1E19rocblas_complex_numIfES1_KPKS1_KPS1_Ev13rocblas_fill_17rocblas_diagonal_iiT2_lPT3_llSB_llPT4_lli,comdat
.Lfunc_end173:
	.size	_ZL23rocblas_trmm_lTx_kernelILi16ELb1E19rocblas_complex_numIfES1_KPKS1_KPS1_Ev13rocblas_fill_17rocblas_diagonal_iiT2_lPT3_llSB_llPT4_lli, .Lfunc_end173-_ZL23rocblas_trmm_lTx_kernelILi16ELb1E19rocblas_complex_numIfES1_KPKS1_KPS1_Ev13rocblas_fill_17rocblas_diagonal_iiT2_lPT3_llSB_llPT4_lli
                                        ; -- End function
	.set _ZL23rocblas_trmm_lTx_kernelILi16ELb1E19rocblas_complex_numIfES1_KPKS1_KPS1_Ev13rocblas_fill_17rocblas_diagonal_iiT2_lPT3_llSB_llPT4_lli.num_vgpr, 85
	.set _ZL23rocblas_trmm_lTx_kernelILi16ELb1E19rocblas_complex_numIfES1_KPKS1_KPS1_Ev13rocblas_fill_17rocblas_diagonal_iiT2_lPT3_llSB_llPT4_lli.num_agpr, 0
	.set _ZL23rocblas_trmm_lTx_kernelILi16ELb1E19rocblas_complex_numIfES1_KPKS1_KPS1_Ev13rocblas_fill_17rocblas_diagonal_iiT2_lPT3_llSB_llPT4_lli.numbered_sgpr, 36
	.set _ZL23rocblas_trmm_lTx_kernelILi16ELb1E19rocblas_complex_numIfES1_KPKS1_KPS1_Ev13rocblas_fill_17rocblas_diagonal_iiT2_lPT3_llSB_llPT4_lli.num_named_barrier, 0
	.set _ZL23rocblas_trmm_lTx_kernelILi16ELb1E19rocblas_complex_numIfES1_KPKS1_KPS1_Ev13rocblas_fill_17rocblas_diagonal_iiT2_lPT3_llSB_llPT4_lli.private_seg_size, 0
	.set _ZL23rocblas_trmm_lTx_kernelILi16ELb1E19rocblas_complex_numIfES1_KPKS1_KPS1_Ev13rocblas_fill_17rocblas_diagonal_iiT2_lPT3_llSB_llPT4_lli.uses_vcc, 1
	.set _ZL23rocblas_trmm_lTx_kernelILi16ELb1E19rocblas_complex_numIfES1_KPKS1_KPS1_Ev13rocblas_fill_17rocblas_diagonal_iiT2_lPT3_llSB_llPT4_lli.uses_flat_scratch, 0
	.set _ZL23rocblas_trmm_lTx_kernelILi16ELb1E19rocblas_complex_numIfES1_KPKS1_KPS1_Ev13rocblas_fill_17rocblas_diagonal_iiT2_lPT3_llSB_llPT4_lli.has_dyn_sized_stack, 0
	.set _ZL23rocblas_trmm_lTx_kernelILi16ELb1E19rocblas_complex_numIfES1_KPKS1_KPS1_Ev13rocblas_fill_17rocblas_diagonal_iiT2_lPT3_llSB_llPT4_lli.has_recursion, 0
	.set _ZL23rocblas_trmm_lTx_kernelILi16ELb1E19rocblas_complex_numIfES1_KPKS1_KPS1_Ev13rocblas_fill_17rocblas_diagonal_iiT2_lPT3_llSB_llPT4_lli.has_indirect_call, 0
	.section	.AMDGPU.csdata,"",@progbits
; Kernel info:
; codeLenInByte = 1632
; TotalNumSgprs: 38
; NumVgprs: 85
; ScratchSize: 0
; MemoryBound: 0
; FloatMode: 240
; IeeeMode: 1
; LDSByteSize: 4096 bytes/workgroup (compile time only)
; SGPRBlocks: 0
; VGPRBlocks: 5
; NumSGPRsForWavesPerEU: 38
; NumVGPRsForWavesPerEU: 85
; NamedBarCnt: 0
; Occupancy: 10
; WaveLimiterHint : 1
; COMPUTE_PGM_RSRC2:SCRATCH_EN: 0
; COMPUTE_PGM_RSRC2:USER_SGPR: 2
; COMPUTE_PGM_RSRC2:TRAP_HANDLER: 0
; COMPUTE_PGM_RSRC2:TGID_X_EN: 1
; COMPUTE_PGM_RSRC2:TGID_Y_EN: 0
; COMPUTE_PGM_RSRC2:TGID_Z_EN: 1
; COMPUTE_PGM_RSRC2:TIDIG_COMP_CNT: 1
	.section	.text._ZL23rocblas_trmm_rNx_kernelILi16E19rocblas_complex_numIfEPKS1_KS3_KPS1_Ev13rocblas_fill_17rocblas_diagonal_iiT1_lPT2_llSB_llPT3_lli,"axG",@progbits,_ZL23rocblas_trmm_rNx_kernelILi16E19rocblas_complex_numIfEPKS1_KS3_KPS1_Ev13rocblas_fill_17rocblas_diagonal_iiT1_lPT2_llSB_llPT3_lli,comdat
	.globl	_ZL23rocblas_trmm_rNx_kernelILi16E19rocblas_complex_numIfEPKS1_KS3_KPS1_Ev13rocblas_fill_17rocblas_diagonal_iiT1_lPT2_llSB_llPT3_lli ; -- Begin function _ZL23rocblas_trmm_rNx_kernelILi16E19rocblas_complex_numIfEPKS1_KS3_KPS1_Ev13rocblas_fill_17rocblas_diagonal_iiT1_lPT2_llSB_llPT3_lli
	.p2align	8
	.type	_ZL23rocblas_trmm_rNx_kernelILi16E19rocblas_complex_numIfEPKS1_KS3_KPS1_Ev13rocblas_fill_17rocblas_diagonal_iiT1_lPT2_llSB_llPT3_lli,@function
_ZL23rocblas_trmm_rNx_kernelILi16E19rocblas_complex_numIfEPKS1_KS3_KPS1_Ev13rocblas_fill_17rocblas_diagonal_iiT1_lPT2_llSB_llPT3_lli: ; @_ZL23rocblas_trmm_rNx_kernelILi16E19rocblas_complex_numIfEPKS1_KS3_KPS1_Ev13rocblas_fill_17rocblas_diagonal_iiT1_lPT2_llSB_llPT3_lli
; %bb.0:
	s_load_b32 s33, s[0:1], 0x68
	s_bfe_u32 s2, ttmp6, 0x40014
	s_lshr_b32 s3, ttmp7, 16
	s_add_co_i32 s2, s2, 1
	s_bfe_u32 s5, ttmp6, 0x40008
	s_mul_i32 s4, s3, s2
	s_getreg_b32 s2, hwreg(HW_REG_IB_STS2, 6, 4)
	s_add_co_i32 s5, s5, s4
	s_cmp_eq_u32 s2, 0
	s_mov_b32 s7, 0
	s_cselect_b32 s6, s3, s5
	s_wait_kmcnt 0x0
	s_cmp_ge_u32 s6, s33
	s_cbranch_scc1 .LBB174_19
; %bb.1:
	s_clause 0x3
	s_load_b128 s[28:31], s[0:1], 0x0
	s_load_b512 s[8:23], s[0:1], 0x10
	s_load_b128 s[24:27], s[0:1], 0x50
	s_load_b64 s[34:35], s[0:1], 0x60
	v_bfe_u32 v2, v0, 10, 10
	v_mov_b32_e32 v3, 0
	s_wait_xcnt 0x0
	s_bfe_u32 s0, ttmp6, 0x4000c
	s_and_b32 s1, ttmp6, 15
	s_add_co_i32 s0, s0, 1
	v_lshlrev_b32_e32 v13, 4, v2
	s_mul_i32 s3, ttmp9, s0
	v_and_b32_e32 v12, 0x3ff, v0
	s_add_co_i32 s3, s1, s3
	v_mov_b64_e32 v[0:1], 0
	v_mov_b64_e32 v[4:5], 0x3f800000
	v_lshlrev_b32_e32 v20, 7, v2
	v_cmp_eq_u32_e32 vcc_lo, v2, v12
	v_add_lshl_u32 v19, v13, v12, 3
	v_cmp_lt_u32_e64 s0, v12, v2
	v_lshl_add_u32 v18, v12, 3, 0x800
	s_wait_kmcnt 0x0
	s_add_co_i32 s4, s30, -1
	v_mul_u64_e32 v[6:7], s[14:15], v[2:3]
	s_ashr_i32 s5, s4, 31
	v_mul_u64_e32 v[8:9], s[20:21], v[2:3]
	v_mul_u64_e32 v[10:11], s[26:27], v[2:3]
	s_lshr_b32 s5, s5, 28
	v_add_nc_u32_e32 v21, 0x800, v19
	s_add_co_i32 s4, s4, s5
	s_delay_alu instid0(SALU_CYCLE_1)
	s_and_b32 s1, s4, -16
	s_ashr_i32 s4, s4, 4
	s_sub_co_i32 s5, s30, s1
	s_cmp_eq_u32 s2, 0
	v_cmp_gt_i32_e64 s2, s31, v2
	s_cselect_b32 s14, ttmp9, s3
	v_cmp_gt_i32_e64 s3, s31, v12
	s_cmp_ge_i32 s14, s4
	v_cmp_gt_u32_e64 s1, v12, v2
	s_cselect_b32 s4, s5, 16
	s_lshl_b32 s20, s14, 4
	v_cmp_gt_i32_e64 s4, s4, v12
	s_and_b32 s26, s2, s3
	s_ashr_i32 s21, s20, 31
	v_lshlrev_b32_e32 v2, 3, v12
	s_and_b32 s27, s2, s4
	s_cmp_eq_u32 s29, 0x84
	s_cselect_b32 s2, -1, 0
	s_delay_alu instid0(SALU_CYCLE_1)
	s_and_b32 s29, vcc_lo, s2
	s_cmp_lg_u32 s28, 0x79
	s_cselect_b32 s28, -1, 0
	s_lshl_b64 s[4:5], s[16:17], 3
	s_lshl_b64 s[14:15], s[22:23], 3
	;; [unrolled: 1-line block ×4, first 2 shown]
	s_branch .LBB174_4
.LBB174_2:                              ;   in Loop: Header=BB174_4 Depth=1
	s_wait_xcnt 0x0
	s_or_b32 exec_lo, exec_lo, s2
.LBB174_3:                              ;   in Loop: Header=BB174_4 Depth=1
	s_add_co_i32 s6, s6, 0x10000
	s_delay_alu instid0(SALU_CYCLE_1)
	s_cmp_lt_u32 s6, s33
	s_cbranch_scc0 .LBB174_19
.LBB174_4:                              ; =>This Inner Loop Header: Depth=1
	s_mul_u64 s[2:3], s[10:11], s[6:7]
	s_delay_alu instid0(SALU_CYCLE_1) | instskip(NEXT) | instid1(SALU_CYCLE_1)
	s_lshl_b64 s[2:3], s[2:3], 3
	s_add_nc_u64 s[2:3], s[8:9], s[2:3]
	global_load_b64 v[12:13], v3, s[2:3]
	s_wait_loadcnt 0x0
	v_cmp_neq_f32_e32 vcc_lo, 0, v12
	s_wait_xcnt 0x0
	v_cmp_neq_f32_e64 s2, 0, v13
	s_or_b32 s2, vcc_lo, s2
	s_delay_alu instid0(SALU_CYCLE_1)
	s_and_not1_b32 vcc_lo, exec_lo, s2
	s_cbranch_vccnz .LBB174_3
; %bb.5:                                ;   in Loop: Header=BB174_4 Depth=1
	s_lshl_b64 s[2:3], s[6:7], 3
	s_delay_alu instid0(SALU_CYCLE_1)
	s_add_nc_u64 s[22:23], s[18:19], s[2:3]
	s_add_nc_u64 s[30:31], s[24:25], s[2:3]
	s_clause 0x1
	global_load_b64 v[16:17], v3, s[22:23]
	global_load_b64 v[14:15], v3, s[30:31]
	ds_store_b64 v19, v[0:1]
	ds_store_b64 v21, v[0:1]
	s_wait_xcnt 0x0
	s_and_saveexec_b32 s22, s26
	s_cbranch_execnz .LBB174_10
; %bb.6:                                ;   in Loop: Header=BB174_4 Depth=1
	s_or_b32 exec_lo, exec_lo, s22
	s_and_saveexec_b32 s2, s27
	s_cbranch_execnz .LBB174_11
.LBB174_7:                              ;   in Loop: Header=BB174_4 Depth=1
	s_or_b32 exec_lo, exec_lo, s2
	s_and_saveexec_b32 s2, s29
	s_cbranch_execnz .LBB174_12
.LBB174_8:                              ;   in Loop: Header=BB174_4 Depth=1
	s_or_b32 exec_lo, exec_lo, s2
	s_delay_alu instid0(SALU_CYCLE_1)
	s_and_b32 vcc_lo, exec_lo, s28
	s_cbranch_vccz .LBB174_13
.LBB174_9:                              ;   in Loop: Header=BB174_4 Depth=1
	s_and_b32 s2, s0, exec_lo
	s_cbranch_execz .LBB174_14
	s_branch .LBB174_15
.LBB174_10:                             ;   in Loop: Header=BB174_4 Depth=1
	s_add_nc_u64 s[2:3], s[12:13], s[2:3]
	global_load_b64 v[22:23], v3, s[2:3]
	s_wait_loadcnt 0x0
	v_add_nc_u64_e32 v[22:23], s[4:5], v[22:23]
	s_delay_alu instid0(VALU_DEP_1) | instskip(NEXT) | instid1(VALU_DEP_1)
	v_lshl_add_u64 v[22:23], v[6:7], 3, v[22:23]
	v_add_nc_u64_e32 v[22:23], v[22:23], v[2:3]
	flat_load_b64 v[22:23], v[22:23]
	s_wait_loadcnt_dscnt 0x0
	ds_store_b64 v19, v[22:23]
	s_wait_xcnt 0x0
	s_or_b32 exec_lo, exec_lo, s22
	s_and_saveexec_b32 s2, s27
	s_cbranch_execz .LBB174_7
.LBB174_11:                             ;   in Loop: Header=BB174_4 Depth=1
	s_wait_loadcnt 0x1
	v_add_nc_u64_e32 v[16:17], s[14:15], v[16:17]
	s_delay_alu instid0(VALU_DEP_1) | instskip(NEXT) | instid1(VALU_DEP_1)
	v_add_nc_u64_e32 v[16:17], s[16:17], v[16:17]
	v_lshl_add_u64 v[16:17], v[8:9], 3, v[16:17]
	s_delay_alu instid0(VALU_DEP_1)
	v_add_nc_u64_e32 v[16:17], v[16:17], v[2:3]
	flat_load_b64 v[16:17], v[16:17]
	s_wait_loadcnt_dscnt 0x0
	ds_store_b64 v21, v[16:17]
	s_wait_xcnt 0x0
	s_or_b32 exec_lo, exec_lo, s2
	s_and_saveexec_b32 s2, s29
	s_cbranch_execz .LBB174_8
.LBB174_12:                             ;   in Loop: Header=BB174_4 Depth=1
	ds_store_b64 v19, v[4:5]
	s_or_b32 exec_lo, exec_lo, s2
	s_delay_alu instid0(SALU_CYCLE_1)
	s_and_b32 vcc_lo, exec_lo, s28
	s_cbranch_vccnz .LBB174_9
.LBB174_13:                             ;   in Loop: Header=BB174_4 Depth=1
	s_mov_b32 s2, 0
.LBB174_14:                             ;   in Loop: Header=BB174_4 Depth=1
	s_delay_alu instid0(SALU_CYCLE_1) | instskip(SKIP_1) | instid1(SALU_CYCLE_1)
	s_and_not1_b32 s2, s2, exec_lo
	s_and_b32 s3, s1, exec_lo
	s_or_b32 s2, s2, s3
.LBB174_15:                             ;   in Loop: Header=BB174_4 Depth=1
	s_delay_alu instid0(SALU_CYCLE_1)
	s_and_saveexec_b32 s3, s2
; %bb.16:                               ;   in Loop: Header=BB174_4 Depth=1
	ds_store_b64 v19, v[0:1]
; %bb.17:                               ;   in Loop: Header=BB174_4 Depth=1
	s_or_b32 exec_lo, exec_lo, s3
	s_wait_loadcnt_dscnt 0x0
	s_barrier_signal -1
	s_barrier_wait -1
	s_and_saveexec_b32 s2, s27
	s_cbranch_execz .LBB174_2
; %bb.18:                               ;   in Loop: Header=BB174_4 Depth=1
	ds_load_2addr_b64 v[22:25], v18 offset1:16
	ds_load_b128 v[26:29], v20
	ds_load_b128 v[30:33], v20 offset:16
	ds_load_2addr_b64 v[34:37], v18 offset0:32 offset1:48
	ds_load_b128 v[38:41], v20 offset:32
	ds_load_b128 v[42:45], v20 offset:48
	ds_load_2addr_b64 v[46:49], v18 offset0:64 offset1:80
	ds_load_2addr_b64 v[50:53], v18 offset0:96 offset1:112
	;; [unrolled: 1-line block ×3, first 2 shown]
	ds_load_b128 v[58:61], v20 offset:64
	ds_load_b128 v[62:65], v20 offset:80
	v_add_nc_u64_e32 v[14:15], s[20:21], v[14:15]
	s_delay_alu instid0(VALU_DEP_1)
	v_add_nc_u64_e32 v[14:15], s[16:17], v[14:15]
	s_wait_dscnt 0x9
	v_dual_mul_f32 v16, v26, v23 :: v_dual_mul_f32 v17, v28, v25
	s_wait_dscnt 0x7
	v_dual_mul_f32 v66, v30, v35 :: v_dual_mul_f32 v25, v29, v25
	v_dual_mul_f32 v23, v27, v23 :: v_dual_mul_f32 v67, v32, v37
	s_delay_alu instid0(VALU_DEP_3) | instskip(SKIP_2) | instid1(VALU_DEP_3)
	v_dual_fmac_f32 v16, v27, v22 :: v_dual_fmac_f32 v17, v29, v24
	s_wait_dscnt 0x4
	v_mul_f32_e32 v72, v38, v47
	v_dual_fma_f32 v68, v26, v22, -v23 :: v_dual_fma_f32 v69, v28, v24, -v25
	s_delay_alu instid0(VALU_DEP_3) | instskip(SKIP_2) | instid1(VALU_DEP_3)
	v_dual_add_f32 v16, 0, v16 :: v_dual_fmac_f32 v66, v31, v34
	v_dual_fmac_f32 v67, v33, v36 :: v_dual_mul_f32 v26, v31, v35
	v_mul_f32_e32 v27, v33, v37
	v_dual_add_f32 v16, v16, v17 :: v_dual_add_f32 v17, 0, v68
	ds_load_2addr_b64 v[22:25], v18 offset0:160 offset1:176
	v_dual_mul_f32 v73, v40, v49 :: v_dual_mul_f32 v31, v41, v49
	v_fmac_f32_e32 v72, v39, v46
	v_add_f32_e32 v16, v16, v66
	v_dual_fma_f32 v70, v30, v34, -v26 :: v_dual_fma_f32 v71, v32, v36, -v27
	s_delay_alu instid0(VALU_DEP_4) | instskip(SKIP_3) | instid1(VALU_DEP_3)
	v_dual_mul_f32 v30, v39, v47 :: v_dual_fmac_f32 v73, v41, v48
	v_dual_fma_f32 v47, v40, v48, -v31 :: v_dual_add_f32 v17, v17, v69
	s_wait_dscnt 0x4
	v_mul_f32_e32 v48, v42, v51
	v_dual_add_f32 v16, v16, v67 :: v_dual_fma_f32 v46, v38, v46, -v30
	v_dual_mul_f32 v49, v44, v53 :: v_dual_mul_f32 v51, v43, v51
	s_delay_alu instid0(VALU_DEP_2) | instskip(SKIP_2) | instid1(VALU_DEP_2)
	v_dual_add_f32 v17, v17, v70 :: v_dual_add_f32 v16, v16, v72
	s_wait_dscnt 0x2
	v_dual_mul_f32 v53, v45, v53 :: v_dual_mul_f32 v66, v58, v55
	v_dual_fmac_f32 v48, v43, v50 :: v_dual_add_f32 v17, v17, v71
	s_delay_alu instid0(VALU_DEP_3)
	v_add_f32_e32 v16, v16, v73
	v_dual_mul_f32 v43, v60, v57 :: v_dual_fmac_f32 v49, v45, v52
	ds_load_2addr_b64 v[26:29], v18 offset0:192 offset1:208
	s_wait_dscnt 0x1
	v_dual_add_f32 v17, v17, v46 :: v_dual_mul_f32 v46, v62, v23
	v_dual_add_f32 v16, v16, v48 :: v_dual_fma_f32 v42, v42, v50, -v51
	s_delay_alu instid0(VALU_DEP_2) | instskip(NEXT) | instid1(VALU_DEP_2)
	v_dual_mul_f32 v45, v64, v25 :: v_dual_add_f32 v17, v17, v47
	v_dual_fmac_f32 v66, v59, v54 :: v_dual_add_f32 v16, v16, v49
	ds_load_b128 v[30:33], v20 offset:96
	ds_load_b128 v[34:37], v20 offset:112
	ds_load_2addr_b64 v[38:41], v18 offset0:224 offset1:240
	v_dual_mul_f32 v47, v59, v55 :: v_dual_fma_f32 v44, v44, v52, -v53
	v_dual_fmac_f32 v43, v61, v56 :: v_dual_add_f32 v16, v16, v66
	v_add_f32_e32 v17, v17, v42
	s_delay_alu instid0(VALU_DEP_3) | instskip(NEXT) | instid1(VALU_DEP_3)
	v_dual_mul_f32 v42, v61, v57 :: v_dual_fma_f32 v47, v58, v54, -v47
	v_dual_fmac_f32 v46, v63, v22 :: v_dual_add_f32 v16, v16, v43
	s_delay_alu instid0(VALU_DEP_3) | instskip(NEXT) | instid1(VALU_DEP_3)
	v_dual_add_f32 v17, v17, v44 :: v_dual_mul_f32 v23, v63, v23
	v_fma_f32 v42, v60, v56, -v42
	s_delay_alu instid0(VALU_DEP_3) | instskip(NEXT) | instid1(VALU_DEP_3)
	v_dual_fmac_f32 v45, v65, v24 :: v_dual_add_f32 v16, v16, v46
	v_dual_add_f32 v17, v17, v47 :: v_dual_fma_f32 v22, v62, v22, -v23
	s_wait_dscnt 0x2
	v_dual_mul_f32 v23, v65, v25 :: v_dual_mul_f32 v43, v30, v27
	s_delay_alu instid0(VALU_DEP_2) | instskip(SKIP_2) | instid1(VALU_DEP_4)
	v_dual_add_f32 v16, v16, v45 :: v_dual_add_f32 v17, v17, v42
	v_mul_f32_e32 v25, v32, v29
	v_lshl_add_u64 v[14:15], v[10:11], 3, v[14:15]
	v_fmac_f32_e32 v43, v31, v26
	s_delay_alu instid0(VALU_DEP_4) | instskip(NEXT) | instid1(VALU_DEP_4)
	v_dual_add_f32 v17, v17, v22 :: v_dual_fma_f32 v22, v64, v24, -v23
	v_dual_mul_f32 v23, v31, v27 :: v_dual_fmac_f32 v25, v33, v28
	s_delay_alu instid0(VALU_DEP_3) | instskip(SKIP_1) | instid1(VALU_DEP_3)
	v_add_f32_e32 v16, v16, v43
	s_wait_dscnt 0x0
	v_dual_mul_f32 v24, v34, v39 :: v_dual_add_f32 v17, v17, v22
	s_delay_alu instid0(VALU_DEP_3) | instskip(NEXT) | instid1(VALU_DEP_2)
	v_dual_fma_f32 v22, v30, v26, -v23 :: v_dual_mul_f32 v23, v33, v29
	v_dual_add_f32 v16, v16, v25 :: v_dual_fmac_f32 v24, v35, v38
	v_add_nc_u64_e32 v[14:15], v[14:15], v[2:3]
	s_delay_alu instid0(VALU_DEP_3) | instskip(SKIP_1) | instid1(VALU_DEP_2)
	v_dual_add_f32 v17, v17, v22 :: v_dual_fma_f32 v22, v32, v28, -v23
	v_dual_mul_f32 v23, v35, v39 :: v_dual_mul_f32 v25, v36, v41
	v_dual_add_f32 v16, v16, v24 :: v_dual_add_f32 v17, v17, v22
	s_delay_alu instid0(VALU_DEP_2) | instskip(NEXT) | instid1(VALU_DEP_3)
	v_dual_fma_f32 v22, v34, v38, -v23 :: v_dual_mul_f32 v23, v37, v41
	v_fmac_f32_e32 v25, v37, v40
	s_delay_alu instid0(VALU_DEP_2) | instskip(NEXT) | instid1(VALU_DEP_1)
	v_dual_add_f32 v17, v17, v22 :: v_dual_fma_f32 v22, v36, v40, -v23
	v_dual_add_f32 v16, v16, v25 :: v_dual_add_f32 v22, v17, v22
	s_delay_alu instid0(VALU_DEP_1) | instskip(NEXT) | instid1(VALU_DEP_1)
	v_pk_mul_f32 v[16:17], v[12:13], v[16:17] op_sel:[1,0] op_sel_hi:[0,0]
	v_pk_fma_f32 v[24:25], v[12:13], v[22:23], v[16:17] op_sel_hi:[1,0,1]
	v_pk_fma_f32 v[12:13], v[12:13], v[22:23], v[16:17] neg_lo:[0,0,1] neg_hi:[0,0,1]
	s_delay_alu instid0(VALU_DEP_2)
	v_mov_b32_e32 v13, v25
	flat_store_b64 v[14:15], v[12:13]
	s_branch .LBB174_2
.LBB174_19:
	s_sendmsg sendmsg(MSG_DEALLOC_VGPRS)
	s_endpgm
	.section	.rodata,"a",@progbits
	.p2align	6, 0x0
	.amdhsa_kernel _ZL23rocblas_trmm_rNx_kernelILi16E19rocblas_complex_numIfEPKS1_KS3_KPS1_Ev13rocblas_fill_17rocblas_diagonal_iiT1_lPT2_llSB_llPT3_lli
		.amdhsa_group_segment_fixed_size 4096
		.amdhsa_private_segment_fixed_size 0
		.amdhsa_kernarg_size 108
		.amdhsa_user_sgpr_count 2
		.amdhsa_user_sgpr_dispatch_ptr 0
		.amdhsa_user_sgpr_queue_ptr 0
		.amdhsa_user_sgpr_kernarg_segment_ptr 1
		.amdhsa_user_sgpr_dispatch_id 0
		.amdhsa_user_sgpr_kernarg_preload_length 0
		.amdhsa_user_sgpr_kernarg_preload_offset 0
		.amdhsa_user_sgpr_private_segment_size 0
		.amdhsa_wavefront_size32 1
		.amdhsa_uses_dynamic_stack 0
		.amdhsa_enable_private_segment 0
		.amdhsa_system_sgpr_workgroup_id_x 1
		.amdhsa_system_sgpr_workgroup_id_y 0
		.amdhsa_system_sgpr_workgroup_id_z 1
		.amdhsa_system_sgpr_workgroup_info 0
		.amdhsa_system_vgpr_workitem_id 1
		.amdhsa_next_free_vgpr 74
		.amdhsa_next_free_sgpr 36
		.amdhsa_named_barrier_count 0
		.amdhsa_reserve_vcc 1
		.amdhsa_float_round_mode_32 0
		.amdhsa_float_round_mode_16_64 0
		.amdhsa_float_denorm_mode_32 3
		.amdhsa_float_denorm_mode_16_64 3
		.amdhsa_fp16_overflow 0
		.amdhsa_memory_ordered 1
		.amdhsa_forward_progress 1
		.amdhsa_inst_pref_size 13
		.amdhsa_round_robin_scheduling 0
		.amdhsa_exception_fp_ieee_invalid_op 0
		.amdhsa_exception_fp_denorm_src 0
		.amdhsa_exception_fp_ieee_div_zero 0
		.amdhsa_exception_fp_ieee_overflow 0
		.amdhsa_exception_fp_ieee_underflow 0
		.amdhsa_exception_fp_ieee_inexact 0
		.amdhsa_exception_int_div_zero 0
	.end_amdhsa_kernel
	.section	.text._ZL23rocblas_trmm_rNx_kernelILi16E19rocblas_complex_numIfEPKS1_KS3_KPS1_Ev13rocblas_fill_17rocblas_diagonal_iiT1_lPT2_llSB_llPT3_lli,"axG",@progbits,_ZL23rocblas_trmm_rNx_kernelILi16E19rocblas_complex_numIfEPKS1_KS3_KPS1_Ev13rocblas_fill_17rocblas_diagonal_iiT1_lPT2_llSB_llPT3_lli,comdat
.Lfunc_end174:
	.size	_ZL23rocblas_trmm_rNx_kernelILi16E19rocblas_complex_numIfEPKS1_KS3_KPS1_Ev13rocblas_fill_17rocblas_diagonal_iiT1_lPT2_llSB_llPT3_lli, .Lfunc_end174-_ZL23rocblas_trmm_rNx_kernelILi16E19rocblas_complex_numIfEPKS1_KS3_KPS1_Ev13rocblas_fill_17rocblas_diagonal_iiT1_lPT2_llSB_llPT3_lli
                                        ; -- End function
	.set _ZL23rocblas_trmm_rNx_kernelILi16E19rocblas_complex_numIfEPKS1_KS3_KPS1_Ev13rocblas_fill_17rocblas_diagonal_iiT1_lPT2_llSB_llPT3_lli.num_vgpr, 74
	.set _ZL23rocblas_trmm_rNx_kernelILi16E19rocblas_complex_numIfEPKS1_KS3_KPS1_Ev13rocblas_fill_17rocblas_diagonal_iiT1_lPT2_llSB_llPT3_lli.num_agpr, 0
	.set _ZL23rocblas_trmm_rNx_kernelILi16E19rocblas_complex_numIfEPKS1_KS3_KPS1_Ev13rocblas_fill_17rocblas_diagonal_iiT1_lPT2_llSB_llPT3_lli.numbered_sgpr, 36
	.set _ZL23rocblas_trmm_rNx_kernelILi16E19rocblas_complex_numIfEPKS1_KS3_KPS1_Ev13rocblas_fill_17rocblas_diagonal_iiT1_lPT2_llSB_llPT3_lli.num_named_barrier, 0
	.set _ZL23rocblas_trmm_rNx_kernelILi16E19rocblas_complex_numIfEPKS1_KS3_KPS1_Ev13rocblas_fill_17rocblas_diagonal_iiT1_lPT2_llSB_llPT3_lli.private_seg_size, 0
	.set _ZL23rocblas_trmm_rNx_kernelILi16E19rocblas_complex_numIfEPKS1_KS3_KPS1_Ev13rocblas_fill_17rocblas_diagonal_iiT1_lPT2_llSB_llPT3_lli.uses_vcc, 1
	.set _ZL23rocblas_trmm_rNx_kernelILi16E19rocblas_complex_numIfEPKS1_KS3_KPS1_Ev13rocblas_fill_17rocblas_diagonal_iiT1_lPT2_llSB_llPT3_lli.uses_flat_scratch, 0
	.set _ZL23rocblas_trmm_rNx_kernelILi16E19rocblas_complex_numIfEPKS1_KS3_KPS1_Ev13rocblas_fill_17rocblas_diagonal_iiT1_lPT2_llSB_llPT3_lli.has_dyn_sized_stack, 0
	.set _ZL23rocblas_trmm_rNx_kernelILi16E19rocblas_complex_numIfEPKS1_KS3_KPS1_Ev13rocblas_fill_17rocblas_diagonal_iiT1_lPT2_llSB_llPT3_lli.has_recursion, 0
	.set _ZL23rocblas_trmm_rNx_kernelILi16E19rocblas_complex_numIfEPKS1_KS3_KPS1_Ev13rocblas_fill_17rocblas_diagonal_iiT1_lPT2_llSB_llPT3_lli.has_indirect_call, 0
	.section	.AMDGPU.csdata,"",@progbits
; Kernel info:
; codeLenInByte = 1636
; TotalNumSgprs: 38
; NumVgprs: 74
; ScratchSize: 0
; MemoryBound: 0
; FloatMode: 240
; IeeeMode: 1
; LDSByteSize: 4096 bytes/workgroup (compile time only)
; SGPRBlocks: 0
; VGPRBlocks: 4
; NumSGPRsForWavesPerEU: 38
; NumVGPRsForWavesPerEU: 74
; NamedBarCnt: 0
; Occupancy: 12
; WaveLimiterHint : 1
; COMPUTE_PGM_RSRC2:SCRATCH_EN: 0
; COMPUTE_PGM_RSRC2:USER_SGPR: 2
; COMPUTE_PGM_RSRC2:TRAP_HANDLER: 0
; COMPUTE_PGM_RSRC2:TGID_X_EN: 1
; COMPUTE_PGM_RSRC2:TGID_Y_EN: 0
; COMPUTE_PGM_RSRC2:TGID_Z_EN: 1
; COMPUTE_PGM_RSRC2:TIDIG_COMP_CNT: 1
	.section	.text._ZL23rocblas_trmm_rNx_kernelILi16E19rocblas_complex_numIfES1_KPKS1_KPS1_Ev13rocblas_fill_17rocblas_diagonal_iiT1_lPT2_llSB_llPT3_lli,"axG",@progbits,_ZL23rocblas_trmm_rNx_kernelILi16E19rocblas_complex_numIfES1_KPKS1_KPS1_Ev13rocblas_fill_17rocblas_diagonal_iiT1_lPT2_llSB_llPT3_lli,comdat
	.globl	_ZL23rocblas_trmm_rNx_kernelILi16E19rocblas_complex_numIfES1_KPKS1_KPS1_Ev13rocblas_fill_17rocblas_diagonal_iiT1_lPT2_llSB_llPT3_lli ; -- Begin function _ZL23rocblas_trmm_rNx_kernelILi16E19rocblas_complex_numIfES1_KPKS1_KPS1_Ev13rocblas_fill_17rocblas_diagonal_iiT1_lPT2_llSB_llPT3_lli
	.p2align	8
	.type	_ZL23rocblas_trmm_rNx_kernelILi16E19rocblas_complex_numIfES1_KPKS1_KPS1_Ev13rocblas_fill_17rocblas_diagonal_iiT1_lPT2_llSB_llPT3_lli,@function
_ZL23rocblas_trmm_rNx_kernelILi16E19rocblas_complex_numIfES1_KPKS1_KPS1_Ev13rocblas_fill_17rocblas_diagonal_iiT1_lPT2_llSB_llPT3_lli: ; @_ZL23rocblas_trmm_rNx_kernelILi16E19rocblas_complex_numIfES1_KPKS1_KPS1_Ev13rocblas_fill_17rocblas_diagonal_iiT1_lPT2_llSB_llPT3_lli
; %bb.0:
	s_load_b32 s33, s[0:1], 0x68
	s_bfe_u32 s2, ttmp6, 0x40014
	s_lshr_b32 s3, ttmp7, 16
	s_add_co_i32 s2, s2, 1
	s_bfe_u32 s5, ttmp6, 0x40008
	s_mul_i32 s4, s3, s2
	s_getreg_b32 s2, hwreg(HW_REG_IB_STS2, 6, 4)
	s_add_co_i32 s5, s5, s4
	s_cmp_eq_u32 s2, 0
	s_mov_b32 s7, 0
	s_cselect_b32 s6, s3, s5
	s_wait_kmcnt 0x0
	s_cmp_ge_u32 s6, s33
	s_cbranch_scc1 .LBB175_19
; %bb.1:
	s_clause 0x3
	s_load_b64 s[28:29], s[0:1], 0x10
	s_load_b512 s[8:23], s[0:1], 0x20
	s_load_b128 s[24:27], s[0:1], 0x0
	s_load_b64 s[30:31], s[0:1], 0x60
	v_bfe_u32 v2, v0, 10, 10
	v_mov_b32_e32 v3, 0
	v_and_b32_e32 v12, 0x3ff, v0
	v_mov_b64_e32 v[0:1], 0
	v_mov_b64_e32 v[4:5], 0x3f800000
	v_dual_lshlrev_b32 v13, 4, v2 :: v_dual_lshlrev_b32 v17, 7, v2
	s_delay_alu instid0(VALU_DEP_4)
	v_cmp_eq_u32_e32 vcc_lo, v2, v12
	s_wait_xcnt 0x0
	v_cmp_lt_u32_e64 s0, v12, v2
	v_cmp_gt_u32_e64 s1, v12, v2
	v_add_lshl_u32 v18, v13, v12, 3
	v_lshl_add_u32 v16, v12, 3, 0x800
	s_delay_alu instid0(VALU_DEP_2)
	v_add_nc_u32_e32 v19, 0x800, v18
	s_wait_kmcnt 0x0
	s_cmp_neq_f32 s28, 0
	v_mul_u64_e32 v[6:7], s[10:11], v[2:3]
	v_mul_u64_e32 v[8:9], s[16:17], v[2:3]
	;; [unrolled: 1-line block ×3, first 2 shown]
	s_cselect_b32 s3, -1, 0
	s_cmp_neq_f32 s29, 0
	s_cselect_b32 s4, -1, 0
	s_add_co_i32 s5, s26, -1
	s_or_b32 s22, s3, s4
	s_ashr_i32 s3, s5, 31
	s_bfe_u32 s11, ttmp6, 0x4000c
	s_lshr_b32 s3, s3, 28
	s_add_co_i32 s11, s11, 1
	s_add_co_i32 s5, s5, s3
	s_and_b32 s10, ttmp6, 15
	s_mul_i32 s4, ttmp9, s11
	s_and_b32 s3, s5, -16
	s_add_co_i32 s10, s10, s4
	s_ashr_i32 s4, s5, 4
	s_sub_co_i32 s5, s26, s3
	s_cmp_eq_u32 s2, 0
	v_cmp_gt_i32_e64 s2, s27, v2
	s_cselect_b32 s11, ttmp9, s10
	v_cmp_gt_i32_e64 s3, s27, v12
	s_cmp_ge_i32 s11, s4
	v_lshlrev_b32_e32 v2, 3, v12
	s_cselect_b32 s4, s5, 16
	s_lshl_b32 s16, s11, 4
	v_cmp_gt_i32_e64 s4, s4, v12
	s_and_b32 s23, s2, s3
	s_ashr_i32 s17, s16, 31
	s_mov_b32 s10, s29
	s_mov_b32 s11, s28
	s_and_b32 s26, s2, s4
	s_cmp_eq_u32 s25, 0x84
	s_cselect_b32 s2, -1, 0
	s_delay_alu instid0(SALU_CYCLE_1)
	s_and_b32 s25, vcc_lo, s2
	s_cmp_lg_u32 s24, 0x79
	s_cselect_b32 s24, -1, 0
	s_lshl_b64 s[2:3], s[12:13], 3
	s_lshl_b64 s[4:5], s[18:19], 3
	;; [unrolled: 1-line block ×4, first 2 shown]
	s_branch .LBB175_4
.LBB175_2:                              ;   in Loop: Header=BB175_4 Depth=1
	s_wait_xcnt 0x0
	s_or_b32 exec_lo, exec_lo, s18
.LBB175_3:                              ;   in Loop: Header=BB175_4 Depth=1
	s_add_co_i32 s6, s6, 0x10000
	s_delay_alu instid0(SALU_CYCLE_1)
	s_cmp_lt_u32 s6, s33
	s_cbranch_scc0 .LBB175_19
.LBB175_4:                              ; =>This Inner Loop Header: Depth=1
	s_and_not1_b32 vcc_lo, exec_lo, s22
	s_cbranch_vccnz .LBB175_3
; %bb.5:                                ;   in Loop: Header=BB175_4 Depth=1
	v_mov_b32_e32 v20, s6
	s_clause 0x1
	global_load_b64 v[14:15], v20, s[14:15] scale_offset
	global_load_b64 v[12:13], v20, s[20:21] scale_offset
	ds_store_b64 v18, v[0:1]
	ds_store_b64 v19, v[0:1]
	s_wait_xcnt 0x0
	s_and_saveexec_b32 s18, s23
	s_cbranch_execnz .LBB175_10
; %bb.6:                                ;   in Loop: Header=BB175_4 Depth=1
	s_or_b32 exec_lo, exec_lo, s18
	s_and_saveexec_b32 s18, s26
	s_cbranch_execnz .LBB175_11
.LBB175_7:                              ;   in Loop: Header=BB175_4 Depth=1
	s_or_b32 exec_lo, exec_lo, s18
	s_and_saveexec_b32 s18, s25
	s_cbranch_execnz .LBB175_12
.LBB175_8:                              ;   in Loop: Header=BB175_4 Depth=1
	s_or_b32 exec_lo, exec_lo, s18
	s_delay_alu instid0(SALU_CYCLE_1)
	s_and_b32 vcc_lo, exec_lo, s24
	s_cbranch_vccz .LBB175_13
.LBB175_9:                              ;   in Loop: Header=BB175_4 Depth=1
	s_and_b32 s18, s0, exec_lo
	s_cbranch_execz .LBB175_14
	s_branch .LBB175_15
.LBB175_10:                             ;   in Loop: Header=BB175_4 Depth=1
	s_lshl_b64 s[30:31], s[6:7], 3
	s_delay_alu instid0(SALU_CYCLE_1) | instskip(SKIP_3) | instid1(VALU_DEP_1)
	s_add_nc_u64 s[30:31], s[8:9], s[30:31]
	global_load_b64 v[20:21], v3, s[30:31]
	s_wait_loadcnt 0x0
	v_add_nc_u64_e32 v[20:21], s[2:3], v[20:21]
	v_lshl_add_u64 v[20:21], v[6:7], 3, v[20:21]
	s_delay_alu instid0(VALU_DEP_1)
	v_add_nc_u64_e32 v[20:21], v[20:21], v[2:3]
	flat_load_b64 v[20:21], v[20:21]
	s_wait_loadcnt_dscnt 0x0
	ds_store_b64 v18, v[20:21]
	s_wait_xcnt 0x0
	s_or_b32 exec_lo, exec_lo, s18
	s_and_saveexec_b32 s18, s26
	s_cbranch_execz .LBB175_7
.LBB175_11:                             ;   in Loop: Header=BB175_4 Depth=1
	s_wait_loadcnt 0x1
	v_add_nc_u64_e32 v[14:15], s[4:5], v[14:15]
	s_delay_alu instid0(VALU_DEP_1) | instskip(NEXT) | instid1(VALU_DEP_1)
	v_add_nc_u64_e32 v[14:15], s[12:13], v[14:15]
	v_lshl_add_u64 v[14:15], v[8:9], 3, v[14:15]
	s_delay_alu instid0(VALU_DEP_1)
	v_add_nc_u64_e32 v[14:15], v[14:15], v[2:3]
	flat_load_b64 v[14:15], v[14:15]
	s_wait_loadcnt_dscnt 0x0
	ds_store_b64 v19, v[14:15]
	s_wait_xcnt 0x0
	s_or_b32 exec_lo, exec_lo, s18
	s_and_saveexec_b32 s18, s25
	s_cbranch_execz .LBB175_8
.LBB175_12:                             ;   in Loop: Header=BB175_4 Depth=1
	ds_store_b64 v18, v[4:5]
	s_or_b32 exec_lo, exec_lo, s18
	s_delay_alu instid0(SALU_CYCLE_1)
	s_and_b32 vcc_lo, exec_lo, s24
	s_cbranch_vccnz .LBB175_9
.LBB175_13:                             ;   in Loop: Header=BB175_4 Depth=1
	s_mov_b32 s18, 0
.LBB175_14:                             ;   in Loop: Header=BB175_4 Depth=1
	s_delay_alu instid0(SALU_CYCLE_1) | instskip(SKIP_1) | instid1(SALU_CYCLE_1)
	s_and_not1_b32 s18, s18, exec_lo
	s_and_b32 s19, s1, exec_lo
	s_or_b32 s18, s18, s19
.LBB175_15:                             ;   in Loop: Header=BB175_4 Depth=1
	s_delay_alu instid0(SALU_CYCLE_1)
	s_and_saveexec_b32 s19, s18
; %bb.16:                               ;   in Loop: Header=BB175_4 Depth=1
	ds_store_b64 v18, v[0:1]
; %bb.17:                               ;   in Loop: Header=BB175_4 Depth=1
	s_or_b32 exec_lo, exec_lo, s19
	s_wait_loadcnt_dscnt 0x0
	s_barrier_signal -1
	s_barrier_wait -1
	s_and_saveexec_b32 s18, s26
	s_cbranch_execz .LBB175_2
; %bb.18:                               ;   in Loop: Header=BB175_4 Depth=1
	ds_load_2addr_b64 v[20:23], v16 offset1:16
	ds_load_b128 v[24:27], v17
	ds_load_b128 v[28:31], v17 offset:16
	ds_load_2addr_b64 v[32:35], v16 offset0:32 offset1:48
	ds_load_b128 v[36:39], v17 offset:32
	ds_load_b128 v[40:43], v17 offset:48
	ds_load_2addr_b64 v[44:47], v16 offset0:64 offset1:80
	ds_load_2addr_b64 v[48:51], v16 offset0:96 offset1:112
	;; [unrolled: 1-line block ×3, first 2 shown]
	ds_load_b128 v[56:59], v17 offset:64
	ds_load_b128 v[60:63], v17 offset:80
	ds_load_2addr_b64 v[64:67], v16 offset0:160 offset1:176
	ds_load_2addr_b64 v[68:71], v16 offset0:192 offset1:208
	ds_load_b128 v[72:75], v17 offset:96
	ds_load_b128 v[76:79], v17 offset:112
	ds_load_2addr_b64 v[80:83], v16 offset0:224 offset1:240
	v_add_nc_u64_e32 v[12:13], s[16:17], v[12:13]
	s_wait_dscnt 0xe
	v_dual_mul_f32 v14, v24, v21 :: v_dual_mul_f32 v15, v26, v23
	v_dual_mul_f32 v21, v25, v21 :: v_dual_mul_f32 v23, v27, v23
	s_delay_alu instid0(VALU_DEP_3) | instskip(NEXT) | instid1(VALU_DEP_3)
	v_add_nc_u64_e32 v[12:13], s[12:13], v[12:13]
	v_dual_fmac_f32 v14, v25, v20 :: v_dual_fmac_f32 v15, v27, v22
	s_delay_alu instid0(VALU_DEP_3)
	v_dual_fma_f32 v20, v24, v20, -v21 :: v_dual_fma_f32 v21, v26, v22, -v23
	s_wait_dscnt 0xc
	v_dual_mul_f32 v22, v28, v33 :: v_dual_mul_f32 v23, v30, v35
	s_wait_dscnt 0x9
	v_dual_add_f32 v14, 0, v14 :: v_dual_mul_f32 v26, v36, v45
	v_dual_mul_f32 v24, v29, v33 :: v_dual_mul_f32 v25, v31, v35
	s_delay_alu instid0(VALU_DEP_2) | instskip(SKIP_3) | instid1(VALU_DEP_3)
	v_dual_fmac_f32 v22, v29, v32 :: v_dual_add_f32 v14, v14, v15
	v_dual_mul_f32 v15, v39, v47 :: v_dual_add_f32 v20, 0, v20
	s_wait_dscnt 0x8
	v_dual_mul_f32 v29, v40, v49 :: v_dual_fmac_f32 v23, v31, v34
	v_add_f32_e32 v14, v14, v22
	v_dual_mul_f32 v27, v38, v47 :: v_dual_mul_f32 v33, v37, v45
	v_add_f32_e32 v20, v20, v21
	s_delay_alu instid0(VALU_DEP_3) | instskip(SKIP_3) | instid1(VALU_DEP_3)
	v_dual_fma_f32 v24, v28, v32, -v24 :: v_dual_add_f32 v14, v14, v23
	v_dual_mul_f32 v23, v43, v51 :: v_dual_fmac_f32 v26, v37, v44
	s_wait_dscnt 0x6
	v_dual_fma_f32 v25, v30, v34, -v25 :: v_dual_mul_f32 v28, v56, v53
	v_dual_add_f32 v20, v20, v24 :: v_dual_fmac_f32 v27, v39, v46
	s_delay_alu instid0(VALU_DEP_3) | instskip(NEXT) | instid1(VALU_DEP_2)
	v_dual_add_f32 v14, v14, v26 :: v_dual_fma_f32 v26, v36, v44, -v33
	v_dual_mul_f32 v24, v58, v55 :: v_dual_add_f32 v20, v20, v25
	v_dual_mul_f32 v22, v42, v51 :: v_dual_mul_f32 v21, v41, v49
	s_delay_alu instid0(VALU_DEP_3)
	v_dual_fmac_f32 v29, v41, v48 :: v_dual_add_f32 v14, v14, v27
	s_wait_dscnt 0x4
	v_dual_mul_f32 v25, v60, v65 :: v_dual_fma_f32 v15, v38, v46, -v15
	v_add_f32_e32 v20, v20, v26
	v_dual_fmac_f32 v22, v43, v50 :: v_dual_mul_f32 v26, v62, v67
	v_dual_add_f32 v14, v14, v29 :: v_dual_fma_f32 v21, v40, v48, -v21
	s_delay_alu instid0(VALU_DEP_3) | instskip(NEXT) | instid1(VALU_DEP_2)
	v_dual_add_f32 v15, v20, v15 :: v_dual_fmac_f32 v28, v57, v52
	v_dual_mul_f32 v20, v57, v53 :: v_dual_add_f32 v14, v14, v22
	s_delay_alu instid0(VALU_DEP_2) | instskip(SKIP_1) | instid1(VALU_DEP_3)
	v_dual_fma_f32 v22, v42, v50, -v23 :: v_dual_add_f32 v15, v15, v21
	v_dual_fmac_f32 v24, v59, v54 :: v_dual_mul_f32 v21, v59, v55
	v_add_f32_e32 v14, v14, v28
	s_delay_alu instid0(VALU_DEP_3) | instskip(SKIP_1) | instid1(VALU_DEP_3)
	v_dual_fma_f32 v20, v56, v52, -v20 :: v_dual_add_f32 v15, v15, v22
	v_dual_fmac_f32 v25, v61, v64 :: v_dual_mul_f32 v22, v61, v65
	v_dual_add_f32 v14, v14, v24 :: v_dual_fmac_f32 v26, v63, v66
	s_delay_alu instid0(VALU_DEP_3) | instskip(SKIP_2) | instid1(VALU_DEP_3)
	v_dual_fma_f32 v21, v58, v54, -v21 :: v_dual_add_f32 v15, v15, v20
	s_wait_dscnt 0x2
	v_mul_f32_e32 v20, v72, v69
	v_dual_add_f32 v14, v14, v25 :: v_dual_fma_f32 v22, v60, v64, -v22
	s_delay_alu instid0(VALU_DEP_3) | instskip(NEXT) | instid1(VALU_DEP_2)
	v_dual_mul_f32 v23, v74, v71 :: v_dual_add_f32 v15, v15, v21
	v_dual_mul_f32 v21, v63, v67 :: v_dual_add_f32 v14, v14, v26
	s_delay_alu instid0(VALU_DEP_2) | instskip(NEXT) | instid1(VALU_DEP_3)
	v_dual_fmac_f32 v20, v73, v68 :: v_dual_fmac_f32 v23, v75, v70
	v_dual_add_f32 v15, v15, v22 :: v_dual_mul_f32 v22, v73, v69
	s_delay_alu instid0(VALU_DEP_3) | instskip(SKIP_1) | instid1(VALU_DEP_3)
	v_fma_f32 v21, v62, v66, -v21
	s_wait_dscnt 0x0
	v_dual_add_f32 v14, v14, v20 :: v_dual_mul_f32 v20, v76, v81
	v_lshl_add_u64 v[12:13], v[10:11], 3, v[12:13]
	s_delay_alu instid0(VALU_DEP_3) | instskip(NEXT) | instid1(VALU_DEP_3)
	v_dual_add_f32 v15, v15, v21 :: v_dual_fma_f32 v21, v72, v68, -v22
	v_dual_mul_f32 v22, v75, v71 :: v_dual_fmac_f32 v20, v77, v80
	s_delay_alu instid0(VALU_DEP_4) | instskip(NEXT) | instid1(VALU_DEP_3)
	v_add_f32_e32 v14, v14, v23
	v_dual_mul_f32 v23, v78, v83 :: v_dual_add_f32 v15, v15, v21
	s_delay_alu instid0(VALU_DEP_3) | instskip(NEXT) | instid1(VALU_DEP_2)
	v_dual_fma_f32 v21, v74, v70, -v22 :: v_dual_mul_f32 v22, v77, v81
	v_dual_add_f32 v14, v14, v20 :: v_dual_fmac_f32 v23, v79, v82
	v_add_nc_u64_e32 v[12:13], v[12:13], v[2:3]
	s_delay_alu instid0(VALU_DEP_3) | instskip(NEXT) | instid1(VALU_DEP_3)
	v_dual_fma_f32 v20, v76, v80, -v22 :: v_dual_add_f32 v15, v15, v21
	v_add_f32_e32 v14, v14, v23
	v_mul_f32_e32 v21, v79, v83
	s_delay_alu instid0(VALU_DEP_1) | instskip(SKIP_1) | instid1(VALU_DEP_2)
	v_dual_add_f32 v15, v15, v20 :: v_dual_fma_f32 v22, v78, v82, -v21
	v_mov_b64_e32 v[20:21], s[10:11]
	v_add_f32_e32 v22, v15, v22
	s_delay_alu instid0(VALU_DEP_2) | instskip(SKIP_1) | instid1(VALU_DEP_1)
	v_pk_mul_f32 v[14:15], v[20:21], v[14:15] op_sel_hi:[1,0]
	v_mov_b64_e32 v[20:21], s[28:29]
	v_pk_fma_f32 v[24:25], v[20:21], v[22:23], v[14:15] op_sel_hi:[1,0,1]
	v_pk_fma_f32 v[14:15], v[20:21], v[22:23], v[14:15] neg_lo:[0,0,1] neg_hi:[0,0,1]
	s_delay_alu instid0(VALU_DEP_2)
	v_mov_b32_e32 v15, v25
	flat_store_b64 v[12:13], v[14:15]
	s_branch .LBB175_2
.LBB175_19:
	s_sendmsg sendmsg(MSG_DEALLOC_VGPRS)
	s_endpgm
	.section	.rodata,"a",@progbits
	.p2align	6, 0x0
	.amdhsa_kernel _ZL23rocblas_trmm_rNx_kernelILi16E19rocblas_complex_numIfES1_KPKS1_KPS1_Ev13rocblas_fill_17rocblas_diagonal_iiT1_lPT2_llSB_llPT3_lli
		.amdhsa_group_segment_fixed_size 4096
		.amdhsa_private_segment_fixed_size 0
		.amdhsa_kernarg_size 108
		.amdhsa_user_sgpr_count 2
		.amdhsa_user_sgpr_dispatch_ptr 0
		.amdhsa_user_sgpr_queue_ptr 0
		.amdhsa_user_sgpr_kernarg_segment_ptr 1
		.amdhsa_user_sgpr_dispatch_id 0
		.amdhsa_user_sgpr_kernarg_preload_length 0
		.amdhsa_user_sgpr_kernarg_preload_offset 0
		.amdhsa_user_sgpr_private_segment_size 0
		.amdhsa_wavefront_size32 1
		.amdhsa_uses_dynamic_stack 0
		.amdhsa_enable_private_segment 0
		.amdhsa_system_sgpr_workgroup_id_x 1
		.amdhsa_system_sgpr_workgroup_id_y 0
		.amdhsa_system_sgpr_workgroup_id_z 1
		.amdhsa_system_sgpr_workgroup_info 0
		.amdhsa_system_vgpr_workitem_id 1
		.amdhsa_next_free_vgpr 84
		.amdhsa_next_free_sgpr 34
		.amdhsa_named_barrier_count 0
		.amdhsa_reserve_vcc 1
		.amdhsa_float_round_mode_32 0
		.amdhsa_float_round_mode_16_64 0
		.amdhsa_float_denorm_mode_32 3
		.amdhsa_float_denorm_mode_16_64 3
		.amdhsa_fp16_overflow 0
		.amdhsa_memory_ordered 1
		.amdhsa_forward_progress 1
		.amdhsa_inst_pref_size 13
		.amdhsa_round_robin_scheduling 0
		.amdhsa_exception_fp_ieee_invalid_op 0
		.amdhsa_exception_fp_denorm_src 0
		.amdhsa_exception_fp_ieee_div_zero 0
		.amdhsa_exception_fp_ieee_overflow 0
		.amdhsa_exception_fp_ieee_underflow 0
		.amdhsa_exception_fp_ieee_inexact 0
		.amdhsa_exception_int_div_zero 0
	.end_amdhsa_kernel
	.section	.text._ZL23rocblas_trmm_rNx_kernelILi16E19rocblas_complex_numIfES1_KPKS1_KPS1_Ev13rocblas_fill_17rocblas_diagonal_iiT1_lPT2_llSB_llPT3_lli,"axG",@progbits,_ZL23rocblas_trmm_rNx_kernelILi16E19rocblas_complex_numIfES1_KPKS1_KPS1_Ev13rocblas_fill_17rocblas_diagonal_iiT1_lPT2_llSB_llPT3_lli,comdat
.Lfunc_end175:
	.size	_ZL23rocblas_trmm_rNx_kernelILi16E19rocblas_complex_numIfES1_KPKS1_KPS1_Ev13rocblas_fill_17rocblas_diagonal_iiT1_lPT2_llSB_llPT3_lli, .Lfunc_end175-_ZL23rocblas_trmm_rNx_kernelILi16E19rocblas_complex_numIfES1_KPKS1_KPS1_Ev13rocblas_fill_17rocblas_diagonal_iiT1_lPT2_llSB_llPT3_lli
                                        ; -- End function
	.set _ZL23rocblas_trmm_rNx_kernelILi16E19rocblas_complex_numIfES1_KPKS1_KPS1_Ev13rocblas_fill_17rocblas_diagonal_iiT1_lPT2_llSB_llPT3_lli.num_vgpr, 84
	.set _ZL23rocblas_trmm_rNx_kernelILi16E19rocblas_complex_numIfES1_KPKS1_KPS1_Ev13rocblas_fill_17rocblas_diagonal_iiT1_lPT2_llSB_llPT3_lli.num_agpr, 0
	.set _ZL23rocblas_trmm_rNx_kernelILi16E19rocblas_complex_numIfES1_KPKS1_KPS1_Ev13rocblas_fill_17rocblas_diagonal_iiT1_lPT2_llSB_llPT3_lli.numbered_sgpr, 34
	.set _ZL23rocblas_trmm_rNx_kernelILi16E19rocblas_complex_numIfES1_KPKS1_KPS1_Ev13rocblas_fill_17rocblas_diagonal_iiT1_lPT2_llSB_llPT3_lli.num_named_barrier, 0
	.set _ZL23rocblas_trmm_rNx_kernelILi16E19rocblas_complex_numIfES1_KPKS1_KPS1_Ev13rocblas_fill_17rocblas_diagonal_iiT1_lPT2_llSB_llPT3_lli.private_seg_size, 0
	.set _ZL23rocblas_trmm_rNx_kernelILi16E19rocblas_complex_numIfES1_KPKS1_KPS1_Ev13rocblas_fill_17rocblas_diagonal_iiT1_lPT2_llSB_llPT3_lli.uses_vcc, 1
	.set _ZL23rocblas_trmm_rNx_kernelILi16E19rocblas_complex_numIfES1_KPKS1_KPS1_Ev13rocblas_fill_17rocblas_diagonal_iiT1_lPT2_llSB_llPT3_lli.uses_flat_scratch, 0
	.set _ZL23rocblas_trmm_rNx_kernelILi16E19rocblas_complex_numIfES1_KPKS1_KPS1_Ev13rocblas_fill_17rocblas_diagonal_iiT1_lPT2_llSB_llPT3_lli.has_dyn_sized_stack, 0
	.set _ZL23rocblas_trmm_rNx_kernelILi16E19rocblas_complex_numIfES1_KPKS1_KPS1_Ev13rocblas_fill_17rocblas_diagonal_iiT1_lPT2_llSB_llPT3_lli.has_recursion, 0
	.set _ZL23rocblas_trmm_rNx_kernelILi16E19rocblas_complex_numIfES1_KPKS1_KPS1_Ev13rocblas_fill_17rocblas_diagonal_iiT1_lPT2_llSB_llPT3_lli.has_indirect_call, 0
	.section	.AMDGPU.csdata,"",@progbits
; Kernel info:
; codeLenInByte = 1624
; TotalNumSgprs: 36
; NumVgprs: 84
; ScratchSize: 0
; MemoryBound: 0
; FloatMode: 240
; IeeeMode: 1
; LDSByteSize: 4096 bytes/workgroup (compile time only)
; SGPRBlocks: 0
; VGPRBlocks: 5
; NumSGPRsForWavesPerEU: 36
; NumVGPRsForWavesPerEU: 84
; NamedBarCnt: 0
; Occupancy: 10
; WaveLimiterHint : 1
; COMPUTE_PGM_RSRC2:SCRATCH_EN: 0
; COMPUTE_PGM_RSRC2:USER_SGPR: 2
; COMPUTE_PGM_RSRC2:TRAP_HANDLER: 0
; COMPUTE_PGM_RSRC2:TGID_X_EN: 1
; COMPUTE_PGM_RSRC2:TGID_Y_EN: 0
; COMPUTE_PGM_RSRC2:TGID_Z_EN: 1
; COMPUTE_PGM_RSRC2:TIDIG_COMP_CNT: 1
	.section	.text._ZL23rocblas_trmm_rTx_kernelILi16ELb0E19rocblas_complex_numIfEPKS1_KS3_KPS1_Ev13rocblas_fill_17rocblas_diagonal_iiT2_lPT3_llSB_llPT4_lli,"axG",@progbits,_ZL23rocblas_trmm_rTx_kernelILi16ELb0E19rocblas_complex_numIfEPKS1_KS3_KPS1_Ev13rocblas_fill_17rocblas_diagonal_iiT2_lPT3_llSB_llPT4_lli,comdat
	.globl	_ZL23rocblas_trmm_rTx_kernelILi16ELb0E19rocblas_complex_numIfEPKS1_KS3_KPS1_Ev13rocblas_fill_17rocblas_diagonal_iiT2_lPT3_llSB_llPT4_lli ; -- Begin function _ZL23rocblas_trmm_rTx_kernelILi16ELb0E19rocblas_complex_numIfEPKS1_KS3_KPS1_Ev13rocblas_fill_17rocblas_diagonal_iiT2_lPT3_llSB_llPT4_lli
	.p2align	8
	.type	_ZL23rocblas_trmm_rTx_kernelILi16ELb0E19rocblas_complex_numIfEPKS1_KS3_KPS1_Ev13rocblas_fill_17rocblas_diagonal_iiT2_lPT3_llSB_llPT4_lli,@function
_ZL23rocblas_trmm_rTx_kernelILi16ELb0E19rocblas_complex_numIfEPKS1_KS3_KPS1_Ev13rocblas_fill_17rocblas_diagonal_iiT2_lPT3_llSB_llPT4_lli: ; @_ZL23rocblas_trmm_rTx_kernelILi16ELb0E19rocblas_complex_numIfEPKS1_KS3_KPS1_Ev13rocblas_fill_17rocblas_diagonal_iiT2_lPT3_llSB_llPT4_lli
; %bb.0:
	s_load_b32 s33, s[0:1], 0x68
	s_bfe_u32 s2, ttmp6, 0x40014
	s_lshr_b32 s3, ttmp7, 16
	s_add_co_i32 s2, s2, 1
	s_bfe_u32 s5, ttmp6, 0x40008
	s_mul_i32 s4, s3, s2
	s_getreg_b32 s2, hwreg(HW_REG_IB_STS2, 6, 4)
	s_add_co_i32 s5, s5, s4
	s_cmp_eq_u32 s2, 0
	s_mov_b32 s7, 0
	s_cselect_b32 s6, s3, s5
	s_wait_kmcnt 0x0
	s_cmp_ge_u32 s6, s33
	s_cbranch_scc1 .LBB176_19
; %bb.1:
	s_clause 0x3
	s_load_b128 s[28:31], s[0:1], 0x0
	s_load_b512 s[8:23], s[0:1], 0x10
	s_load_b128 s[24:27], s[0:1], 0x50
	s_load_b64 s[34:35], s[0:1], 0x60
	v_bfe_u32 v2, v0, 10, 10
	v_mov_b32_e32 v3, 0
	s_wait_xcnt 0x0
	s_bfe_u32 s0, ttmp6, 0x4000c
	s_and_b32 s1, ttmp6, 15
	s_add_co_i32 s0, s0, 1
	v_lshlrev_b32_e32 v13, 4, v2
	s_mul_i32 s3, ttmp9, s0
	v_and_b32_e32 v12, 0x3ff, v0
	s_add_co_i32 s3, s1, s3
	v_mov_b64_e32 v[0:1], 0
	v_mov_b64_e32 v[4:5], 0x3f800000
	v_lshlrev_b32_e32 v20, 3, v2
	v_cmp_eq_u32_e32 vcc_lo, v2, v12
	v_add_lshl_u32 v19, v13, v12, 3
	v_cmp_lt_u32_e64 s0, v12, v2
	v_lshl_add_u32 v18, v12, 3, 0x800
	s_wait_kmcnt 0x0
	s_add_co_i32 s4, s30, -1
	v_mul_u64_e32 v[6:7], s[14:15], v[2:3]
	s_ashr_i32 s5, s4, 31
	v_mul_u64_e32 v[8:9], s[20:21], v[2:3]
	v_mul_u64_e32 v[10:11], s[26:27], v[2:3]
	s_lshr_b32 s5, s5, 28
	v_add_nc_u32_e32 v21, 0x800, v19
	s_add_co_i32 s4, s4, s5
	s_delay_alu instid0(SALU_CYCLE_1)
	s_and_b32 s1, s4, -16
	s_ashr_i32 s4, s4, 4
	s_sub_co_i32 s5, s30, s1
	s_cmp_eq_u32 s2, 0
	v_cmp_gt_i32_e64 s2, s31, v2
	s_cselect_b32 s14, ttmp9, s3
	v_cmp_gt_i32_e64 s3, s31, v12
	s_cmp_ge_i32 s14, s4
	v_cmp_gt_u32_e64 s1, v12, v2
	s_cselect_b32 s4, s5, 16
	s_lshl_b32 s20, s14, 4
	v_cmp_gt_i32_e64 s4, s4, v12
	s_and_b32 s26, s2, s3
	s_ashr_i32 s21, s20, 31
	v_lshlrev_b32_e32 v2, 3, v12
	s_and_b32 s27, s2, s4
	s_cmp_eq_u32 s29, 0x84
	s_cselect_b32 s2, -1, 0
	s_delay_alu instid0(SALU_CYCLE_1)
	s_and_b32 s29, vcc_lo, s2
	s_cmp_lg_u32 s28, 0x79
	s_cselect_b32 s28, -1, 0
	s_lshl_b64 s[4:5], s[16:17], 3
	s_lshl_b64 s[14:15], s[22:23], 3
	;; [unrolled: 1-line block ×4, first 2 shown]
	s_branch .LBB176_4
.LBB176_2:                              ;   in Loop: Header=BB176_4 Depth=1
	s_wait_xcnt 0x0
	s_or_b32 exec_lo, exec_lo, s2
.LBB176_3:                              ;   in Loop: Header=BB176_4 Depth=1
	s_add_co_i32 s6, s6, 0x10000
	s_delay_alu instid0(SALU_CYCLE_1)
	s_cmp_lt_u32 s6, s33
	s_cbranch_scc0 .LBB176_19
.LBB176_4:                              ; =>This Inner Loop Header: Depth=1
	s_mul_u64 s[2:3], s[10:11], s[6:7]
	s_delay_alu instid0(SALU_CYCLE_1) | instskip(NEXT) | instid1(SALU_CYCLE_1)
	s_lshl_b64 s[2:3], s[2:3], 3
	s_add_nc_u64 s[2:3], s[8:9], s[2:3]
	global_load_b64 v[12:13], v3, s[2:3]
	s_wait_loadcnt 0x0
	v_cmp_neq_f32_e32 vcc_lo, 0, v12
	s_wait_xcnt 0x0
	v_cmp_neq_f32_e64 s2, 0, v13
	s_or_b32 s2, vcc_lo, s2
	s_delay_alu instid0(SALU_CYCLE_1)
	s_and_not1_b32 vcc_lo, exec_lo, s2
	s_cbranch_vccnz .LBB176_3
; %bb.5:                                ;   in Loop: Header=BB176_4 Depth=1
	s_lshl_b64 s[2:3], s[6:7], 3
	s_delay_alu instid0(SALU_CYCLE_1)
	s_add_nc_u64 s[22:23], s[18:19], s[2:3]
	s_add_nc_u64 s[30:31], s[24:25], s[2:3]
	s_clause 0x1
	global_load_b64 v[16:17], v3, s[22:23]
	global_load_b64 v[14:15], v3, s[30:31]
	ds_store_b64 v19, v[0:1]
	ds_store_b64 v21, v[0:1]
	s_wait_xcnt 0x0
	s_and_saveexec_b32 s22, s26
	s_cbranch_execnz .LBB176_10
; %bb.6:                                ;   in Loop: Header=BB176_4 Depth=1
	s_or_b32 exec_lo, exec_lo, s22
	s_and_saveexec_b32 s2, s27
	s_cbranch_execnz .LBB176_11
.LBB176_7:                              ;   in Loop: Header=BB176_4 Depth=1
	s_or_b32 exec_lo, exec_lo, s2
	s_and_saveexec_b32 s2, s29
	s_cbranch_execnz .LBB176_12
.LBB176_8:                              ;   in Loop: Header=BB176_4 Depth=1
	s_or_b32 exec_lo, exec_lo, s2
	s_delay_alu instid0(SALU_CYCLE_1)
	s_and_b32 vcc_lo, exec_lo, s28
	s_cbranch_vccz .LBB176_13
.LBB176_9:                              ;   in Loop: Header=BB176_4 Depth=1
	s_and_b32 s2, s0, exec_lo
	s_cbranch_execz .LBB176_14
	s_branch .LBB176_15
.LBB176_10:                             ;   in Loop: Header=BB176_4 Depth=1
	s_add_nc_u64 s[2:3], s[12:13], s[2:3]
	global_load_b64 v[22:23], v3, s[2:3]
	s_wait_loadcnt 0x0
	v_add_nc_u64_e32 v[22:23], s[4:5], v[22:23]
	s_delay_alu instid0(VALU_DEP_1) | instskip(NEXT) | instid1(VALU_DEP_1)
	v_lshl_add_u64 v[22:23], v[6:7], 3, v[22:23]
	v_add_nc_u64_e32 v[22:23], v[22:23], v[2:3]
	flat_load_b64 v[22:23], v[22:23]
	s_wait_loadcnt_dscnt 0x0
	ds_store_b64 v19, v[22:23]
	s_wait_xcnt 0x0
	s_or_b32 exec_lo, exec_lo, s22
	s_and_saveexec_b32 s2, s27
	s_cbranch_execz .LBB176_7
.LBB176_11:                             ;   in Loop: Header=BB176_4 Depth=1
	s_wait_loadcnt 0x1
	v_add_nc_u64_e32 v[16:17], s[14:15], v[16:17]
	s_delay_alu instid0(VALU_DEP_1) | instskip(NEXT) | instid1(VALU_DEP_1)
	v_add_nc_u64_e32 v[16:17], s[16:17], v[16:17]
	v_lshl_add_u64 v[16:17], v[8:9], 3, v[16:17]
	s_delay_alu instid0(VALU_DEP_1)
	v_add_nc_u64_e32 v[16:17], v[16:17], v[2:3]
	flat_load_b64 v[16:17], v[16:17]
	s_wait_loadcnt_dscnt 0x0
	ds_store_b64 v21, v[16:17]
	s_wait_xcnt 0x0
	s_or_b32 exec_lo, exec_lo, s2
	s_and_saveexec_b32 s2, s29
	s_cbranch_execz .LBB176_8
.LBB176_12:                             ;   in Loop: Header=BB176_4 Depth=1
	ds_store_b64 v19, v[4:5]
	s_or_b32 exec_lo, exec_lo, s2
	s_delay_alu instid0(SALU_CYCLE_1)
	s_and_b32 vcc_lo, exec_lo, s28
	s_cbranch_vccnz .LBB176_9
.LBB176_13:                             ;   in Loop: Header=BB176_4 Depth=1
	s_mov_b32 s2, 0
.LBB176_14:                             ;   in Loop: Header=BB176_4 Depth=1
	s_delay_alu instid0(SALU_CYCLE_1) | instskip(SKIP_1) | instid1(SALU_CYCLE_1)
	s_and_not1_b32 s2, s2, exec_lo
	s_and_b32 s3, s1, exec_lo
	s_or_b32 s2, s2, s3
.LBB176_15:                             ;   in Loop: Header=BB176_4 Depth=1
	s_delay_alu instid0(SALU_CYCLE_1)
	s_and_saveexec_b32 s3, s2
; %bb.16:                               ;   in Loop: Header=BB176_4 Depth=1
	ds_store_b64 v19, v[0:1]
; %bb.17:                               ;   in Loop: Header=BB176_4 Depth=1
	s_or_b32 exec_lo, exec_lo, s3
	s_wait_loadcnt_dscnt 0x0
	s_barrier_signal -1
	s_barrier_wait -1
	s_and_saveexec_b32 s2, s27
	s_cbranch_execz .LBB176_2
; %bb.18:                               ;   in Loop: Header=BB176_4 Depth=1
	ds_load_2addr_b64 v[22:25], v20 offset1:16
	ds_load_2addr_b64 v[26:29], v18 offset1:16
	ds_load_2addr_b64 v[30:33], v20 offset0:32 offset1:48
	ds_load_2addr_b64 v[34:37], v18 offset0:32 offset1:48
	;; [unrolled: 1-line block ×9, first 2 shown]
	v_add_nc_u64_e32 v[14:15], s[20:21], v[14:15]
	s_delay_alu instid0(VALU_DEP_1)
	v_add_nc_u64_e32 v[14:15], s[16:17], v[14:15]
	s_wait_dscnt 0x9
	v_dual_mul_f32 v16, v22, v27 :: v_dual_mul_f32 v17, v24, v29
	s_wait_dscnt 0x7
	v_mul_f32_e32 v66, v30, v35
	v_dual_mul_f32 v27, v23, v27 :: v_dual_mul_f32 v29, v25, v29
	s_delay_alu instid0(VALU_DEP_3) | instskip(NEXT) | instid1(VALU_DEP_3)
	v_dual_fmac_f32 v16, v23, v26 :: v_dual_fmac_f32 v17, v25, v28
	v_fmac_f32_e32 v66, v31, v34
	s_delay_alu instid0(VALU_DEP_3) | instskip(NEXT) | instid1(VALU_DEP_3)
	v_dual_fma_f32 v67, v22, v26, -v27 :: v_dual_fma_f32 v68, v24, v28, -v29
	v_dual_mul_f32 v26, v31, v35 :: v_dual_add_f32 v16, 0, v16
	v_dual_mul_f32 v69, v32, v37 :: v_dual_mul_f32 v27, v33, v37
	s_wait_dscnt 0x5
	v_dual_mul_f32 v72, v40, v45 :: v_dual_mul_f32 v35, v41, v45
	s_delay_alu instid0(VALU_DEP_2) | instskip(NEXT) | instid1(VALU_DEP_3)
	v_dual_add_f32 v16, v16, v17 :: v_dual_fmac_f32 v69, v33, v36
	v_dual_fma_f32 v70, v30, v34, -v26 :: v_dual_fma_f32 v71, v32, v36, -v27
	v_dual_mul_f32 v17, v38, v43 :: v_dual_mul_f32 v34, v39, v43
	s_delay_alu instid0(VALU_DEP_3)
	v_dual_add_f32 v16, v16, v66 :: v_dual_add_f32 v36, 0, v67
	ds_load_2addr_b64 v[22:25], v18 offset0:160 offset1:176
	v_dual_fmac_f32 v17, v39, v42 :: v_dual_fmac_f32 v72, v41, v44
	v_dual_fma_f32 v42, v38, v42, -v34 :: v_dual_fma_f32 v43, v40, v44, -v35
	s_wait_dscnt 0x4
	v_dual_add_f32 v44, v36, v68 :: v_dual_mul_f32 v45, v46, v51
	v_dual_add_f32 v16, v16, v69 :: v_dual_mul_f32 v51, v47, v51
	v_mul_f32_e32 v66, v48, v53
	s_delay_alu instid0(VALU_DEP_3) | instskip(NEXT) | instid1(VALU_DEP_3)
	v_add_f32_e32 v44, v44, v70
	v_dual_fmac_f32 v45, v47, v50 :: v_dual_add_f32 v16, v16, v17
	s_wait_dscnt 0x2
	v_dual_mul_f32 v17, v49, v53 :: v_dual_mul_f32 v53, v54, v59
	s_delay_alu instid0(VALU_DEP_3) | instskip(NEXT) | instid1(VALU_DEP_3)
	v_dual_add_f32 v44, v44, v71 :: v_dual_fmac_f32 v66, v49, v52
	v_add_f32_e32 v16, v16, v72
	ds_load_2addr_b64 v[26:29], v20 offset0:192 offset1:208
	ds_load_2addr_b64 v[30:33], v18 offset0:192 offset1:208
	v_add_f32_e32 v42, v44, v42
	v_dual_mul_f32 v47, v56, v61 :: v_dual_fma_f32 v46, v46, v50, -v51
	s_wait_dscnt 0x2
	v_dual_mul_f32 v44, v62, v23 :: v_dual_add_f32 v16, v16, v45
	s_delay_alu instid0(VALU_DEP_3) | instskip(SKIP_1) | instid1(VALU_DEP_3)
	v_dual_add_f32 v42, v42, v43 :: v_dual_mul_f32 v45, v64, v25
	v_dual_fmac_f32 v53, v55, v58 :: v_dual_mul_f32 v43, v55, v59
	v_dual_add_f32 v16, v16, v66 :: v_dual_fmac_f32 v47, v57, v60
	s_delay_alu instid0(VALU_DEP_3) | instskip(SKIP_4) | instid1(VALU_DEP_2)
	v_dual_fma_f32 v17, v48, v52, -v17 :: v_dual_add_f32 v42, v42, v46
	ds_load_2addr_b64 v[34:37], v20 offset0:224 offset1:240
	ds_load_2addr_b64 v[38:41], v18 offset0:224 offset1:240
	v_dual_add_f32 v16, v16, v53 :: v_dual_fma_f32 v43, v54, v58, -v43
	v_dual_mul_f32 v46, v57, v61 :: v_dual_fmac_f32 v44, v63, v22
	v_dual_add_f32 v17, v42, v17 :: v_dual_add_f32 v16, v16, v47
	s_delay_alu instid0(VALU_DEP_2) | instskip(SKIP_1) | instid1(VALU_DEP_3)
	v_dual_mul_f32 v23, v63, v23 :: v_dual_fma_f32 v42, v56, v60, -v46
	v_fmac_f32_e32 v45, v65, v24
	v_dual_add_f32 v17, v17, v43 :: v_dual_add_f32 v16, v16, v44
	s_wait_dscnt 0x2
	v_mul_f32_e32 v43, v26, v31
	v_dual_fma_f32 v22, v62, v22, -v23 :: v_dual_mul_f32 v23, v65, v25
	s_delay_alu instid0(VALU_DEP_3) | instskip(NEXT) | instid1(VALU_DEP_3)
	v_dual_add_f32 v17, v17, v42 :: v_dual_add_f32 v16, v16, v45
	v_dual_fmac_f32 v43, v27, v30 :: v_dual_mul_f32 v25, v28, v33
	v_lshl_add_u64 v[14:15], v[10:11], 3, v[14:15]
	s_delay_alu instid0(VALU_DEP_3) | instskip(NEXT) | instid1(VALU_DEP_3)
	v_dual_add_f32 v17, v17, v22 :: v_dual_fma_f32 v22, v64, v24, -v23
	v_dual_mul_f32 v23, v27, v31 :: v_dual_fmac_f32 v25, v29, v32
	s_delay_alu instid0(VALU_DEP_4) | instskip(SKIP_1) | instid1(VALU_DEP_3)
	v_add_f32_e32 v16, v16, v43
	s_wait_dscnt 0x0
	v_dual_mul_f32 v24, v34, v39 :: v_dual_add_f32 v17, v17, v22
	s_delay_alu instid0(VALU_DEP_3) | instskip(NEXT) | instid1(VALU_DEP_2)
	v_dual_fma_f32 v22, v26, v30, -v23 :: v_dual_mul_f32 v23, v29, v33
	v_dual_add_f32 v16, v16, v25 :: v_dual_fmac_f32 v24, v35, v38
	v_add_nc_u64_e32 v[14:15], v[14:15], v[2:3]
	s_delay_alu instid0(VALU_DEP_3) | instskip(SKIP_1) | instid1(VALU_DEP_2)
	v_dual_add_f32 v17, v17, v22 :: v_dual_fma_f32 v22, v28, v32, -v23
	v_dual_mul_f32 v23, v35, v39 :: v_dual_mul_f32 v25, v36, v41
	v_dual_add_f32 v16, v16, v24 :: v_dual_add_f32 v17, v17, v22
	s_delay_alu instid0(VALU_DEP_2) | instskip(NEXT) | instid1(VALU_DEP_3)
	v_dual_fma_f32 v22, v34, v38, -v23 :: v_dual_mul_f32 v23, v37, v41
	v_fmac_f32_e32 v25, v37, v40
	s_delay_alu instid0(VALU_DEP_2) | instskip(NEXT) | instid1(VALU_DEP_1)
	v_dual_add_f32 v17, v17, v22 :: v_dual_fma_f32 v22, v36, v40, -v23
	v_dual_add_f32 v16, v16, v25 :: v_dual_add_f32 v22, v17, v22
	s_delay_alu instid0(VALU_DEP_1) | instskip(NEXT) | instid1(VALU_DEP_1)
	v_pk_mul_f32 v[16:17], v[12:13], v[16:17] op_sel:[1,0] op_sel_hi:[0,0]
	v_pk_fma_f32 v[24:25], v[12:13], v[22:23], v[16:17] op_sel_hi:[1,0,1]
	v_pk_fma_f32 v[12:13], v[12:13], v[22:23], v[16:17] neg_lo:[0,0,1] neg_hi:[0,0,1]
	s_delay_alu instid0(VALU_DEP_2)
	v_mov_b32_e32 v13, v25
	flat_store_b64 v[14:15], v[12:13]
	s_branch .LBB176_2
.LBB176_19:
	s_sendmsg sendmsg(MSG_DEALLOC_VGPRS)
	s_endpgm
	.section	.rodata,"a",@progbits
	.p2align	6, 0x0
	.amdhsa_kernel _ZL23rocblas_trmm_rTx_kernelILi16ELb0E19rocblas_complex_numIfEPKS1_KS3_KPS1_Ev13rocblas_fill_17rocblas_diagonal_iiT2_lPT3_llSB_llPT4_lli
		.amdhsa_group_segment_fixed_size 4096
		.amdhsa_private_segment_fixed_size 0
		.amdhsa_kernarg_size 108
		.amdhsa_user_sgpr_count 2
		.amdhsa_user_sgpr_dispatch_ptr 0
		.amdhsa_user_sgpr_queue_ptr 0
		.amdhsa_user_sgpr_kernarg_segment_ptr 1
		.amdhsa_user_sgpr_dispatch_id 0
		.amdhsa_user_sgpr_kernarg_preload_length 0
		.amdhsa_user_sgpr_kernarg_preload_offset 0
		.amdhsa_user_sgpr_private_segment_size 0
		.amdhsa_wavefront_size32 1
		.amdhsa_uses_dynamic_stack 0
		.amdhsa_enable_private_segment 0
		.amdhsa_system_sgpr_workgroup_id_x 1
		.amdhsa_system_sgpr_workgroup_id_y 0
		.amdhsa_system_sgpr_workgroup_id_z 1
		.amdhsa_system_sgpr_workgroup_info 0
		.amdhsa_system_vgpr_workitem_id 1
		.amdhsa_next_free_vgpr 73
		.amdhsa_next_free_sgpr 36
		.amdhsa_named_barrier_count 0
		.amdhsa_reserve_vcc 1
		.amdhsa_float_round_mode_32 0
		.amdhsa_float_round_mode_16_64 0
		.amdhsa_float_denorm_mode_32 3
		.amdhsa_float_denorm_mode_16_64 3
		.amdhsa_fp16_overflow 0
		.amdhsa_memory_ordered 1
		.amdhsa_forward_progress 1
		.amdhsa_inst_pref_size 13
		.amdhsa_round_robin_scheduling 0
		.amdhsa_exception_fp_ieee_invalid_op 0
		.amdhsa_exception_fp_denorm_src 0
		.amdhsa_exception_fp_ieee_div_zero 0
		.amdhsa_exception_fp_ieee_overflow 0
		.amdhsa_exception_fp_ieee_underflow 0
		.amdhsa_exception_fp_ieee_inexact 0
		.amdhsa_exception_int_div_zero 0
	.end_amdhsa_kernel
	.section	.text._ZL23rocblas_trmm_rTx_kernelILi16ELb0E19rocblas_complex_numIfEPKS1_KS3_KPS1_Ev13rocblas_fill_17rocblas_diagonal_iiT2_lPT3_llSB_llPT4_lli,"axG",@progbits,_ZL23rocblas_trmm_rTx_kernelILi16ELb0E19rocblas_complex_numIfEPKS1_KS3_KPS1_Ev13rocblas_fill_17rocblas_diagonal_iiT2_lPT3_llSB_llPT4_lli,comdat
.Lfunc_end176:
	.size	_ZL23rocblas_trmm_rTx_kernelILi16ELb0E19rocblas_complex_numIfEPKS1_KS3_KPS1_Ev13rocblas_fill_17rocblas_diagonal_iiT2_lPT3_llSB_llPT4_lli, .Lfunc_end176-_ZL23rocblas_trmm_rTx_kernelILi16ELb0E19rocblas_complex_numIfEPKS1_KS3_KPS1_Ev13rocblas_fill_17rocblas_diagonal_iiT2_lPT3_llSB_llPT4_lli
                                        ; -- End function
	.set _ZL23rocblas_trmm_rTx_kernelILi16ELb0E19rocblas_complex_numIfEPKS1_KS3_KPS1_Ev13rocblas_fill_17rocblas_diagonal_iiT2_lPT3_llSB_llPT4_lli.num_vgpr, 73
	.set _ZL23rocblas_trmm_rTx_kernelILi16ELb0E19rocblas_complex_numIfEPKS1_KS3_KPS1_Ev13rocblas_fill_17rocblas_diagonal_iiT2_lPT3_llSB_llPT4_lli.num_agpr, 0
	.set _ZL23rocblas_trmm_rTx_kernelILi16ELb0E19rocblas_complex_numIfEPKS1_KS3_KPS1_Ev13rocblas_fill_17rocblas_diagonal_iiT2_lPT3_llSB_llPT4_lli.numbered_sgpr, 36
	.set _ZL23rocblas_trmm_rTx_kernelILi16ELb0E19rocblas_complex_numIfEPKS1_KS3_KPS1_Ev13rocblas_fill_17rocblas_diagonal_iiT2_lPT3_llSB_llPT4_lli.num_named_barrier, 0
	.set _ZL23rocblas_trmm_rTx_kernelILi16ELb0E19rocblas_complex_numIfEPKS1_KS3_KPS1_Ev13rocblas_fill_17rocblas_diagonal_iiT2_lPT3_llSB_llPT4_lli.private_seg_size, 0
	.set _ZL23rocblas_trmm_rTx_kernelILi16ELb0E19rocblas_complex_numIfEPKS1_KS3_KPS1_Ev13rocblas_fill_17rocblas_diagonal_iiT2_lPT3_llSB_llPT4_lli.uses_vcc, 1
	.set _ZL23rocblas_trmm_rTx_kernelILi16ELb0E19rocblas_complex_numIfEPKS1_KS3_KPS1_Ev13rocblas_fill_17rocblas_diagonal_iiT2_lPT3_llSB_llPT4_lli.uses_flat_scratch, 0
	.set _ZL23rocblas_trmm_rTx_kernelILi16ELb0E19rocblas_complex_numIfEPKS1_KS3_KPS1_Ev13rocblas_fill_17rocblas_diagonal_iiT2_lPT3_llSB_llPT4_lli.has_dyn_sized_stack, 0
	.set _ZL23rocblas_trmm_rTx_kernelILi16ELb0E19rocblas_complex_numIfEPKS1_KS3_KPS1_Ev13rocblas_fill_17rocblas_diagonal_iiT2_lPT3_llSB_llPT4_lli.has_recursion, 0
	.set _ZL23rocblas_trmm_rTx_kernelILi16ELb0E19rocblas_complex_numIfEPKS1_KS3_KPS1_Ev13rocblas_fill_17rocblas_diagonal_iiT2_lPT3_llSB_llPT4_lli.has_indirect_call, 0
	.section	.AMDGPU.csdata,"",@progbits
; Kernel info:
; codeLenInByte = 1632
; TotalNumSgprs: 38
; NumVgprs: 73
; ScratchSize: 0
; MemoryBound: 0
; FloatMode: 240
; IeeeMode: 1
; LDSByteSize: 4096 bytes/workgroup (compile time only)
; SGPRBlocks: 0
; VGPRBlocks: 4
; NumSGPRsForWavesPerEU: 38
; NumVGPRsForWavesPerEU: 73
; NamedBarCnt: 0
; Occupancy: 12
; WaveLimiterHint : 1
; COMPUTE_PGM_RSRC2:SCRATCH_EN: 0
; COMPUTE_PGM_RSRC2:USER_SGPR: 2
; COMPUTE_PGM_RSRC2:TRAP_HANDLER: 0
; COMPUTE_PGM_RSRC2:TGID_X_EN: 1
; COMPUTE_PGM_RSRC2:TGID_Y_EN: 0
; COMPUTE_PGM_RSRC2:TGID_Z_EN: 1
; COMPUTE_PGM_RSRC2:TIDIG_COMP_CNT: 1
	.section	.text._ZL23rocblas_trmm_rTx_kernelILi16ELb0E19rocblas_complex_numIfES1_KPKS1_KPS1_Ev13rocblas_fill_17rocblas_diagonal_iiT2_lPT3_llSB_llPT4_lli,"axG",@progbits,_ZL23rocblas_trmm_rTx_kernelILi16ELb0E19rocblas_complex_numIfES1_KPKS1_KPS1_Ev13rocblas_fill_17rocblas_diagonal_iiT2_lPT3_llSB_llPT4_lli,comdat
	.globl	_ZL23rocblas_trmm_rTx_kernelILi16ELb0E19rocblas_complex_numIfES1_KPKS1_KPS1_Ev13rocblas_fill_17rocblas_diagonal_iiT2_lPT3_llSB_llPT4_lli ; -- Begin function _ZL23rocblas_trmm_rTx_kernelILi16ELb0E19rocblas_complex_numIfES1_KPKS1_KPS1_Ev13rocblas_fill_17rocblas_diagonal_iiT2_lPT3_llSB_llPT4_lli
	.p2align	8
	.type	_ZL23rocblas_trmm_rTx_kernelILi16ELb0E19rocblas_complex_numIfES1_KPKS1_KPS1_Ev13rocblas_fill_17rocblas_diagonal_iiT2_lPT3_llSB_llPT4_lli,@function
_ZL23rocblas_trmm_rTx_kernelILi16ELb0E19rocblas_complex_numIfES1_KPKS1_KPS1_Ev13rocblas_fill_17rocblas_diagonal_iiT2_lPT3_llSB_llPT4_lli: ; @_ZL23rocblas_trmm_rTx_kernelILi16ELb0E19rocblas_complex_numIfES1_KPKS1_KPS1_Ev13rocblas_fill_17rocblas_diagonal_iiT2_lPT3_llSB_llPT4_lli
; %bb.0:
	s_load_b32 s33, s[0:1], 0x68
	s_bfe_u32 s2, ttmp6, 0x40014
	s_lshr_b32 s3, ttmp7, 16
	s_add_co_i32 s2, s2, 1
	s_bfe_u32 s5, ttmp6, 0x40008
	s_mul_i32 s4, s3, s2
	s_getreg_b32 s2, hwreg(HW_REG_IB_STS2, 6, 4)
	s_add_co_i32 s5, s5, s4
	s_cmp_eq_u32 s2, 0
	s_mov_b32 s7, 0
	s_cselect_b32 s6, s3, s5
	s_wait_kmcnt 0x0
	s_cmp_ge_u32 s6, s33
	s_cbranch_scc1 .LBB177_19
; %bb.1:
	s_clause 0x3
	s_load_b64 s[28:29], s[0:1], 0x10
	s_load_b512 s[8:23], s[0:1], 0x20
	s_load_b128 s[24:27], s[0:1], 0x0
	s_load_b64 s[30:31], s[0:1], 0x60
	v_bfe_u32 v2, v0, 10, 10
	v_mov_b32_e32 v3, 0
	v_and_b32_e32 v12, 0x3ff, v0
	v_mov_b64_e32 v[0:1], 0
	v_mov_b64_e32 v[4:5], 0x3f800000
	v_dual_lshlrev_b32 v13, 4, v2 :: v_dual_lshlrev_b32 v17, 3, v2
	s_delay_alu instid0(VALU_DEP_4)
	v_cmp_eq_u32_e32 vcc_lo, v2, v12
	s_wait_xcnt 0x0
	v_cmp_lt_u32_e64 s0, v12, v2
	v_cmp_gt_u32_e64 s1, v12, v2
	v_add_lshl_u32 v18, v13, v12, 3
	v_lshl_add_u32 v16, v12, 3, 0x800
	s_delay_alu instid0(VALU_DEP_2)
	v_add_nc_u32_e32 v19, 0x800, v18
	s_wait_kmcnt 0x0
	s_cmp_neq_f32 s28, 0
	v_mul_u64_e32 v[6:7], s[10:11], v[2:3]
	v_mul_u64_e32 v[8:9], s[16:17], v[2:3]
	;; [unrolled: 1-line block ×3, first 2 shown]
	s_cselect_b32 s3, -1, 0
	s_cmp_neq_f32 s29, 0
	s_cselect_b32 s4, -1, 0
	s_add_co_i32 s5, s26, -1
	s_or_b32 s22, s3, s4
	s_ashr_i32 s3, s5, 31
	s_bfe_u32 s11, ttmp6, 0x4000c
	s_lshr_b32 s3, s3, 28
	s_add_co_i32 s11, s11, 1
	s_add_co_i32 s5, s5, s3
	s_and_b32 s10, ttmp6, 15
	s_mul_i32 s4, ttmp9, s11
	s_and_b32 s3, s5, -16
	s_add_co_i32 s10, s10, s4
	s_ashr_i32 s4, s5, 4
	s_sub_co_i32 s5, s26, s3
	s_cmp_eq_u32 s2, 0
	v_cmp_gt_i32_e64 s2, s27, v2
	s_cselect_b32 s11, ttmp9, s10
	v_cmp_gt_i32_e64 s3, s27, v12
	s_cmp_ge_i32 s11, s4
	v_lshlrev_b32_e32 v2, 3, v12
	s_cselect_b32 s4, s5, 16
	s_lshl_b32 s16, s11, 4
	v_cmp_gt_i32_e64 s4, s4, v12
	s_and_b32 s23, s2, s3
	s_ashr_i32 s17, s16, 31
	s_mov_b32 s10, s29
	s_mov_b32 s11, s28
	s_and_b32 s26, s2, s4
	s_cmp_eq_u32 s25, 0x84
	s_cselect_b32 s2, -1, 0
	s_delay_alu instid0(SALU_CYCLE_1)
	s_and_b32 s25, vcc_lo, s2
	s_cmp_lg_u32 s24, 0x79
	s_cselect_b32 s24, -1, 0
	s_lshl_b64 s[2:3], s[12:13], 3
	s_lshl_b64 s[4:5], s[18:19], 3
	s_lshl_b64 s[12:13], s[16:17], 3
	s_lshl_b64 s[16:17], s[30:31], 3
	s_branch .LBB177_4
.LBB177_2:                              ;   in Loop: Header=BB177_4 Depth=1
	s_wait_xcnt 0x0
	s_or_b32 exec_lo, exec_lo, s18
.LBB177_3:                              ;   in Loop: Header=BB177_4 Depth=1
	s_add_co_i32 s6, s6, 0x10000
	s_delay_alu instid0(SALU_CYCLE_1)
	s_cmp_lt_u32 s6, s33
	s_cbranch_scc0 .LBB177_19
.LBB177_4:                              ; =>This Inner Loop Header: Depth=1
	s_and_not1_b32 vcc_lo, exec_lo, s22
	s_cbranch_vccnz .LBB177_3
; %bb.5:                                ;   in Loop: Header=BB177_4 Depth=1
	v_mov_b32_e32 v20, s6
	s_clause 0x1
	global_load_b64 v[14:15], v20, s[14:15] scale_offset
	global_load_b64 v[12:13], v20, s[20:21] scale_offset
	ds_store_b64 v18, v[0:1]
	ds_store_b64 v19, v[0:1]
	s_wait_xcnt 0x0
	s_and_saveexec_b32 s18, s23
	s_cbranch_execnz .LBB177_10
; %bb.6:                                ;   in Loop: Header=BB177_4 Depth=1
	s_or_b32 exec_lo, exec_lo, s18
	s_and_saveexec_b32 s18, s26
	s_cbranch_execnz .LBB177_11
.LBB177_7:                              ;   in Loop: Header=BB177_4 Depth=1
	s_or_b32 exec_lo, exec_lo, s18
	s_and_saveexec_b32 s18, s25
	s_cbranch_execnz .LBB177_12
.LBB177_8:                              ;   in Loop: Header=BB177_4 Depth=1
	s_or_b32 exec_lo, exec_lo, s18
	s_delay_alu instid0(SALU_CYCLE_1)
	s_and_b32 vcc_lo, exec_lo, s24
	s_cbranch_vccz .LBB177_13
.LBB177_9:                              ;   in Loop: Header=BB177_4 Depth=1
	s_and_b32 s18, s0, exec_lo
	s_cbranch_execz .LBB177_14
	s_branch .LBB177_15
.LBB177_10:                             ;   in Loop: Header=BB177_4 Depth=1
	s_lshl_b64 s[30:31], s[6:7], 3
	s_delay_alu instid0(SALU_CYCLE_1) | instskip(SKIP_3) | instid1(VALU_DEP_1)
	s_add_nc_u64 s[30:31], s[8:9], s[30:31]
	global_load_b64 v[20:21], v3, s[30:31]
	s_wait_loadcnt 0x0
	v_add_nc_u64_e32 v[20:21], s[2:3], v[20:21]
	v_lshl_add_u64 v[20:21], v[6:7], 3, v[20:21]
	s_delay_alu instid0(VALU_DEP_1)
	v_add_nc_u64_e32 v[20:21], v[20:21], v[2:3]
	flat_load_b64 v[20:21], v[20:21]
	s_wait_loadcnt_dscnt 0x0
	ds_store_b64 v18, v[20:21]
	s_wait_xcnt 0x0
	s_or_b32 exec_lo, exec_lo, s18
	s_and_saveexec_b32 s18, s26
	s_cbranch_execz .LBB177_7
.LBB177_11:                             ;   in Loop: Header=BB177_4 Depth=1
	s_wait_loadcnt 0x1
	v_add_nc_u64_e32 v[14:15], s[4:5], v[14:15]
	s_delay_alu instid0(VALU_DEP_1) | instskip(NEXT) | instid1(VALU_DEP_1)
	v_add_nc_u64_e32 v[14:15], s[12:13], v[14:15]
	v_lshl_add_u64 v[14:15], v[8:9], 3, v[14:15]
	s_delay_alu instid0(VALU_DEP_1)
	v_add_nc_u64_e32 v[14:15], v[14:15], v[2:3]
	flat_load_b64 v[14:15], v[14:15]
	s_wait_loadcnt_dscnt 0x0
	ds_store_b64 v19, v[14:15]
	s_wait_xcnt 0x0
	s_or_b32 exec_lo, exec_lo, s18
	s_and_saveexec_b32 s18, s25
	s_cbranch_execz .LBB177_8
.LBB177_12:                             ;   in Loop: Header=BB177_4 Depth=1
	ds_store_b64 v18, v[4:5]
	s_or_b32 exec_lo, exec_lo, s18
	s_delay_alu instid0(SALU_CYCLE_1)
	s_and_b32 vcc_lo, exec_lo, s24
	s_cbranch_vccnz .LBB177_9
.LBB177_13:                             ;   in Loop: Header=BB177_4 Depth=1
	s_mov_b32 s18, 0
.LBB177_14:                             ;   in Loop: Header=BB177_4 Depth=1
	s_delay_alu instid0(SALU_CYCLE_1) | instskip(SKIP_1) | instid1(SALU_CYCLE_1)
	s_and_not1_b32 s18, s18, exec_lo
	s_and_b32 s19, s1, exec_lo
	s_or_b32 s18, s18, s19
.LBB177_15:                             ;   in Loop: Header=BB177_4 Depth=1
	s_delay_alu instid0(SALU_CYCLE_1)
	s_and_saveexec_b32 s19, s18
; %bb.16:                               ;   in Loop: Header=BB177_4 Depth=1
	ds_store_b64 v18, v[0:1]
; %bb.17:                               ;   in Loop: Header=BB177_4 Depth=1
	s_or_b32 exec_lo, exec_lo, s19
	s_wait_loadcnt_dscnt 0x0
	s_barrier_signal -1
	s_barrier_wait -1
	s_and_saveexec_b32 s18, s26
	s_cbranch_execz .LBB177_2
; %bb.18:                               ;   in Loop: Header=BB177_4 Depth=1
	ds_load_2addr_b64 v[20:23], v17 offset1:16
	ds_load_2addr_b64 v[24:27], v16 offset1:16
	ds_load_2addr_b64 v[28:31], v17 offset0:32 offset1:48
	ds_load_2addr_b64 v[32:35], v16 offset0:32 offset1:48
	;; [unrolled: 1-line block ×14, first 2 shown]
	v_add_nc_u64_e32 v[12:13], s[16:17], v[12:13]
	s_wait_dscnt 0xe
	v_dual_mul_f32 v14, v20, v25 :: v_dual_mul_f32 v15, v22, v27
	v_dual_mul_f32 v25, v21, v25 :: v_dual_mul_f32 v27, v23, v27
	s_delay_alu instid0(VALU_DEP_3) | instskip(NEXT) | instid1(VALU_DEP_3)
	v_add_nc_u64_e32 v[12:13], s[12:13], v[12:13]
	v_dual_fmac_f32 v14, v21, v24 :: v_dual_fmac_f32 v15, v23, v26
	s_delay_alu instid0(VALU_DEP_3)
	v_dual_fma_f32 v20, v20, v24, -v25 :: v_dual_fma_f32 v21, v22, v26, -v27
	s_wait_dscnt 0xc
	v_dual_mul_f32 v22, v28, v33 :: v_dual_mul_f32 v23, v30, v35
	s_wait_dscnt 0xa
	v_dual_add_f32 v14, 0, v14 :: v_dual_mul_f32 v26, v36, v41
	v_dual_mul_f32 v24, v29, v33 :: v_dual_mul_f32 v25, v31, v35
	s_delay_alu instid0(VALU_DEP_2) | instskip(SKIP_3) | instid1(VALU_DEP_3)
	v_dual_fmac_f32 v22, v29, v32 :: v_dual_add_f32 v14, v14, v15
	v_dual_mul_f32 v15, v39, v43 :: v_dual_add_f32 v20, 0, v20
	s_wait_dscnt 0x8
	v_dual_mul_f32 v29, v44, v49 :: v_dual_fmac_f32 v23, v31, v34
	v_add_f32_e32 v14, v14, v22
	v_dual_mul_f32 v27, v38, v43 :: v_dual_mul_f32 v33, v37, v41
	v_add_f32_e32 v20, v20, v21
	s_delay_alu instid0(VALU_DEP_3) | instskip(SKIP_3) | instid1(VALU_DEP_3)
	v_dual_fma_f32 v24, v28, v32, -v24 :: v_dual_add_f32 v14, v14, v23
	v_dual_mul_f32 v23, v47, v51 :: v_dual_fmac_f32 v26, v37, v40
	s_wait_dscnt 0x6
	v_dual_fma_f32 v25, v30, v34, -v25 :: v_dual_mul_f32 v28, v52, v57
	v_dual_add_f32 v20, v20, v24 :: v_dual_fmac_f32 v27, v39, v42
	s_delay_alu instid0(VALU_DEP_3) | instskip(NEXT) | instid1(VALU_DEP_2)
	v_dual_add_f32 v14, v14, v26 :: v_dual_fma_f32 v26, v36, v40, -v33
	v_dual_mul_f32 v24, v54, v59 :: v_dual_add_f32 v20, v20, v25
	v_dual_mul_f32 v22, v46, v51 :: v_dual_mul_f32 v21, v45, v49
	s_delay_alu instid0(VALU_DEP_3)
	v_dual_fmac_f32 v29, v45, v48 :: v_dual_add_f32 v14, v14, v27
	s_wait_dscnt 0x4
	v_dual_mul_f32 v25, v60, v65 :: v_dual_fma_f32 v15, v38, v42, -v15
	v_add_f32_e32 v20, v20, v26
	v_dual_fmac_f32 v22, v47, v50 :: v_dual_mul_f32 v26, v62, v67
	v_dual_add_f32 v14, v14, v29 :: v_dual_fma_f32 v21, v44, v48, -v21
	s_delay_alu instid0(VALU_DEP_3) | instskip(NEXT) | instid1(VALU_DEP_2)
	v_dual_add_f32 v15, v20, v15 :: v_dual_fmac_f32 v28, v53, v56
	v_dual_mul_f32 v20, v53, v57 :: v_dual_add_f32 v14, v14, v22
	s_delay_alu instid0(VALU_DEP_2) | instskip(SKIP_1) | instid1(VALU_DEP_3)
	v_dual_fma_f32 v22, v46, v50, -v23 :: v_dual_add_f32 v15, v15, v21
	v_dual_fmac_f32 v24, v55, v58 :: v_dual_mul_f32 v21, v55, v59
	v_add_f32_e32 v14, v14, v28
	s_delay_alu instid0(VALU_DEP_3) | instskip(SKIP_1) | instid1(VALU_DEP_3)
	v_dual_fma_f32 v20, v52, v56, -v20 :: v_dual_add_f32 v15, v15, v22
	v_dual_fmac_f32 v25, v61, v64 :: v_dual_mul_f32 v22, v61, v65
	v_dual_add_f32 v14, v14, v24 :: v_dual_fmac_f32 v26, v63, v66
	s_delay_alu instid0(VALU_DEP_3) | instskip(SKIP_2) | instid1(VALU_DEP_3)
	v_dual_fma_f32 v21, v54, v58, -v21 :: v_dual_add_f32 v15, v15, v20
	s_wait_dscnt 0x2
	v_mul_f32_e32 v20, v68, v73
	v_dual_add_f32 v14, v14, v25 :: v_dual_fma_f32 v22, v60, v64, -v22
	s_delay_alu instid0(VALU_DEP_3) | instskip(NEXT) | instid1(VALU_DEP_2)
	v_dual_mul_f32 v23, v70, v75 :: v_dual_add_f32 v15, v15, v21
	v_dual_mul_f32 v21, v63, v67 :: v_dual_add_f32 v14, v14, v26
	s_delay_alu instid0(VALU_DEP_2) | instskip(NEXT) | instid1(VALU_DEP_3)
	v_dual_fmac_f32 v20, v69, v72 :: v_dual_fmac_f32 v23, v71, v74
	v_dual_add_f32 v15, v15, v22 :: v_dual_mul_f32 v22, v69, v73
	s_delay_alu instid0(VALU_DEP_3) | instskip(SKIP_1) | instid1(VALU_DEP_3)
	v_fma_f32 v21, v62, v66, -v21
	s_wait_dscnt 0x0
	v_dual_add_f32 v14, v14, v20 :: v_dual_mul_f32 v20, v76, v81
	v_lshl_add_u64 v[12:13], v[10:11], 3, v[12:13]
	s_delay_alu instid0(VALU_DEP_3) | instskip(NEXT) | instid1(VALU_DEP_3)
	v_dual_add_f32 v15, v15, v21 :: v_dual_fma_f32 v21, v68, v72, -v22
	v_dual_mul_f32 v22, v71, v75 :: v_dual_fmac_f32 v20, v77, v80
	s_delay_alu instid0(VALU_DEP_4) | instskip(NEXT) | instid1(VALU_DEP_3)
	v_add_f32_e32 v14, v14, v23
	v_dual_mul_f32 v23, v78, v83 :: v_dual_add_f32 v15, v15, v21
	s_delay_alu instid0(VALU_DEP_3) | instskip(NEXT) | instid1(VALU_DEP_2)
	v_dual_fma_f32 v21, v70, v74, -v22 :: v_dual_mul_f32 v22, v77, v81
	v_dual_add_f32 v14, v14, v20 :: v_dual_fmac_f32 v23, v79, v82
	v_add_nc_u64_e32 v[12:13], v[12:13], v[2:3]
	s_delay_alu instid0(VALU_DEP_3) | instskip(NEXT) | instid1(VALU_DEP_3)
	v_dual_fma_f32 v20, v76, v80, -v22 :: v_dual_add_f32 v15, v15, v21
	v_add_f32_e32 v14, v14, v23
	v_mul_f32_e32 v21, v79, v83
	s_delay_alu instid0(VALU_DEP_1) | instskip(SKIP_1) | instid1(VALU_DEP_2)
	v_dual_add_f32 v15, v15, v20 :: v_dual_fma_f32 v22, v78, v82, -v21
	v_mov_b64_e32 v[20:21], s[10:11]
	v_add_f32_e32 v22, v15, v22
	s_delay_alu instid0(VALU_DEP_2) | instskip(SKIP_1) | instid1(VALU_DEP_1)
	v_pk_mul_f32 v[14:15], v[20:21], v[14:15] op_sel_hi:[1,0]
	v_mov_b64_e32 v[20:21], s[28:29]
	v_pk_fma_f32 v[24:25], v[20:21], v[22:23], v[14:15] op_sel_hi:[1,0,1]
	v_pk_fma_f32 v[14:15], v[20:21], v[22:23], v[14:15] neg_lo:[0,0,1] neg_hi:[0,0,1]
	s_delay_alu instid0(VALU_DEP_2)
	v_mov_b32_e32 v15, v25
	flat_store_b64 v[12:13], v[14:15]
	s_branch .LBB177_2
.LBB177_19:
	s_sendmsg sendmsg(MSG_DEALLOC_VGPRS)
	s_endpgm
	.section	.rodata,"a",@progbits
	.p2align	6, 0x0
	.amdhsa_kernel _ZL23rocblas_trmm_rTx_kernelILi16ELb0E19rocblas_complex_numIfES1_KPKS1_KPS1_Ev13rocblas_fill_17rocblas_diagonal_iiT2_lPT3_llSB_llPT4_lli
		.amdhsa_group_segment_fixed_size 4096
		.amdhsa_private_segment_fixed_size 0
		.amdhsa_kernarg_size 108
		.amdhsa_user_sgpr_count 2
		.amdhsa_user_sgpr_dispatch_ptr 0
		.amdhsa_user_sgpr_queue_ptr 0
		.amdhsa_user_sgpr_kernarg_segment_ptr 1
		.amdhsa_user_sgpr_dispatch_id 0
		.amdhsa_user_sgpr_kernarg_preload_length 0
		.amdhsa_user_sgpr_kernarg_preload_offset 0
		.amdhsa_user_sgpr_private_segment_size 0
		.amdhsa_wavefront_size32 1
		.amdhsa_uses_dynamic_stack 0
		.amdhsa_enable_private_segment 0
		.amdhsa_system_sgpr_workgroup_id_x 1
		.amdhsa_system_sgpr_workgroup_id_y 0
		.amdhsa_system_sgpr_workgroup_id_z 1
		.amdhsa_system_sgpr_workgroup_info 0
		.amdhsa_system_vgpr_workitem_id 1
		.amdhsa_next_free_vgpr 84
		.amdhsa_next_free_sgpr 34
		.amdhsa_named_barrier_count 0
		.amdhsa_reserve_vcc 1
		.amdhsa_float_round_mode_32 0
		.amdhsa_float_round_mode_16_64 0
		.amdhsa_float_denorm_mode_32 3
		.amdhsa_float_denorm_mode_16_64 3
		.amdhsa_fp16_overflow 0
		.amdhsa_memory_ordered 1
		.amdhsa_forward_progress 1
		.amdhsa_inst_pref_size 13
		.amdhsa_round_robin_scheduling 0
		.amdhsa_exception_fp_ieee_invalid_op 0
		.amdhsa_exception_fp_denorm_src 0
		.amdhsa_exception_fp_ieee_div_zero 0
		.amdhsa_exception_fp_ieee_overflow 0
		.amdhsa_exception_fp_ieee_underflow 0
		.amdhsa_exception_fp_ieee_inexact 0
		.amdhsa_exception_int_div_zero 0
	.end_amdhsa_kernel
	.section	.text._ZL23rocblas_trmm_rTx_kernelILi16ELb0E19rocblas_complex_numIfES1_KPKS1_KPS1_Ev13rocblas_fill_17rocblas_diagonal_iiT2_lPT3_llSB_llPT4_lli,"axG",@progbits,_ZL23rocblas_trmm_rTx_kernelILi16ELb0E19rocblas_complex_numIfES1_KPKS1_KPS1_Ev13rocblas_fill_17rocblas_diagonal_iiT2_lPT3_llSB_llPT4_lli,comdat
.Lfunc_end177:
	.size	_ZL23rocblas_trmm_rTx_kernelILi16ELb0E19rocblas_complex_numIfES1_KPKS1_KPS1_Ev13rocblas_fill_17rocblas_diagonal_iiT2_lPT3_llSB_llPT4_lli, .Lfunc_end177-_ZL23rocblas_trmm_rTx_kernelILi16ELb0E19rocblas_complex_numIfES1_KPKS1_KPS1_Ev13rocblas_fill_17rocblas_diagonal_iiT2_lPT3_llSB_llPT4_lli
                                        ; -- End function
	.set _ZL23rocblas_trmm_rTx_kernelILi16ELb0E19rocblas_complex_numIfES1_KPKS1_KPS1_Ev13rocblas_fill_17rocblas_diagonal_iiT2_lPT3_llSB_llPT4_lli.num_vgpr, 84
	.set _ZL23rocblas_trmm_rTx_kernelILi16ELb0E19rocblas_complex_numIfES1_KPKS1_KPS1_Ev13rocblas_fill_17rocblas_diagonal_iiT2_lPT3_llSB_llPT4_lli.num_agpr, 0
	.set _ZL23rocblas_trmm_rTx_kernelILi16ELb0E19rocblas_complex_numIfES1_KPKS1_KPS1_Ev13rocblas_fill_17rocblas_diagonal_iiT2_lPT3_llSB_llPT4_lli.numbered_sgpr, 34
	.set _ZL23rocblas_trmm_rTx_kernelILi16ELb0E19rocblas_complex_numIfES1_KPKS1_KPS1_Ev13rocblas_fill_17rocblas_diagonal_iiT2_lPT3_llSB_llPT4_lli.num_named_barrier, 0
	.set _ZL23rocblas_trmm_rTx_kernelILi16ELb0E19rocblas_complex_numIfES1_KPKS1_KPS1_Ev13rocblas_fill_17rocblas_diagonal_iiT2_lPT3_llSB_llPT4_lli.private_seg_size, 0
	.set _ZL23rocblas_trmm_rTx_kernelILi16ELb0E19rocblas_complex_numIfES1_KPKS1_KPS1_Ev13rocblas_fill_17rocblas_diagonal_iiT2_lPT3_llSB_llPT4_lli.uses_vcc, 1
	.set _ZL23rocblas_trmm_rTx_kernelILi16ELb0E19rocblas_complex_numIfES1_KPKS1_KPS1_Ev13rocblas_fill_17rocblas_diagonal_iiT2_lPT3_llSB_llPT4_lli.uses_flat_scratch, 0
	.set _ZL23rocblas_trmm_rTx_kernelILi16ELb0E19rocblas_complex_numIfES1_KPKS1_KPS1_Ev13rocblas_fill_17rocblas_diagonal_iiT2_lPT3_llSB_llPT4_lli.has_dyn_sized_stack, 0
	.set _ZL23rocblas_trmm_rTx_kernelILi16ELb0E19rocblas_complex_numIfES1_KPKS1_KPS1_Ev13rocblas_fill_17rocblas_diagonal_iiT2_lPT3_llSB_llPT4_lli.has_recursion, 0
	.set _ZL23rocblas_trmm_rTx_kernelILi16ELb0E19rocblas_complex_numIfES1_KPKS1_KPS1_Ev13rocblas_fill_17rocblas_diagonal_iiT2_lPT3_llSB_llPT4_lli.has_indirect_call, 0
	.section	.AMDGPU.csdata,"",@progbits
; Kernel info:
; codeLenInByte = 1624
; TotalNumSgprs: 36
; NumVgprs: 84
; ScratchSize: 0
; MemoryBound: 0
; FloatMode: 240
; IeeeMode: 1
; LDSByteSize: 4096 bytes/workgroup (compile time only)
; SGPRBlocks: 0
; VGPRBlocks: 5
; NumSGPRsForWavesPerEU: 36
; NumVGPRsForWavesPerEU: 84
; NamedBarCnt: 0
; Occupancy: 10
; WaveLimiterHint : 1
; COMPUTE_PGM_RSRC2:SCRATCH_EN: 0
; COMPUTE_PGM_RSRC2:USER_SGPR: 2
; COMPUTE_PGM_RSRC2:TRAP_HANDLER: 0
; COMPUTE_PGM_RSRC2:TGID_X_EN: 1
; COMPUTE_PGM_RSRC2:TGID_Y_EN: 0
; COMPUTE_PGM_RSRC2:TGID_Z_EN: 1
; COMPUTE_PGM_RSRC2:TIDIG_COMP_CNT: 1
	.section	.text._ZL23rocblas_trmm_rTx_kernelILi16ELb1E19rocblas_complex_numIfEPKS1_KS3_KPS1_Ev13rocblas_fill_17rocblas_diagonal_iiT2_lPT3_llSB_llPT4_lli,"axG",@progbits,_ZL23rocblas_trmm_rTx_kernelILi16ELb1E19rocblas_complex_numIfEPKS1_KS3_KPS1_Ev13rocblas_fill_17rocblas_diagonal_iiT2_lPT3_llSB_llPT4_lli,comdat
	.globl	_ZL23rocblas_trmm_rTx_kernelILi16ELb1E19rocblas_complex_numIfEPKS1_KS3_KPS1_Ev13rocblas_fill_17rocblas_diagonal_iiT2_lPT3_llSB_llPT4_lli ; -- Begin function _ZL23rocblas_trmm_rTx_kernelILi16ELb1E19rocblas_complex_numIfEPKS1_KS3_KPS1_Ev13rocblas_fill_17rocblas_diagonal_iiT2_lPT3_llSB_llPT4_lli
	.p2align	8
	.type	_ZL23rocblas_trmm_rTx_kernelILi16ELb1E19rocblas_complex_numIfEPKS1_KS3_KPS1_Ev13rocblas_fill_17rocblas_diagonal_iiT2_lPT3_llSB_llPT4_lli,@function
_ZL23rocblas_trmm_rTx_kernelILi16ELb1E19rocblas_complex_numIfEPKS1_KS3_KPS1_Ev13rocblas_fill_17rocblas_diagonal_iiT2_lPT3_llSB_llPT4_lli: ; @_ZL23rocblas_trmm_rTx_kernelILi16ELb1E19rocblas_complex_numIfEPKS1_KS3_KPS1_Ev13rocblas_fill_17rocblas_diagonal_iiT2_lPT3_llSB_llPT4_lli
; %bb.0:
	s_load_b32 s33, s[0:1], 0x68
	s_bfe_u32 s2, ttmp6, 0x40014
	s_lshr_b32 s3, ttmp7, 16
	s_add_co_i32 s2, s2, 1
	s_bfe_u32 s5, ttmp6, 0x40008
	s_mul_i32 s4, s3, s2
	s_getreg_b32 s2, hwreg(HW_REG_IB_STS2, 6, 4)
	s_add_co_i32 s5, s5, s4
	s_cmp_eq_u32 s2, 0
	s_mov_b32 s7, 0
	s_cselect_b32 s6, s3, s5
	s_wait_kmcnt 0x0
	s_cmp_ge_u32 s6, s33
	s_cbranch_scc1 .LBB178_19
; %bb.1:
	s_clause 0x3
	s_load_b128 s[28:31], s[0:1], 0x0
	s_load_b512 s[8:23], s[0:1], 0x10
	s_load_b128 s[24:27], s[0:1], 0x50
	s_load_b64 s[34:35], s[0:1], 0x60
	v_bfe_u32 v2, v0, 10, 10
	v_mov_b32_e32 v3, 0
	s_wait_xcnt 0x0
	s_bfe_u32 s0, ttmp6, 0x4000c
	s_and_b32 s1, ttmp6, 15
	s_add_co_i32 s0, s0, 1
	v_lshlrev_b32_e32 v13, 4, v2
	s_mul_i32 s3, ttmp9, s0
	v_and_b32_e32 v12, 0x3ff, v0
	s_add_co_i32 s3, s1, s3
	v_mov_b64_e32 v[0:1], 0
	v_mov_b64_e32 v[4:5], 0x3f800000
	v_lshlrev_b32_e32 v20, 3, v2
	v_cmp_eq_u32_e32 vcc_lo, v2, v12
	v_add_lshl_u32 v19, v13, v12, 3
	v_cmp_lt_u32_e64 s0, v12, v2
	v_lshl_add_u32 v18, v12, 3, 0x800
	s_wait_kmcnt 0x0
	s_add_co_i32 s4, s30, -1
	v_mul_u64_e32 v[6:7], s[14:15], v[2:3]
	s_ashr_i32 s5, s4, 31
	v_mul_u64_e32 v[8:9], s[20:21], v[2:3]
	v_mul_u64_e32 v[10:11], s[26:27], v[2:3]
	s_lshr_b32 s5, s5, 28
	v_add_nc_u32_e32 v21, 0x800, v19
	s_add_co_i32 s4, s4, s5
	s_delay_alu instid0(SALU_CYCLE_1)
	s_and_b32 s1, s4, -16
	s_ashr_i32 s4, s4, 4
	s_sub_co_i32 s5, s30, s1
	s_cmp_eq_u32 s2, 0
	v_cmp_gt_i32_e64 s2, s31, v2
	s_cselect_b32 s14, ttmp9, s3
	v_cmp_gt_i32_e64 s3, s31, v12
	s_cmp_ge_i32 s14, s4
	v_cmp_gt_u32_e64 s1, v12, v2
	s_cselect_b32 s4, s5, 16
	s_lshl_b32 s20, s14, 4
	v_cmp_gt_i32_e64 s4, s4, v12
	s_and_b32 s26, s2, s3
	s_ashr_i32 s21, s20, 31
	v_lshlrev_b32_e32 v2, 3, v12
	s_and_b32 s27, s2, s4
	s_cmp_eq_u32 s29, 0x84
	s_cselect_b32 s2, -1, 0
	s_delay_alu instid0(SALU_CYCLE_1)
	s_and_b32 s29, vcc_lo, s2
	s_cmp_lg_u32 s28, 0x79
	s_cselect_b32 s28, -1, 0
	s_lshl_b64 s[4:5], s[16:17], 3
	s_lshl_b64 s[14:15], s[22:23], 3
	s_lshl_b64 s[16:17], s[20:21], 3
	s_lshl_b64 s[20:21], s[34:35], 3
	s_branch .LBB178_4
.LBB178_2:                              ;   in Loop: Header=BB178_4 Depth=1
	s_wait_xcnt 0x0
	s_or_b32 exec_lo, exec_lo, s2
.LBB178_3:                              ;   in Loop: Header=BB178_4 Depth=1
	s_add_co_i32 s6, s6, 0x10000
	s_delay_alu instid0(SALU_CYCLE_1)
	s_cmp_lt_u32 s6, s33
	s_cbranch_scc0 .LBB178_19
.LBB178_4:                              ; =>This Inner Loop Header: Depth=1
	s_mul_u64 s[2:3], s[10:11], s[6:7]
	s_delay_alu instid0(SALU_CYCLE_1) | instskip(NEXT) | instid1(SALU_CYCLE_1)
	s_lshl_b64 s[2:3], s[2:3], 3
	s_add_nc_u64 s[2:3], s[8:9], s[2:3]
	global_load_b64 v[12:13], v3, s[2:3]
	s_wait_loadcnt 0x0
	v_cmp_neq_f32_e32 vcc_lo, 0, v12
	s_wait_xcnt 0x0
	v_cmp_neq_f32_e64 s2, 0, v13
	s_or_b32 s2, vcc_lo, s2
	s_delay_alu instid0(SALU_CYCLE_1)
	s_and_not1_b32 vcc_lo, exec_lo, s2
	s_cbranch_vccnz .LBB178_3
; %bb.5:                                ;   in Loop: Header=BB178_4 Depth=1
	s_lshl_b64 s[2:3], s[6:7], 3
	s_delay_alu instid0(SALU_CYCLE_1)
	s_add_nc_u64 s[22:23], s[18:19], s[2:3]
	s_add_nc_u64 s[30:31], s[24:25], s[2:3]
	s_clause 0x1
	global_load_b64 v[16:17], v3, s[22:23]
	global_load_b64 v[14:15], v3, s[30:31]
	ds_store_b64 v19, v[0:1]
	ds_store_b64 v21, v[0:1]
	s_wait_xcnt 0x0
	s_and_saveexec_b32 s22, s26
	s_cbranch_execnz .LBB178_10
; %bb.6:                                ;   in Loop: Header=BB178_4 Depth=1
	s_or_b32 exec_lo, exec_lo, s22
	s_and_saveexec_b32 s2, s27
	s_cbranch_execnz .LBB178_11
.LBB178_7:                              ;   in Loop: Header=BB178_4 Depth=1
	s_or_b32 exec_lo, exec_lo, s2
	s_and_saveexec_b32 s2, s29
	s_cbranch_execnz .LBB178_12
.LBB178_8:                              ;   in Loop: Header=BB178_4 Depth=1
	s_or_b32 exec_lo, exec_lo, s2
	s_delay_alu instid0(SALU_CYCLE_1)
	s_and_b32 vcc_lo, exec_lo, s28
	s_cbranch_vccz .LBB178_13
.LBB178_9:                              ;   in Loop: Header=BB178_4 Depth=1
	s_and_b32 s2, s0, exec_lo
	s_cbranch_execz .LBB178_14
	s_branch .LBB178_15
.LBB178_10:                             ;   in Loop: Header=BB178_4 Depth=1
	s_add_nc_u64 s[2:3], s[12:13], s[2:3]
	global_load_b64 v[22:23], v3, s[2:3]
	s_wait_loadcnt 0x0
	v_add_nc_u64_e32 v[22:23], s[4:5], v[22:23]
	s_delay_alu instid0(VALU_DEP_1) | instskip(NEXT) | instid1(VALU_DEP_1)
	v_lshl_add_u64 v[22:23], v[6:7], 3, v[22:23]
	v_add_nc_u64_e32 v[22:23], v[22:23], v[2:3]
	flat_load_b64 v[22:23], v[22:23]
	s_wait_loadcnt_dscnt 0x0
	s_wait_xcnt 0x0
	v_xor_b32_e32 v23, 0x80000000, v23
	ds_store_b64 v19, v[22:23]
	s_or_b32 exec_lo, exec_lo, s22
	s_and_saveexec_b32 s2, s27
	s_cbranch_execz .LBB178_7
.LBB178_11:                             ;   in Loop: Header=BB178_4 Depth=1
	s_wait_loadcnt 0x1
	v_add_nc_u64_e32 v[16:17], s[14:15], v[16:17]
	s_delay_alu instid0(VALU_DEP_1) | instskip(NEXT) | instid1(VALU_DEP_1)
	v_add_nc_u64_e32 v[16:17], s[16:17], v[16:17]
	v_lshl_add_u64 v[16:17], v[8:9], 3, v[16:17]
	s_delay_alu instid0(VALU_DEP_1)
	v_add_nc_u64_e32 v[16:17], v[16:17], v[2:3]
	flat_load_b64 v[16:17], v[16:17]
	s_wait_loadcnt_dscnt 0x0
	ds_store_b64 v21, v[16:17]
	s_wait_xcnt 0x0
	s_or_b32 exec_lo, exec_lo, s2
	s_and_saveexec_b32 s2, s29
	s_cbranch_execz .LBB178_8
.LBB178_12:                             ;   in Loop: Header=BB178_4 Depth=1
	ds_store_b64 v19, v[4:5]
	s_or_b32 exec_lo, exec_lo, s2
	s_delay_alu instid0(SALU_CYCLE_1)
	s_and_b32 vcc_lo, exec_lo, s28
	s_cbranch_vccnz .LBB178_9
.LBB178_13:                             ;   in Loop: Header=BB178_4 Depth=1
	s_mov_b32 s2, 0
.LBB178_14:                             ;   in Loop: Header=BB178_4 Depth=1
	s_delay_alu instid0(SALU_CYCLE_1) | instskip(SKIP_1) | instid1(SALU_CYCLE_1)
	s_and_not1_b32 s2, s2, exec_lo
	s_and_b32 s3, s1, exec_lo
	s_or_b32 s2, s2, s3
.LBB178_15:                             ;   in Loop: Header=BB178_4 Depth=1
	s_delay_alu instid0(SALU_CYCLE_1)
	s_and_saveexec_b32 s3, s2
; %bb.16:                               ;   in Loop: Header=BB178_4 Depth=1
	ds_store_b64 v19, v[0:1]
; %bb.17:                               ;   in Loop: Header=BB178_4 Depth=1
	s_or_b32 exec_lo, exec_lo, s3
	s_wait_loadcnt_dscnt 0x0
	s_barrier_signal -1
	s_barrier_wait -1
	s_and_saveexec_b32 s2, s27
	s_cbranch_execz .LBB178_2
; %bb.18:                               ;   in Loop: Header=BB178_4 Depth=1
	ds_load_2addr_b64 v[22:25], v20 offset1:16
	ds_load_2addr_b64 v[26:29], v18 offset1:16
	ds_load_2addr_b64 v[30:33], v20 offset0:32 offset1:48
	ds_load_2addr_b64 v[34:37], v18 offset0:32 offset1:48
	;; [unrolled: 1-line block ×9, first 2 shown]
	v_add_nc_u64_e32 v[14:15], s[20:21], v[14:15]
	s_delay_alu instid0(VALU_DEP_1)
	v_add_nc_u64_e32 v[14:15], s[16:17], v[14:15]
	s_wait_dscnt 0x9
	v_dual_mul_f32 v16, v22, v27 :: v_dual_mul_f32 v17, v24, v29
	s_wait_dscnt 0x7
	v_mul_f32_e32 v66, v30, v35
	v_dual_mul_f32 v27, v23, v27 :: v_dual_mul_f32 v29, v25, v29
	s_delay_alu instid0(VALU_DEP_3) | instskip(NEXT) | instid1(VALU_DEP_3)
	v_dual_fmac_f32 v16, v23, v26 :: v_dual_fmac_f32 v17, v25, v28
	v_fmac_f32_e32 v66, v31, v34
	s_delay_alu instid0(VALU_DEP_3) | instskip(NEXT) | instid1(VALU_DEP_3)
	v_dual_fma_f32 v67, v22, v26, -v27 :: v_dual_fma_f32 v68, v24, v28, -v29
	v_dual_mul_f32 v26, v31, v35 :: v_dual_add_f32 v16, 0, v16
	v_dual_mul_f32 v69, v32, v37 :: v_dual_mul_f32 v27, v33, v37
	s_wait_dscnt 0x5
	v_dual_mul_f32 v72, v40, v45 :: v_dual_mul_f32 v35, v41, v45
	s_delay_alu instid0(VALU_DEP_2) | instskip(NEXT) | instid1(VALU_DEP_3)
	v_dual_add_f32 v16, v16, v17 :: v_dual_fmac_f32 v69, v33, v36
	v_dual_fma_f32 v70, v30, v34, -v26 :: v_dual_fma_f32 v71, v32, v36, -v27
	v_dual_mul_f32 v17, v38, v43 :: v_dual_mul_f32 v34, v39, v43
	s_delay_alu instid0(VALU_DEP_3)
	v_dual_add_f32 v16, v16, v66 :: v_dual_add_f32 v36, 0, v67
	ds_load_2addr_b64 v[22:25], v18 offset0:160 offset1:176
	v_dual_fmac_f32 v17, v39, v42 :: v_dual_fmac_f32 v72, v41, v44
	v_dual_fma_f32 v42, v38, v42, -v34 :: v_dual_fma_f32 v43, v40, v44, -v35
	s_wait_dscnt 0x4
	v_dual_add_f32 v44, v36, v68 :: v_dual_mul_f32 v45, v46, v51
	v_dual_add_f32 v16, v16, v69 :: v_dual_mul_f32 v51, v47, v51
	v_mul_f32_e32 v66, v48, v53
	s_delay_alu instid0(VALU_DEP_3) | instskip(NEXT) | instid1(VALU_DEP_3)
	v_add_f32_e32 v44, v44, v70
	v_dual_fmac_f32 v45, v47, v50 :: v_dual_add_f32 v16, v16, v17
	s_wait_dscnt 0x2
	v_dual_mul_f32 v17, v49, v53 :: v_dual_mul_f32 v53, v54, v59
	s_delay_alu instid0(VALU_DEP_3) | instskip(NEXT) | instid1(VALU_DEP_3)
	v_dual_add_f32 v44, v44, v71 :: v_dual_fmac_f32 v66, v49, v52
	v_add_f32_e32 v16, v16, v72
	ds_load_2addr_b64 v[26:29], v20 offset0:192 offset1:208
	ds_load_2addr_b64 v[30:33], v18 offset0:192 offset1:208
	v_add_f32_e32 v42, v44, v42
	v_dual_mul_f32 v47, v56, v61 :: v_dual_fma_f32 v46, v46, v50, -v51
	s_wait_dscnt 0x2
	v_dual_mul_f32 v44, v62, v23 :: v_dual_add_f32 v16, v16, v45
	s_delay_alu instid0(VALU_DEP_3) | instskip(SKIP_1) | instid1(VALU_DEP_3)
	v_dual_add_f32 v42, v42, v43 :: v_dual_mul_f32 v45, v64, v25
	v_dual_fmac_f32 v53, v55, v58 :: v_dual_mul_f32 v43, v55, v59
	v_dual_add_f32 v16, v16, v66 :: v_dual_fmac_f32 v47, v57, v60
	s_delay_alu instid0(VALU_DEP_3) | instskip(SKIP_4) | instid1(VALU_DEP_2)
	v_dual_fma_f32 v17, v48, v52, -v17 :: v_dual_add_f32 v42, v42, v46
	ds_load_2addr_b64 v[34:37], v20 offset0:224 offset1:240
	ds_load_2addr_b64 v[38:41], v18 offset0:224 offset1:240
	v_dual_add_f32 v16, v16, v53 :: v_dual_fma_f32 v43, v54, v58, -v43
	v_dual_mul_f32 v46, v57, v61 :: v_dual_fmac_f32 v44, v63, v22
	v_dual_add_f32 v17, v42, v17 :: v_dual_add_f32 v16, v16, v47
	s_delay_alu instid0(VALU_DEP_2) | instskip(SKIP_1) | instid1(VALU_DEP_3)
	v_dual_mul_f32 v23, v63, v23 :: v_dual_fma_f32 v42, v56, v60, -v46
	v_fmac_f32_e32 v45, v65, v24
	v_dual_add_f32 v17, v17, v43 :: v_dual_add_f32 v16, v16, v44
	s_wait_dscnt 0x2
	v_mul_f32_e32 v43, v26, v31
	v_dual_fma_f32 v22, v62, v22, -v23 :: v_dual_mul_f32 v23, v65, v25
	s_delay_alu instid0(VALU_DEP_3) | instskip(NEXT) | instid1(VALU_DEP_3)
	v_dual_add_f32 v17, v17, v42 :: v_dual_add_f32 v16, v16, v45
	v_dual_fmac_f32 v43, v27, v30 :: v_dual_mul_f32 v25, v28, v33
	v_lshl_add_u64 v[14:15], v[10:11], 3, v[14:15]
	s_delay_alu instid0(VALU_DEP_3) | instskip(NEXT) | instid1(VALU_DEP_3)
	v_dual_add_f32 v17, v17, v22 :: v_dual_fma_f32 v22, v64, v24, -v23
	v_dual_mul_f32 v23, v27, v31 :: v_dual_fmac_f32 v25, v29, v32
	s_delay_alu instid0(VALU_DEP_4) | instskip(SKIP_1) | instid1(VALU_DEP_3)
	v_add_f32_e32 v16, v16, v43
	s_wait_dscnt 0x0
	v_dual_mul_f32 v24, v34, v39 :: v_dual_add_f32 v17, v17, v22
	s_delay_alu instid0(VALU_DEP_3) | instskip(NEXT) | instid1(VALU_DEP_2)
	v_dual_fma_f32 v22, v26, v30, -v23 :: v_dual_mul_f32 v23, v29, v33
	v_dual_add_f32 v16, v16, v25 :: v_dual_fmac_f32 v24, v35, v38
	v_add_nc_u64_e32 v[14:15], v[14:15], v[2:3]
	s_delay_alu instid0(VALU_DEP_3) | instskip(SKIP_1) | instid1(VALU_DEP_2)
	v_dual_add_f32 v17, v17, v22 :: v_dual_fma_f32 v22, v28, v32, -v23
	v_dual_mul_f32 v23, v35, v39 :: v_dual_mul_f32 v25, v36, v41
	v_dual_add_f32 v16, v16, v24 :: v_dual_add_f32 v17, v17, v22
	s_delay_alu instid0(VALU_DEP_2) | instskip(NEXT) | instid1(VALU_DEP_3)
	v_dual_fma_f32 v22, v34, v38, -v23 :: v_dual_mul_f32 v23, v37, v41
	v_fmac_f32_e32 v25, v37, v40
	s_delay_alu instid0(VALU_DEP_2) | instskip(NEXT) | instid1(VALU_DEP_1)
	v_dual_add_f32 v17, v17, v22 :: v_dual_fma_f32 v22, v36, v40, -v23
	v_dual_add_f32 v16, v16, v25 :: v_dual_add_f32 v22, v17, v22
	s_delay_alu instid0(VALU_DEP_1) | instskip(NEXT) | instid1(VALU_DEP_1)
	v_pk_mul_f32 v[16:17], v[12:13], v[16:17] op_sel:[1,0] op_sel_hi:[0,0]
	v_pk_fma_f32 v[24:25], v[12:13], v[22:23], v[16:17] op_sel_hi:[1,0,1]
	v_pk_fma_f32 v[12:13], v[12:13], v[22:23], v[16:17] neg_lo:[0,0,1] neg_hi:[0,0,1]
	s_delay_alu instid0(VALU_DEP_2)
	v_mov_b32_e32 v13, v25
	flat_store_b64 v[14:15], v[12:13]
	s_branch .LBB178_2
.LBB178_19:
	s_sendmsg sendmsg(MSG_DEALLOC_VGPRS)
	s_endpgm
	.section	.rodata,"a",@progbits
	.p2align	6, 0x0
	.amdhsa_kernel _ZL23rocblas_trmm_rTx_kernelILi16ELb1E19rocblas_complex_numIfEPKS1_KS3_KPS1_Ev13rocblas_fill_17rocblas_diagonal_iiT2_lPT3_llSB_llPT4_lli
		.amdhsa_group_segment_fixed_size 4096
		.amdhsa_private_segment_fixed_size 0
		.amdhsa_kernarg_size 108
		.amdhsa_user_sgpr_count 2
		.amdhsa_user_sgpr_dispatch_ptr 0
		.amdhsa_user_sgpr_queue_ptr 0
		.amdhsa_user_sgpr_kernarg_segment_ptr 1
		.amdhsa_user_sgpr_dispatch_id 0
		.amdhsa_user_sgpr_kernarg_preload_length 0
		.amdhsa_user_sgpr_kernarg_preload_offset 0
		.amdhsa_user_sgpr_private_segment_size 0
		.amdhsa_wavefront_size32 1
		.amdhsa_uses_dynamic_stack 0
		.amdhsa_enable_private_segment 0
		.amdhsa_system_sgpr_workgroup_id_x 1
		.amdhsa_system_sgpr_workgroup_id_y 0
		.amdhsa_system_sgpr_workgroup_id_z 1
		.amdhsa_system_sgpr_workgroup_info 0
		.amdhsa_system_vgpr_workitem_id 1
		.amdhsa_next_free_vgpr 73
		.amdhsa_next_free_sgpr 36
		.amdhsa_named_barrier_count 0
		.amdhsa_reserve_vcc 1
		.amdhsa_float_round_mode_32 0
		.amdhsa_float_round_mode_16_64 0
		.amdhsa_float_denorm_mode_32 3
		.amdhsa_float_denorm_mode_16_64 3
		.amdhsa_fp16_overflow 0
		.amdhsa_memory_ordered 1
		.amdhsa_forward_progress 1
		.amdhsa_inst_pref_size 13
		.amdhsa_round_robin_scheduling 0
		.amdhsa_exception_fp_ieee_invalid_op 0
		.amdhsa_exception_fp_denorm_src 0
		.amdhsa_exception_fp_ieee_div_zero 0
		.amdhsa_exception_fp_ieee_overflow 0
		.amdhsa_exception_fp_ieee_underflow 0
		.amdhsa_exception_fp_ieee_inexact 0
		.amdhsa_exception_int_div_zero 0
	.end_amdhsa_kernel
	.section	.text._ZL23rocblas_trmm_rTx_kernelILi16ELb1E19rocblas_complex_numIfEPKS1_KS3_KPS1_Ev13rocblas_fill_17rocblas_diagonal_iiT2_lPT3_llSB_llPT4_lli,"axG",@progbits,_ZL23rocblas_trmm_rTx_kernelILi16ELb1E19rocblas_complex_numIfEPKS1_KS3_KPS1_Ev13rocblas_fill_17rocblas_diagonal_iiT2_lPT3_llSB_llPT4_lli,comdat
.Lfunc_end178:
	.size	_ZL23rocblas_trmm_rTx_kernelILi16ELb1E19rocblas_complex_numIfEPKS1_KS3_KPS1_Ev13rocblas_fill_17rocblas_diagonal_iiT2_lPT3_llSB_llPT4_lli, .Lfunc_end178-_ZL23rocblas_trmm_rTx_kernelILi16ELb1E19rocblas_complex_numIfEPKS1_KS3_KPS1_Ev13rocblas_fill_17rocblas_diagonal_iiT2_lPT3_llSB_llPT4_lli
                                        ; -- End function
	.set _ZL23rocblas_trmm_rTx_kernelILi16ELb1E19rocblas_complex_numIfEPKS1_KS3_KPS1_Ev13rocblas_fill_17rocblas_diagonal_iiT2_lPT3_llSB_llPT4_lli.num_vgpr, 73
	.set _ZL23rocblas_trmm_rTx_kernelILi16ELb1E19rocblas_complex_numIfEPKS1_KS3_KPS1_Ev13rocblas_fill_17rocblas_diagonal_iiT2_lPT3_llSB_llPT4_lli.num_agpr, 0
	.set _ZL23rocblas_trmm_rTx_kernelILi16ELb1E19rocblas_complex_numIfEPKS1_KS3_KPS1_Ev13rocblas_fill_17rocblas_diagonal_iiT2_lPT3_llSB_llPT4_lli.numbered_sgpr, 36
	.set _ZL23rocblas_trmm_rTx_kernelILi16ELb1E19rocblas_complex_numIfEPKS1_KS3_KPS1_Ev13rocblas_fill_17rocblas_diagonal_iiT2_lPT3_llSB_llPT4_lli.num_named_barrier, 0
	.set _ZL23rocblas_trmm_rTx_kernelILi16ELb1E19rocblas_complex_numIfEPKS1_KS3_KPS1_Ev13rocblas_fill_17rocblas_diagonal_iiT2_lPT3_llSB_llPT4_lli.private_seg_size, 0
	.set _ZL23rocblas_trmm_rTx_kernelILi16ELb1E19rocblas_complex_numIfEPKS1_KS3_KPS1_Ev13rocblas_fill_17rocblas_diagonal_iiT2_lPT3_llSB_llPT4_lli.uses_vcc, 1
	.set _ZL23rocblas_trmm_rTx_kernelILi16ELb1E19rocblas_complex_numIfEPKS1_KS3_KPS1_Ev13rocblas_fill_17rocblas_diagonal_iiT2_lPT3_llSB_llPT4_lli.uses_flat_scratch, 0
	.set _ZL23rocblas_trmm_rTx_kernelILi16ELb1E19rocblas_complex_numIfEPKS1_KS3_KPS1_Ev13rocblas_fill_17rocblas_diagonal_iiT2_lPT3_llSB_llPT4_lli.has_dyn_sized_stack, 0
	.set _ZL23rocblas_trmm_rTx_kernelILi16ELb1E19rocblas_complex_numIfEPKS1_KS3_KPS1_Ev13rocblas_fill_17rocblas_diagonal_iiT2_lPT3_llSB_llPT4_lli.has_recursion, 0
	.set _ZL23rocblas_trmm_rTx_kernelILi16ELb1E19rocblas_complex_numIfEPKS1_KS3_KPS1_Ev13rocblas_fill_17rocblas_diagonal_iiT2_lPT3_llSB_llPT4_lli.has_indirect_call, 0
	.section	.AMDGPU.csdata,"",@progbits
; Kernel info:
; codeLenInByte = 1640
; TotalNumSgprs: 38
; NumVgprs: 73
; ScratchSize: 0
; MemoryBound: 0
; FloatMode: 240
; IeeeMode: 1
; LDSByteSize: 4096 bytes/workgroup (compile time only)
; SGPRBlocks: 0
; VGPRBlocks: 4
; NumSGPRsForWavesPerEU: 38
; NumVGPRsForWavesPerEU: 73
; NamedBarCnt: 0
; Occupancy: 12
; WaveLimiterHint : 1
; COMPUTE_PGM_RSRC2:SCRATCH_EN: 0
; COMPUTE_PGM_RSRC2:USER_SGPR: 2
; COMPUTE_PGM_RSRC2:TRAP_HANDLER: 0
; COMPUTE_PGM_RSRC2:TGID_X_EN: 1
; COMPUTE_PGM_RSRC2:TGID_Y_EN: 0
; COMPUTE_PGM_RSRC2:TGID_Z_EN: 1
; COMPUTE_PGM_RSRC2:TIDIG_COMP_CNT: 1
	.section	.text._ZL23rocblas_trmm_rTx_kernelILi16ELb1E19rocblas_complex_numIfES1_KPKS1_KPS1_Ev13rocblas_fill_17rocblas_diagonal_iiT2_lPT3_llSB_llPT4_lli,"axG",@progbits,_ZL23rocblas_trmm_rTx_kernelILi16ELb1E19rocblas_complex_numIfES1_KPKS1_KPS1_Ev13rocblas_fill_17rocblas_diagonal_iiT2_lPT3_llSB_llPT4_lli,comdat
	.globl	_ZL23rocblas_trmm_rTx_kernelILi16ELb1E19rocblas_complex_numIfES1_KPKS1_KPS1_Ev13rocblas_fill_17rocblas_diagonal_iiT2_lPT3_llSB_llPT4_lli ; -- Begin function _ZL23rocblas_trmm_rTx_kernelILi16ELb1E19rocblas_complex_numIfES1_KPKS1_KPS1_Ev13rocblas_fill_17rocblas_diagonal_iiT2_lPT3_llSB_llPT4_lli
	.p2align	8
	.type	_ZL23rocblas_trmm_rTx_kernelILi16ELb1E19rocblas_complex_numIfES1_KPKS1_KPS1_Ev13rocblas_fill_17rocblas_diagonal_iiT2_lPT3_llSB_llPT4_lli,@function
_ZL23rocblas_trmm_rTx_kernelILi16ELb1E19rocblas_complex_numIfES1_KPKS1_KPS1_Ev13rocblas_fill_17rocblas_diagonal_iiT2_lPT3_llSB_llPT4_lli: ; @_ZL23rocblas_trmm_rTx_kernelILi16ELb1E19rocblas_complex_numIfES1_KPKS1_KPS1_Ev13rocblas_fill_17rocblas_diagonal_iiT2_lPT3_llSB_llPT4_lli
; %bb.0:
	s_load_b32 s33, s[0:1], 0x68
	s_bfe_u32 s2, ttmp6, 0x40014
	s_lshr_b32 s3, ttmp7, 16
	s_add_co_i32 s2, s2, 1
	s_bfe_u32 s5, ttmp6, 0x40008
	s_mul_i32 s4, s3, s2
	s_getreg_b32 s2, hwreg(HW_REG_IB_STS2, 6, 4)
	s_add_co_i32 s5, s5, s4
	s_cmp_eq_u32 s2, 0
	s_mov_b32 s7, 0
	s_cselect_b32 s6, s3, s5
	s_wait_kmcnt 0x0
	s_cmp_ge_u32 s6, s33
	s_cbranch_scc1 .LBB179_19
; %bb.1:
	s_clause 0x3
	s_load_b64 s[28:29], s[0:1], 0x10
	s_load_b512 s[8:23], s[0:1], 0x20
	s_load_b128 s[24:27], s[0:1], 0x0
	s_load_b64 s[30:31], s[0:1], 0x60
	v_bfe_u32 v2, v0, 10, 10
	v_mov_b32_e32 v3, 0
	v_and_b32_e32 v12, 0x3ff, v0
	v_mov_b64_e32 v[0:1], 0
	v_mov_b64_e32 v[4:5], 0x3f800000
	v_dual_lshlrev_b32 v13, 4, v2 :: v_dual_lshlrev_b32 v17, 3, v2
	s_delay_alu instid0(VALU_DEP_4)
	v_cmp_eq_u32_e32 vcc_lo, v2, v12
	s_wait_xcnt 0x0
	v_cmp_lt_u32_e64 s0, v12, v2
	v_cmp_gt_u32_e64 s1, v12, v2
	v_add_lshl_u32 v18, v13, v12, 3
	v_lshl_add_u32 v16, v12, 3, 0x800
	s_delay_alu instid0(VALU_DEP_2)
	v_add_nc_u32_e32 v19, 0x800, v18
	s_wait_kmcnt 0x0
	s_cmp_neq_f32 s28, 0
	v_mul_u64_e32 v[6:7], s[10:11], v[2:3]
	v_mul_u64_e32 v[8:9], s[16:17], v[2:3]
	v_mul_u64_e32 v[10:11], s[22:23], v[2:3]
	s_cselect_b32 s3, -1, 0
	s_cmp_neq_f32 s29, 0
	s_cselect_b32 s4, -1, 0
	s_add_co_i32 s5, s26, -1
	s_or_b32 s22, s3, s4
	s_ashr_i32 s3, s5, 31
	s_bfe_u32 s11, ttmp6, 0x4000c
	s_lshr_b32 s3, s3, 28
	s_add_co_i32 s11, s11, 1
	s_add_co_i32 s5, s5, s3
	s_and_b32 s10, ttmp6, 15
	s_mul_i32 s4, ttmp9, s11
	s_and_b32 s3, s5, -16
	s_add_co_i32 s10, s10, s4
	s_ashr_i32 s4, s5, 4
	s_sub_co_i32 s5, s26, s3
	s_cmp_eq_u32 s2, 0
	v_cmp_gt_i32_e64 s2, s27, v2
	s_cselect_b32 s11, ttmp9, s10
	v_cmp_gt_i32_e64 s3, s27, v12
	s_cmp_ge_i32 s11, s4
	v_lshlrev_b32_e32 v2, 3, v12
	s_cselect_b32 s4, s5, 16
	s_lshl_b32 s16, s11, 4
	v_cmp_gt_i32_e64 s4, s4, v12
	s_and_b32 s23, s2, s3
	s_ashr_i32 s17, s16, 31
	s_mov_b32 s10, s29
	s_mov_b32 s11, s28
	s_and_b32 s26, s2, s4
	s_cmp_eq_u32 s25, 0x84
	s_cselect_b32 s2, -1, 0
	s_delay_alu instid0(SALU_CYCLE_1)
	s_and_b32 s25, vcc_lo, s2
	s_cmp_lg_u32 s24, 0x79
	s_cselect_b32 s24, -1, 0
	s_lshl_b64 s[2:3], s[12:13], 3
	s_lshl_b64 s[4:5], s[18:19], 3
	;; [unrolled: 1-line block ×4, first 2 shown]
	s_branch .LBB179_4
.LBB179_2:                              ;   in Loop: Header=BB179_4 Depth=1
	s_wait_xcnt 0x0
	s_or_b32 exec_lo, exec_lo, s18
.LBB179_3:                              ;   in Loop: Header=BB179_4 Depth=1
	s_add_co_i32 s6, s6, 0x10000
	s_delay_alu instid0(SALU_CYCLE_1)
	s_cmp_lt_u32 s6, s33
	s_cbranch_scc0 .LBB179_19
.LBB179_4:                              ; =>This Inner Loop Header: Depth=1
	s_and_not1_b32 vcc_lo, exec_lo, s22
	s_cbranch_vccnz .LBB179_3
; %bb.5:                                ;   in Loop: Header=BB179_4 Depth=1
	v_mov_b32_e32 v20, s6
	s_clause 0x1
	global_load_b64 v[14:15], v20, s[14:15] scale_offset
	global_load_b64 v[12:13], v20, s[20:21] scale_offset
	ds_store_b64 v18, v[0:1]
	ds_store_b64 v19, v[0:1]
	s_wait_xcnt 0x0
	s_and_saveexec_b32 s18, s23
	s_cbranch_execnz .LBB179_10
; %bb.6:                                ;   in Loop: Header=BB179_4 Depth=1
	s_or_b32 exec_lo, exec_lo, s18
	s_and_saveexec_b32 s18, s26
	s_cbranch_execnz .LBB179_11
.LBB179_7:                              ;   in Loop: Header=BB179_4 Depth=1
	s_or_b32 exec_lo, exec_lo, s18
	s_and_saveexec_b32 s18, s25
	s_cbranch_execnz .LBB179_12
.LBB179_8:                              ;   in Loop: Header=BB179_4 Depth=1
	s_or_b32 exec_lo, exec_lo, s18
	s_delay_alu instid0(SALU_CYCLE_1)
	s_and_b32 vcc_lo, exec_lo, s24
	s_cbranch_vccz .LBB179_13
.LBB179_9:                              ;   in Loop: Header=BB179_4 Depth=1
	s_and_b32 s18, s0, exec_lo
	s_cbranch_execz .LBB179_14
	s_branch .LBB179_15
.LBB179_10:                             ;   in Loop: Header=BB179_4 Depth=1
	s_lshl_b64 s[30:31], s[6:7], 3
	s_delay_alu instid0(SALU_CYCLE_1) | instskip(SKIP_3) | instid1(VALU_DEP_1)
	s_add_nc_u64 s[30:31], s[8:9], s[30:31]
	global_load_b64 v[20:21], v3, s[30:31]
	s_wait_loadcnt 0x0
	v_add_nc_u64_e32 v[20:21], s[2:3], v[20:21]
	v_lshl_add_u64 v[20:21], v[6:7], 3, v[20:21]
	s_delay_alu instid0(VALU_DEP_1)
	v_add_nc_u64_e32 v[20:21], v[20:21], v[2:3]
	flat_load_b64 v[20:21], v[20:21]
	s_wait_loadcnt_dscnt 0x0
	s_wait_xcnt 0x0
	v_xor_b32_e32 v21, 0x80000000, v21
	ds_store_b64 v18, v[20:21]
	s_or_b32 exec_lo, exec_lo, s18
	s_and_saveexec_b32 s18, s26
	s_cbranch_execz .LBB179_7
.LBB179_11:                             ;   in Loop: Header=BB179_4 Depth=1
	s_wait_loadcnt 0x1
	v_add_nc_u64_e32 v[14:15], s[4:5], v[14:15]
	s_delay_alu instid0(VALU_DEP_1) | instskip(NEXT) | instid1(VALU_DEP_1)
	v_add_nc_u64_e32 v[14:15], s[12:13], v[14:15]
	v_lshl_add_u64 v[14:15], v[8:9], 3, v[14:15]
	s_delay_alu instid0(VALU_DEP_1)
	v_add_nc_u64_e32 v[14:15], v[14:15], v[2:3]
	flat_load_b64 v[14:15], v[14:15]
	s_wait_loadcnt_dscnt 0x0
	ds_store_b64 v19, v[14:15]
	s_wait_xcnt 0x0
	s_or_b32 exec_lo, exec_lo, s18
	s_and_saveexec_b32 s18, s25
	s_cbranch_execz .LBB179_8
.LBB179_12:                             ;   in Loop: Header=BB179_4 Depth=1
	ds_store_b64 v18, v[4:5]
	s_or_b32 exec_lo, exec_lo, s18
	s_delay_alu instid0(SALU_CYCLE_1)
	s_and_b32 vcc_lo, exec_lo, s24
	s_cbranch_vccnz .LBB179_9
.LBB179_13:                             ;   in Loop: Header=BB179_4 Depth=1
	s_mov_b32 s18, 0
.LBB179_14:                             ;   in Loop: Header=BB179_4 Depth=1
	s_delay_alu instid0(SALU_CYCLE_1) | instskip(SKIP_1) | instid1(SALU_CYCLE_1)
	s_and_not1_b32 s18, s18, exec_lo
	s_and_b32 s19, s1, exec_lo
	s_or_b32 s18, s18, s19
.LBB179_15:                             ;   in Loop: Header=BB179_4 Depth=1
	s_delay_alu instid0(SALU_CYCLE_1)
	s_and_saveexec_b32 s19, s18
; %bb.16:                               ;   in Loop: Header=BB179_4 Depth=1
	ds_store_b64 v18, v[0:1]
; %bb.17:                               ;   in Loop: Header=BB179_4 Depth=1
	s_or_b32 exec_lo, exec_lo, s19
	s_wait_loadcnt_dscnt 0x0
	s_barrier_signal -1
	s_barrier_wait -1
	s_and_saveexec_b32 s18, s26
	s_cbranch_execz .LBB179_2
; %bb.18:                               ;   in Loop: Header=BB179_4 Depth=1
	ds_load_2addr_b64 v[20:23], v17 offset1:16
	ds_load_2addr_b64 v[24:27], v16 offset1:16
	ds_load_2addr_b64 v[28:31], v17 offset0:32 offset1:48
	ds_load_2addr_b64 v[32:35], v16 offset0:32 offset1:48
	;; [unrolled: 1-line block ×14, first 2 shown]
	v_add_nc_u64_e32 v[12:13], s[16:17], v[12:13]
	s_wait_dscnt 0xe
	v_dual_mul_f32 v14, v20, v25 :: v_dual_mul_f32 v15, v22, v27
	v_dual_mul_f32 v25, v21, v25 :: v_dual_mul_f32 v27, v23, v27
	s_delay_alu instid0(VALU_DEP_3) | instskip(NEXT) | instid1(VALU_DEP_3)
	v_add_nc_u64_e32 v[12:13], s[12:13], v[12:13]
	v_dual_fmac_f32 v14, v21, v24 :: v_dual_fmac_f32 v15, v23, v26
	s_delay_alu instid0(VALU_DEP_3)
	v_dual_fma_f32 v20, v20, v24, -v25 :: v_dual_fma_f32 v21, v22, v26, -v27
	s_wait_dscnt 0xc
	v_dual_mul_f32 v22, v28, v33 :: v_dual_mul_f32 v23, v30, v35
	s_wait_dscnt 0xa
	v_dual_add_f32 v14, 0, v14 :: v_dual_mul_f32 v26, v36, v41
	v_dual_mul_f32 v24, v29, v33 :: v_dual_mul_f32 v25, v31, v35
	s_delay_alu instid0(VALU_DEP_2) | instskip(SKIP_3) | instid1(VALU_DEP_3)
	v_dual_fmac_f32 v22, v29, v32 :: v_dual_add_f32 v14, v14, v15
	v_dual_mul_f32 v15, v39, v43 :: v_dual_add_f32 v20, 0, v20
	s_wait_dscnt 0x8
	v_dual_mul_f32 v29, v44, v49 :: v_dual_fmac_f32 v23, v31, v34
	v_add_f32_e32 v14, v14, v22
	v_dual_mul_f32 v27, v38, v43 :: v_dual_mul_f32 v33, v37, v41
	v_add_f32_e32 v20, v20, v21
	s_delay_alu instid0(VALU_DEP_3) | instskip(SKIP_3) | instid1(VALU_DEP_3)
	v_dual_fma_f32 v24, v28, v32, -v24 :: v_dual_add_f32 v14, v14, v23
	v_dual_mul_f32 v23, v47, v51 :: v_dual_fmac_f32 v26, v37, v40
	s_wait_dscnt 0x6
	v_dual_fma_f32 v25, v30, v34, -v25 :: v_dual_mul_f32 v28, v52, v57
	v_dual_add_f32 v20, v20, v24 :: v_dual_fmac_f32 v27, v39, v42
	s_delay_alu instid0(VALU_DEP_3) | instskip(NEXT) | instid1(VALU_DEP_2)
	v_dual_add_f32 v14, v14, v26 :: v_dual_fma_f32 v26, v36, v40, -v33
	v_dual_mul_f32 v24, v54, v59 :: v_dual_add_f32 v20, v20, v25
	v_dual_mul_f32 v22, v46, v51 :: v_dual_mul_f32 v21, v45, v49
	s_delay_alu instid0(VALU_DEP_3)
	v_dual_fmac_f32 v29, v45, v48 :: v_dual_add_f32 v14, v14, v27
	s_wait_dscnt 0x4
	v_dual_mul_f32 v25, v60, v65 :: v_dual_fma_f32 v15, v38, v42, -v15
	v_add_f32_e32 v20, v20, v26
	v_dual_fmac_f32 v22, v47, v50 :: v_dual_mul_f32 v26, v62, v67
	v_dual_add_f32 v14, v14, v29 :: v_dual_fma_f32 v21, v44, v48, -v21
	s_delay_alu instid0(VALU_DEP_3) | instskip(NEXT) | instid1(VALU_DEP_2)
	v_dual_add_f32 v15, v20, v15 :: v_dual_fmac_f32 v28, v53, v56
	v_dual_mul_f32 v20, v53, v57 :: v_dual_add_f32 v14, v14, v22
	s_delay_alu instid0(VALU_DEP_2) | instskip(SKIP_1) | instid1(VALU_DEP_3)
	v_dual_fma_f32 v22, v46, v50, -v23 :: v_dual_add_f32 v15, v15, v21
	v_dual_fmac_f32 v24, v55, v58 :: v_dual_mul_f32 v21, v55, v59
	v_add_f32_e32 v14, v14, v28
	s_delay_alu instid0(VALU_DEP_3) | instskip(SKIP_1) | instid1(VALU_DEP_3)
	v_dual_fma_f32 v20, v52, v56, -v20 :: v_dual_add_f32 v15, v15, v22
	v_dual_fmac_f32 v25, v61, v64 :: v_dual_mul_f32 v22, v61, v65
	v_dual_add_f32 v14, v14, v24 :: v_dual_fmac_f32 v26, v63, v66
	s_delay_alu instid0(VALU_DEP_3) | instskip(SKIP_2) | instid1(VALU_DEP_3)
	v_dual_fma_f32 v21, v54, v58, -v21 :: v_dual_add_f32 v15, v15, v20
	s_wait_dscnt 0x2
	v_mul_f32_e32 v20, v68, v73
	v_dual_add_f32 v14, v14, v25 :: v_dual_fma_f32 v22, v60, v64, -v22
	s_delay_alu instid0(VALU_DEP_3) | instskip(NEXT) | instid1(VALU_DEP_2)
	v_dual_mul_f32 v23, v70, v75 :: v_dual_add_f32 v15, v15, v21
	v_dual_mul_f32 v21, v63, v67 :: v_dual_add_f32 v14, v14, v26
	s_delay_alu instid0(VALU_DEP_2) | instskip(NEXT) | instid1(VALU_DEP_3)
	v_dual_fmac_f32 v20, v69, v72 :: v_dual_fmac_f32 v23, v71, v74
	v_dual_add_f32 v15, v15, v22 :: v_dual_mul_f32 v22, v69, v73
	s_delay_alu instid0(VALU_DEP_3) | instskip(SKIP_1) | instid1(VALU_DEP_3)
	v_fma_f32 v21, v62, v66, -v21
	s_wait_dscnt 0x0
	v_dual_add_f32 v14, v14, v20 :: v_dual_mul_f32 v20, v76, v81
	v_lshl_add_u64 v[12:13], v[10:11], 3, v[12:13]
	s_delay_alu instid0(VALU_DEP_3) | instskip(NEXT) | instid1(VALU_DEP_3)
	v_dual_add_f32 v15, v15, v21 :: v_dual_fma_f32 v21, v68, v72, -v22
	v_dual_mul_f32 v22, v71, v75 :: v_dual_fmac_f32 v20, v77, v80
	s_delay_alu instid0(VALU_DEP_4) | instskip(NEXT) | instid1(VALU_DEP_3)
	v_add_f32_e32 v14, v14, v23
	v_dual_mul_f32 v23, v78, v83 :: v_dual_add_f32 v15, v15, v21
	s_delay_alu instid0(VALU_DEP_3) | instskip(NEXT) | instid1(VALU_DEP_2)
	v_dual_fma_f32 v21, v70, v74, -v22 :: v_dual_mul_f32 v22, v77, v81
	v_dual_add_f32 v14, v14, v20 :: v_dual_fmac_f32 v23, v79, v82
	v_add_nc_u64_e32 v[12:13], v[12:13], v[2:3]
	s_delay_alu instid0(VALU_DEP_3) | instskip(NEXT) | instid1(VALU_DEP_3)
	v_dual_fma_f32 v20, v76, v80, -v22 :: v_dual_add_f32 v15, v15, v21
	v_add_f32_e32 v14, v14, v23
	v_mul_f32_e32 v21, v79, v83
	s_delay_alu instid0(VALU_DEP_1) | instskip(SKIP_1) | instid1(VALU_DEP_2)
	v_dual_add_f32 v15, v15, v20 :: v_dual_fma_f32 v22, v78, v82, -v21
	v_mov_b64_e32 v[20:21], s[10:11]
	v_add_f32_e32 v22, v15, v22
	s_delay_alu instid0(VALU_DEP_2) | instskip(SKIP_1) | instid1(VALU_DEP_1)
	v_pk_mul_f32 v[14:15], v[20:21], v[14:15] op_sel_hi:[1,0]
	v_mov_b64_e32 v[20:21], s[28:29]
	v_pk_fma_f32 v[24:25], v[20:21], v[22:23], v[14:15] op_sel_hi:[1,0,1]
	v_pk_fma_f32 v[14:15], v[20:21], v[22:23], v[14:15] neg_lo:[0,0,1] neg_hi:[0,0,1]
	s_delay_alu instid0(VALU_DEP_2)
	v_mov_b32_e32 v15, v25
	flat_store_b64 v[12:13], v[14:15]
	s_branch .LBB179_2
.LBB179_19:
	s_sendmsg sendmsg(MSG_DEALLOC_VGPRS)
	s_endpgm
	.section	.rodata,"a",@progbits
	.p2align	6, 0x0
	.amdhsa_kernel _ZL23rocblas_trmm_rTx_kernelILi16ELb1E19rocblas_complex_numIfES1_KPKS1_KPS1_Ev13rocblas_fill_17rocblas_diagonal_iiT2_lPT3_llSB_llPT4_lli
		.amdhsa_group_segment_fixed_size 4096
		.amdhsa_private_segment_fixed_size 0
		.amdhsa_kernarg_size 108
		.amdhsa_user_sgpr_count 2
		.amdhsa_user_sgpr_dispatch_ptr 0
		.amdhsa_user_sgpr_queue_ptr 0
		.amdhsa_user_sgpr_kernarg_segment_ptr 1
		.amdhsa_user_sgpr_dispatch_id 0
		.amdhsa_user_sgpr_kernarg_preload_length 0
		.amdhsa_user_sgpr_kernarg_preload_offset 0
		.amdhsa_user_sgpr_private_segment_size 0
		.amdhsa_wavefront_size32 1
		.amdhsa_uses_dynamic_stack 0
		.amdhsa_enable_private_segment 0
		.amdhsa_system_sgpr_workgroup_id_x 1
		.amdhsa_system_sgpr_workgroup_id_y 0
		.amdhsa_system_sgpr_workgroup_id_z 1
		.amdhsa_system_sgpr_workgroup_info 0
		.amdhsa_system_vgpr_workitem_id 1
		.amdhsa_next_free_vgpr 84
		.amdhsa_next_free_sgpr 34
		.amdhsa_named_barrier_count 0
		.amdhsa_reserve_vcc 1
		.amdhsa_float_round_mode_32 0
		.amdhsa_float_round_mode_16_64 0
		.amdhsa_float_denorm_mode_32 3
		.amdhsa_float_denorm_mode_16_64 3
		.amdhsa_fp16_overflow 0
		.amdhsa_memory_ordered 1
		.amdhsa_forward_progress 1
		.amdhsa_inst_pref_size 13
		.amdhsa_round_robin_scheduling 0
		.amdhsa_exception_fp_ieee_invalid_op 0
		.amdhsa_exception_fp_denorm_src 0
		.amdhsa_exception_fp_ieee_div_zero 0
		.amdhsa_exception_fp_ieee_overflow 0
		.amdhsa_exception_fp_ieee_underflow 0
		.amdhsa_exception_fp_ieee_inexact 0
		.amdhsa_exception_int_div_zero 0
	.end_amdhsa_kernel
	.section	.text._ZL23rocblas_trmm_rTx_kernelILi16ELb1E19rocblas_complex_numIfES1_KPKS1_KPS1_Ev13rocblas_fill_17rocblas_diagonal_iiT2_lPT3_llSB_llPT4_lli,"axG",@progbits,_ZL23rocblas_trmm_rTx_kernelILi16ELb1E19rocblas_complex_numIfES1_KPKS1_KPS1_Ev13rocblas_fill_17rocblas_diagonal_iiT2_lPT3_llSB_llPT4_lli,comdat
.Lfunc_end179:
	.size	_ZL23rocblas_trmm_rTx_kernelILi16ELb1E19rocblas_complex_numIfES1_KPKS1_KPS1_Ev13rocblas_fill_17rocblas_diagonal_iiT2_lPT3_llSB_llPT4_lli, .Lfunc_end179-_ZL23rocblas_trmm_rTx_kernelILi16ELb1E19rocblas_complex_numIfES1_KPKS1_KPS1_Ev13rocblas_fill_17rocblas_diagonal_iiT2_lPT3_llSB_llPT4_lli
                                        ; -- End function
	.set _ZL23rocblas_trmm_rTx_kernelILi16ELb1E19rocblas_complex_numIfES1_KPKS1_KPS1_Ev13rocblas_fill_17rocblas_diagonal_iiT2_lPT3_llSB_llPT4_lli.num_vgpr, 84
	.set _ZL23rocblas_trmm_rTx_kernelILi16ELb1E19rocblas_complex_numIfES1_KPKS1_KPS1_Ev13rocblas_fill_17rocblas_diagonal_iiT2_lPT3_llSB_llPT4_lli.num_agpr, 0
	.set _ZL23rocblas_trmm_rTx_kernelILi16ELb1E19rocblas_complex_numIfES1_KPKS1_KPS1_Ev13rocblas_fill_17rocblas_diagonal_iiT2_lPT3_llSB_llPT4_lli.numbered_sgpr, 34
	.set _ZL23rocblas_trmm_rTx_kernelILi16ELb1E19rocblas_complex_numIfES1_KPKS1_KPS1_Ev13rocblas_fill_17rocblas_diagonal_iiT2_lPT3_llSB_llPT4_lli.num_named_barrier, 0
	.set _ZL23rocblas_trmm_rTx_kernelILi16ELb1E19rocblas_complex_numIfES1_KPKS1_KPS1_Ev13rocblas_fill_17rocblas_diagonal_iiT2_lPT3_llSB_llPT4_lli.private_seg_size, 0
	.set _ZL23rocblas_trmm_rTx_kernelILi16ELb1E19rocblas_complex_numIfES1_KPKS1_KPS1_Ev13rocblas_fill_17rocblas_diagonal_iiT2_lPT3_llSB_llPT4_lli.uses_vcc, 1
	.set _ZL23rocblas_trmm_rTx_kernelILi16ELb1E19rocblas_complex_numIfES1_KPKS1_KPS1_Ev13rocblas_fill_17rocblas_diagonal_iiT2_lPT3_llSB_llPT4_lli.uses_flat_scratch, 0
	.set _ZL23rocblas_trmm_rTx_kernelILi16ELb1E19rocblas_complex_numIfES1_KPKS1_KPS1_Ev13rocblas_fill_17rocblas_diagonal_iiT2_lPT3_llSB_llPT4_lli.has_dyn_sized_stack, 0
	.set _ZL23rocblas_trmm_rTx_kernelILi16ELb1E19rocblas_complex_numIfES1_KPKS1_KPS1_Ev13rocblas_fill_17rocblas_diagonal_iiT2_lPT3_llSB_llPT4_lli.has_recursion, 0
	.set _ZL23rocblas_trmm_rTx_kernelILi16ELb1E19rocblas_complex_numIfES1_KPKS1_KPS1_Ev13rocblas_fill_17rocblas_diagonal_iiT2_lPT3_llSB_llPT4_lli.has_indirect_call, 0
	.section	.AMDGPU.csdata,"",@progbits
; Kernel info:
; codeLenInByte = 1632
; TotalNumSgprs: 36
; NumVgprs: 84
; ScratchSize: 0
; MemoryBound: 0
; FloatMode: 240
; IeeeMode: 1
; LDSByteSize: 4096 bytes/workgroup (compile time only)
; SGPRBlocks: 0
; VGPRBlocks: 5
; NumSGPRsForWavesPerEU: 36
; NumVGPRsForWavesPerEU: 84
; NamedBarCnt: 0
; Occupancy: 10
; WaveLimiterHint : 1
; COMPUTE_PGM_RSRC2:SCRATCH_EN: 0
; COMPUTE_PGM_RSRC2:USER_SGPR: 2
; COMPUTE_PGM_RSRC2:TRAP_HANDLER: 0
; COMPUTE_PGM_RSRC2:TGID_X_EN: 1
; COMPUTE_PGM_RSRC2:TGID_Y_EN: 0
; COMPUTE_PGM_RSRC2:TGID_Z_EN: 1
; COMPUTE_PGM_RSRC2:TIDIG_COMP_CNT: 1
	.section	.text._ZL23rocblas_trmm_lNx_kernelILi16E19rocblas_complex_numIdEPKS1_KS3_KPS1_Ev13rocblas_fill_17rocblas_diagonal_iiT1_lPT2_llSB_llPT3_lli,"axG",@progbits,_ZL23rocblas_trmm_lNx_kernelILi16E19rocblas_complex_numIdEPKS1_KS3_KPS1_Ev13rocblas_fill_17rocblas_diagonal_iiT1_lPT2_llSB_llPT3_lli,comdat
	.globl	_ZL23rocblas_trmm_lNx_kernelILi16E19rocblas_complex_numIdEPKS1_KS3_KPS1_Ev13rocblas_fill_17rocblas_diagonal_iiT1_lPT2_llSB_llPT3_lli ; -- Begin function _ZL23rocblas_trmm_lNx_kernelILi16E19rocblas_complex_numIdEPKS1_KS3_KPS1_Ev13rocblas_fill_17rocblas_diagonal_iiT1_lPT2_llSB_llPT3_lli
	.p2align	8
	.type	_ZL23rocblas_trmm_lNx_kernelILi16E19rocblas_complex_numIdEPKS1_KS3_KPS1_Ev13rocblas_fill_17rocblas_diagonal_iiT1_lPT2_llSB_llPT3_lli,@function
_ZL23rocblas_trmm_lNx_kernelILi16E19rocblas_complex_numIdEPKS1_KS3_KPS1_Ev13rocblas_fill_17rocblas_diagonal_iiT1_lPT2_llSB_llPT3_lli: ; @_ZL23rocblas_trmm_lNx_kernelILi16E19rocblas_complex_numIdEPKS1_KS3_KPS1_Ev13rocblas_fill_17rocblas_diagonal_iiT1_lPT2_llSB_llPT3_lli
; %bb.0:
	s_load_b32 s33, s[0:1], 0x68
	s_bfe_u32 s2, ttmp6, 0x40014
	s_lshr_b32 s3, ttmp7, 16
	s_add_co_i32 s2, s2, 1
	s_bfe_u32 s5, ttmp6, 0x40008
	s_mul_i32 s4, s3, s2
	s_getreg_b32 s2, hwreg(HW_REG_IB_STS2, 6, 4)
	s_add_co_i32 s5, s5, s4
	s_cmp_eq_u32 s2, 0
	s_mov_b32 s7, 0
	s_cselect_b32 s6, s3, s5
	s_wait_kmcnt 0x0
	s_cmp_ge_u32 s6, s33
	s_cbranch_scc1 .LBB180_19
; %bb.1:
	s_clause 0x3
	s_load_b128 s[28:31], s[0:1], 0x0
	s_load_b512 s[8:23], s[0:1], 0x10
	s_load_b64 s[34:35], s[0:1], 0x60
	s_load_b128 s[24:27], s[0:1], 0x50
	s_wait_xcnt 0x0
	s_bfe_u32 s0, ttmp6, 0x4000c
	v_bfe_u32 v8, v0, 10, 10
	v_mov_b32_e32 v9, 0
	s_add_co_i32 s0, s0, 1
	s_and_b32 s3, ttmp6, 15
	s_mul_i32 s4, ttmp9, s0
	v_lshlrev_b32_e32 v2, 4, v8
	s_add_co_i32 s3, s3, s4
	v_and_b32_e32 v0, 0x3ff, v0
	v_mov_b32_e32 v1, 0x3ff00000
	v_lshl_add_u32 v20, v8, 8, 0x1000
	s_delay_alu instid0(VALU_DEP_3)
	v_cmp_eq_u32_e32 vcc_lo, v8, v0
	v_add_lshl_u32 v19, v2, v0, 4
	v_cmp_lt_u32_e64 s0, v0, v8
	s_wait_kmcnt 0x0
	s_add_co_i32 s5, s31, -1
	v_mul_u64_e32 v[10:11], s[14:15], v[8:9]
	s_ashr_i32 s4, s5, 31
	v_mul_u64_e32 v[12:13], s[20:21], v[8:9]
	v_mul_u64_e32 v[14:15], s[26:27], v[8:9]
	s_lshr_b32 s4, s4, 28
	v_cmp_gt_u32_e64 s1, v0, v8
	s_add_co_i32 s5, s5, s4
	v_lshlrev_b32_e32 v18, 4, v0
	s_and_b32 s4, s5, -16
	s_ashr_i32 s5, s5, 4
	s_sub_co_i32 s4, s31, s4
	s_cmp_eq_u32 s2, 0
	v_cmp_gt_i32_e64 s2, s30, v8
	s_cselect_b32 s14, ttmp9, s3
	v_cmp_gt_i32_e64 s3, s30, v0
	s_cmp_ge_i32 s14, s5
	v_add_nc_u32_e32 v21, 0x1000, v19
	s_cselect_b32 s4, s4, 16
	s_lshl_b32 s14, s14, 4
	v_cmp_gt_i32_e64 s4, s4, v8
	s_and_b32 s30, s2, s3
	s_ashr_i32 s15, s14, 31
	v_lshlrev_b32_e32 v8, 4, v0
	s_mul_u64 s[36:37], s[26:27], s[14:15]
	s_and_b32 s31, s3, s4
	s_cmp_eq_u32 s29, 0x84
	s_mul_u64 s[2:3], s[20:21], s[14:15]
	s_cselect_b32 s4, -1, 0
	s_delay_alu instid0(SALU_CYCLE_1)
	s_and_b32 s29, vcc_lo, s4
	s_cmp_lg_u32 s28, 0x79
	s_cselect_b32 s26, -1, 0
	s_lshl_b64 s[4:5], s[16:17], 4
	s_lshl_b64 s[14:15], s[22:23], 4
	;; [unrolled: 1-line block ×5, first 2 shown]
	s_branch .LBB180_4
.LBB180_2:                              ;   in Loop: Header=BB180_4 Depth=1
	s_wait_xcnt 0x0
	s_or_b32 exec_lo, exec_lo, s2
.LBB180_3:                              ;   in Loop: Header=BB180_4 Depth=1
	s_add_co_i32 s6, s6, 0x10000
	s_delay_alu instid0(SALU_CYCLE_1)
	s_cmp_lt_u32 s6, s33
	s_cbranch_scc0 .LBB180_19
.LBB180_4:                              ; =>This Inner Loop Header: Depth=1
	s_mul_u64 s[2:3], s[10:11], s[6:7]
	s_delay_alu instid0(SALU_CYCLE_1) | instskip(NEXT) | instid1(SALU_CYCLE_1)
	s_lshl_b64 s[2:3], s[2:3], 4
	s_add_nc_u64 s[2:3], s[8:9], s[2:3]
	global_load_b128 v[4:7], v9, s[2:3]
	s_wait_loadcnt 0x0
	v_cmp_neq_f64_e32 vcc_lo, 0, v[4:5]
	s_wait_xcnt 0x0
	v_cmp_neq_f64_e64 s2, 0, v[6:7]
	s_or_b32 s2, vcc_lo, s2
	s_delay_alu instid0(SALU_CYCLE_1)
	s_and_not1_b32 vcc_lo, exec_lo, s2
	s_cbranch_vccnz .LBB180_3
; %bb.5:                                ;   in Loop: Header=BB180_4 Depth=1
	s_lshl_b64 s[2:3], s[6:7], 3
	s_mov_b32 s38, s7
	s_add_nc_u64 s[34:35], s[18:19], s[2:3]
	s_add_nc_u64 s[36:37], s[24:25], s[2:3]
	s_clause 0x1
	global_load_b64 v[2:3], v9, s[34:35]
	global_load_b64 v[16:17], v9, s[36:37]
	s_wait_xcnt 0x0
	s_mov_b32 s36, s7
	s_mov_b32 s37, s7
	;; [unrolled: 1-line block ×3, first 2 shown]
	v_mov_b64_e32 v[22:23], s[36:37]
	v_mov_b64_e32 v[24:25], s[38:39]
	ds_store_b128 v19, v[22:25]
	ds_store_b128 v21, v[22:25]
	s_and_saveexec_b32 s27, s30
	s_cbranch_execnz .LBB180_10
; %bb.6:                                ;   in Loop: Header=BB180_4 Depth=1
	s_or_b32 exec_lo, exec_lo, s27
	s_and_saveexec_b32 s2, s31
	s_cbranch_execnz .LBB180_11
.LBB180_7:                              ;   in Loop: Header=BB180_4 Depth=1
	s_or_b32 exec_lo, exec_lo, s2
	s_and_saveexec_b32 s2, s29
	s_cbranch_execnz .LBB180_12
.LBB180_8:                              ;   in Loop: Header=BB180_4 Depth=1
	s_or_b32 exec_lo, exec_lo, s2
	s_delay_alu instid0(SALU_CYCLE_1)
	s_and_b32 vcc_lo, exec_lo, s26
	s_cbranch_vccz .LBB180_13
.LBB180_9:                              ;   in Loop: Header=BB180_4 Depth=1
	s_and_b32 s2, s0, exec_lo
	s_cbranch_execz .LBB180_14
	s_branch .LBB180_15
.LBB180_10:                             ;   in Loop: Header=BB180_4 Depth=1
	s_add_nc_u64 s[2:3], s[12:13], s[2:3]
	global_load_b64 v[22:23], v9, s[2:3]
	s_wait_loadcnt 0x0
	v_add_nc_u64_e32 v[22:23], s[4:5], v[22:23]
	s_delay_alu instid0(VALU_DEP_1) | instskip(NEXT) | instid1(VALU_DEP_1)
	v_lshl_add_u64 v[22:23], v[10:11], 4, v[22:23]
	v_add_nc_u64_e32 v[22:23], v[22:23], v[8:9]
	flat_load_b128 v[22:25], v[22:23]
	s_wait_loadcnt_dscnt 0x0
	ds_store_2addr_b64 v19, v[22:23], v[24:25] offset1:1
	s_wait_xcnt 0x0
	s_or_b32 exec_lo, exec_lo, s27
	s_and_saveexec_b32 s2, s31
	s_cbranch_execz .LBB180_7
.LBB180_11:                             ;   in Loop: Header=BB180_4 Depth=1
	s_wait_loadcnt 0x1
	v_add_nc_u64_e32 v[2:3], s[14:15], v[2:3]
	s_delay_alu instid0(VALU_DEP_1) | instskip(NEXT) | instid1(VALU_DEP_1)
	v_add_nc_u64_e32 v[2:3], s[16:17], v[2:3]
	v_lshl_add_u64 v[2:3], v[12:13], 4, v[2:3]
	s_delay_alu instid0(VALU_DEP_1)
	v_add_nc_u64_e32 v[2:3], v[2:3], v[8:9]
	flat_load_b128 v[22:25], v[2:3]
	s_wait_loadcnt_dscnt 0x0
	ds_store_2addr_b64 v21, v[22:23], v[24:25] offset1:1
	s_wait_xcnt 0x0
	s_or_b32 exec_lo, exec_lo, s2
	s_and_saveexec_b32 s2, s29
	s_cbranch_execz .LBB180_8
.LBB180_12:                             ;   in Loop: Header=BB180_4 Depth=1
	s_wait_loadcnt 0x1
	v_dual_mov_b32 v0, v9 :: v_dual_mov_b32 v2, v9
	v_mov_b32_e32 v3, v9
	ds_store_b128 v19, v[0:3]
	s_or_b32 exec_lo, exec_lo, s2
	s_delay_alu instid0(SALU_CYCLE_1)
	s_and_b32 vcc_lo, exec_lo, s26
	s_cbranch_vccnz .LBB180_9
.LBB180_13:                             ;   in Loop: Header=BB180_4 Depth=1
	s_mov_b32 s2, 0
.LBB180_14:                             ;   in Loop: Header=BB180_4 Depth=1
	s_delay_alu instid0(SALU_CYCLE_1) | instskip(SKIP_1) | instid1(SALU_CYCLE_1)
	s_and_not1_b32 s2, s2, exec_lo
	s_and_b32 s3, s1, exec_lo
	s_or_b32 s2, s2, s3
.LBB180_15:                             ;   in Loop: Header=BB180_4 Depth=1
	s_delay_alu instid0(SALU_CYCLE_1)
	s_and_saveexec_b32 s3, s2
; %bb.16:                               ;   in Loop: Header=BB180_4 Depth=1
	v_dual_mov_b32 v22, v9 :: v_dual_mov_b32 v23, v9
	v_dual_mov_b32 v24, v9 :: v_dual_mov_b32 v25, v9
	ds_store_b128 v19, v[22:25]
; %bb.17:                               ;   in Loop: Header=BB180_4 Depth=1
	s_or_b32 exec_lo, exec_lo, s3
	s_wait_loadcnt_dscnt 0x0
	s_barrier_signal -1
	s_barrier_wait -1
	s_and_saveexec_b32 s2, s31
	s_cbranch_execz .LBB180_2
; %bb.18:                               ;   in Loop: Header=BB180_4 Depth=1
	ds_load_b128 v[22:25], v18
	ds_load_b128 v[26:29], v20
	ds_load_b128 v[30:33], v20 offset:16
	ds_load_b128 v[34:37], v18 offset:256
	;; [unrolled: 1-line block ×6, first 2 shown]
	s_wait_dscnt 0x6
	v_mul_f64_e32 v[2:3], v[26:27], v[24:25]
	v_mul_f64_e32 v[24:25], v[28:29], v[24:25]
	s_wait_dscnt 0x4
	v_mul_f64_e32 v[54:55], v[30:31], v[36:37]
	s_wait_dscnt 0x2
	v_mul_f64_e32 v[56:57], v[42:43], v[40:41]
	s_wait_dscnt 0x0
	v_mul_f64_e32 v[58:59], v[46:47], v[52:53]
	v_mul_f64_e32 v[40:41], v[44:45], v[40:41]
	;; [unrolled: 1-line block ×3, first 2 shown]
	v_fmac_f64_e32 v[2:3], v[28:29], v[22:23]
	v_mul_f64_e32 v[28:29], v[32:33], v[36:37]
	v_fmac_f64_e32 v[54:55], v[32:33], v[34:35]
	v_fma_f64 v[22:23], v[26:27], v[22:23], -v[24:25]
	v_fmac_f64_e32 v[56:57], v[44:45], v[38:39]
	v_fmac_f64_e32 v[58:59], v[48:49], v[50:51]
	v_fma_f64 v[38:39], v[42:43], v[38:39], -v[40:41]
	v_add_f64_e32 v[2:3], 0, v[2:3]
	v_fma_f64 v[44:45], v[30:31], v[34:35], -v[28:29]
	v_add_f64_e32 v[60:61], 0, v[22:23]
	ds_load_b128 v[22:25], v18 offset:1024
	ds_load_b128 v[26:29], v20 offset:64
	;; [unrolled: 1-line block ×4, first 2 shown]
	v_add_f64_e32 v[2:3], v[2:3], v[54:55]
	s_wait_dscnt 0x2
	v_mul_f64_e32 v[54:55], v[26:27], v[24:25]
	v_mul_f64_e32 v[24:25], v[28:29], v[24:25]
	v_add_f64_e32 v[40:41], v[60:61], v[44:45]
	s_delay_alu instid0(VALU_DEP_4)
	v_add_f64_e32 v[2:3], v[2:3], v[56:57]
	s_wait_dscnt 0x0
	v_mul_f64_e32 v[56:57], v[30:31], v[36:37]
	v_fmac_f64_e32 v[54:55], v[28:29], v[22:23]
	v_fma_f64 v[28:29], v[46:47], v[50:51], -v[52:53]
	v_add_f64_e32 v[60:61], v[40:41], v[38:39]
	ds_load_b128 v[38:41], v18 offset:1536
	ds_load_b128 v[42:45], v20 offset:96
	ds_load_b128 v[46:49], v20 offset:112
	ds_load_b128 v[50:53], v18 offset:1792
	v_mul_f64_e32 v[36:37], v[32:33], v[36:37]
	v_fma_f64 v[22:23], v[26:27], v[22:23], -v[24:25]
	v_add_f64_e32 v[2:3], v[2:3], v[58:59]
	s_wait_dscnt 0x2
	v_mul_f64_e32 v[58:59], v[42:43], v[40:41]
	v_fmac_f64_e32 v[56:57], v[32:33], v[34:35]
	v_mul_f64_e32 v[40:41], v[44:45], v[40:41]
	v_add_f64_e32 v[24:25], v[60:61], v[28:29]
	v_add_f64_e32 v[2:3], v[2:3], v[54:55]
	s_wait_dscnt 0x0
	v_mul_f64_e32 v[54:55], v[46:47], v[52:53]
	v_fmac_f64_e32 v[58:59], v[44:45], v[38:39]
	v_fma_f64 v[44:45], v[30:31], v[34:35], -v[36:37]
	v_add_f64_e32 v[60:61], v[24:25], v[22:23]
	ds_load_b128 v[22:25], v18 offset:2048
	ds_load_b128 v[26:29], v20 offset:128
	ds_load_b128 v[30:33], v20 offset:144
	ds_load_b128 v[34:37], v18 offset:2304
	v_mul_f64_e32 v[52:53], v[48:49], v[52:53]
	v_fma_f64 v[38:39], v[42:43], v[38:39], -v[40:41]
	v_add_f64_e32 v[2:3], v[2:3], v[56:57]
	s_wait_dscnt 0x2
	v_mul_f64_e32 v[56:57], v[26:27], v[24:25]
	v_fmac_f64_e32 v[54:55], v[48:49], v[50:51]
	v_mul_f64_e32 v[24:25], v[28:29], v[24:25]
	v_add_f64_e32 v[40:41], v[60:61], v[44:45]
	;; [unrolled: 18-line block ×4, first 2 shown]
	v_add_f64_e32 v[2:3], v[2:3], v[54:55]
	s_wait_dscnt 0x0
	v_mul_f64_e32 v[54:55], v[30:31], v[36:37]
	v_fmac_f64_e32 v[58:59], v[28:29], v[22:23]
	v_fma_f64 v[28:29], v[46:47], v[50:51], -v[52:53]
	v_add_f64_e32 v[60:61], v[40:41], v[38:39]
	ds_load_b128 v[38:41], v18 offset:3584
	ds_load_b128 v[42:45], v20 offset:224
	;; [unrolled: 1-line block ×4, first 2 shown]
	v_mul_f64_e32 v[36:37], v[32:33], v[36:37]
	v_fma_f64 v[22:23], v[26:27], v[22:23], -v[24:25]
	s_wait_dscnt 0x0
	v_mul_f64_e32 v[26:27], v[46:47], v[52:53]
	v_add_f64_e32 v[2:3], v[2:3], v[56:57]
	v_mul_f64_e32 v[56:57], v[42:43], v[40:41]
	v_fmac_f64_e32 v[54:55], v[32:33], v[34:35]
	v_add_f64_e32 v[24:25], v[60:61], v[28:29]
	v_mul_f64_e32 v[28:29], v[44:45], v[40:41]
	v_fma_f64 v[30:31], v[30:31], v[34:35], -v[36:37]
	v_fmac_f64_e32 v[26:27], v[48:49], v[50:51]
	v_add_f64_e32 v[2:3], v[2:3], v[58:59]
	v_fmac_f64_e32 v[56:57], v[44:45], v[38:39]
	v_add_f64_e32 v[22:23], v[24:25], v[22:23]
	v_mul_f64_e32 v[24:25], v[48:49], v[52:53]
	v_fma_f64 v[28:29], v[42:43], v[38:39], -v[28:29]
	v_add_f64_e32 v[2:3], v[2:3], v[54:55]
	s_delay_alu instid0(VALU_DEP_4) | instskip(NEXT) | instid1(VALU_DEP_4)
	v_add_f64_e32 v[22:23], v[22:23], v[30:31]
	v_fma_f64 v[24:25], v[46:47], v[50:51], -v[24:25]
	s_delay_alu instid0(VALU_DEP_3) | instskip(NEXT) | instid1(VALU_DEP_3)
	v_add_f64_e32 v[2:3], v[2:3], v[56:57]
	v_add_f64_e32 v[22:23], v[22:23], v[28:29]
	s_delay_alu instid0(VALU_DEP_2) | instskip(NEXT) | instid1(VALU_DEP_2)
	v_add_f64_e32 v[2:3], v[2:3], v[26:27]
	v_add_f64_e32 v[22:23], v[22:23], v[24:25]
	s_delay_alu instid0(VALU_DEP_2) | instskip(SKIP_1) | instid1(VALU_DEP_2)
	v_mul_f64_e32 v[24:25], v[4:5], v[2:3]
	v_mul_f64_e32 v[2:3], v[6:7], v[2:3]
	v_fmac_f64_e32 v[24:25], v[6:7], v[22:23]
	s_delay_alu instid0(VALU_DEP_2) | instskip(SKIP_1) | instid1(VALU_DEP_1)
	v_fma_f64 v[22:23], v[4:5], v[22:23], -v[2:3]
	v_add_nc_u64_e32 v[2:3], s[20:21], v[16:17]
	v_add_nc_u64_e32 v[2:3], s[22:23], v[2:3]
	s_delay_alu instid0(VALU_DEP_1) | instskip(NEXT) | instid1(VALU_DEP_1)
	v_lshl_add_u64 v[2:3], v[14:15], 4, v[2:3]
	v_add_nc_u64_e32 v[2:3], v[2:3], v[8:9]
	flat_store_b128 v[2:3], v[22:25]
	s_branch .LBB180_2
.LBB180_19:
	s_endpgm
	.section	.rodata,"a",@progbits
	.p2align	6, 0x0
	.amdhsa_kernel _ZL23rocblas_trmm_lNx_kernelILi16E19rocblas_complex_numIdEPKS1_KS3_KPS1_Ev13rocblas_fill_17rocblas_diagonal_iiT1_lPT2_llSB_llPT3_lli
		.amdhsa_group_segment_fixed_size 8192
		.amdhsa_private_segment_fixed_size 0
		.amdhsa_kernarg_size 108
		.amdhsa_user_sgpr_count 2
		.amdhsa_user_sgpr_dispatch_ptr 0
		.amdhsa_user_sgpr_queue_ptr 0
		.amdhsa_user_sgpr_kernarg_segment_ptr 1
		.amdhsa_user_sgpr_dispatch_id 0
		.amdhsa_user_sgpr_kernarg_preload_length 0
		.amdhsa_user_sgpr_kernarg_preload_offset 0
		.amdhsa_user_sgpr_private_segment_size 0
		.amdhsa_wavefront_size32 1
		.amdhsa_uses_dynamic_stack 0
		.amdhsa_enable_private_segment 0
		.amdhsa_system_sgpr_workgroup_id_x 1
		.amdhsa_system_sgpr_workgroup_id_y 0
		.amdhsa_system_sgpr_workgroup_id_z 1
		.amdhsa_system_sgpr_workgroup_info 0
		.amdhsa_system_vgpr_workitem_id 1
		.amdhsa_next_free_vgpr 62
		.amdhsa_next_free_sgpr 40
		.amdhsa_named_barrier_count 0
		.amdhsa_reserve_vcc 1
		.amdhsa_float_round_mode_32 0
		.amdhsa_float_round_mode_16_64 0
		.amdhsa_float_denorm_mode_32 3
		.amdhsa_float_denorm_mode_16_64 3
		.amdhsa_fp16_overflow 0
		.amdhsa_memory_ordered 1
		.amdhsa_forward_progress 1
		.amdhsa_inst_pref_size 14
		.amdhsa_round_robin_scheduling 0
		.amdhsa_exception_fp_ieee_invalid_op 0
		.amdhsa_exception_fp_denorm_src 0
		.amdhsa_exception_fp_ieee_div_zero 0
		.amdhsa_exception_fp_ieee_overflow 0
		.amdhsa_exception_fp_ieee_underflow 0
		.amdhsa_exception_fp_ieee_inexact 0
		.amdhsa_exception_int_div_zero 0
	.end_amdhsa_kernel
	.section	.text._ZL23rocblas_trmm_lNx_kernelILi16E19rocblas_complex_numIdEPKS1_KS3_KPS1_Ev13rocblas_fill_17rocblas_diagonal_iiT1_lPT2_llSB_llPT3_lli,"axG",@progbits,_ZL23rocblas_trmm_lNx_kernelILi16E19rocblas_complex_numIdEPKS1_KS3_KPS1_Ev13rocblas_fill_17rocblas_diagonal_iiT1_lPT2_llSB_llPT3_lli,comdat
.Lfunc_end180:
	.size	_ZL23rocblas_trmm_lNx_kernelILi16E19rocblas_complex_numIdEPKS1_KS3_KPS1_Ev13rocblas_fill_17rocblas_diagonal_iiT1_lPT2_llSB_llPT3_lli, .Lfunc_end180-_ZL23rocblas_trmm_lNx_kernelILi16E19rocblas_complex_numIdEPKS1_KS3_KPS1_Ev13rocblas_fill_17rocblas_diagonal_iiT1_lPT2_llSB_llPT3_lli
                                        ; -- End function
	.set _ZL23rocblas_trmm_lNx_kernelILi16E19rocblas_complex_numIdEPKS1_KS3_KPS1_Ev13rocblas_fill_17rocblas_diagonal_iiT1_lPT2_llSB_llPT3_lli.num_vgpr, 62
	.set _ZL23rocblas_trmm_lNx_kernelILi16E19rocblas_complex_numIdEPKS1_KS3_KPS1_Ev13rocblas_fill_17rocblas_diagonal_iiT1_lPT2_llSB_llPT3_lli.num_agpr, 0
	.set _ZL23rocblas_trmm_lNx_kernelILi16E19rocblas_complex_numIdEPKS1_KS3_KPS1_Ev13rocblas_fill_17rocblas_diagonal_iiT1_lPT2_llSB_llPT3_lli.numbered_sgpr, 40
	.set _ZL23rocblas_trmm_lNx_kernelILi16E19rocblas_complex_numIdEPKS1_KS3_KPS1_Ev13rocblas_fill_17rocblas_diagonal_iiT1_lPT2_llSB_llPT3_lli.num_named_barrier, 0
	.set _ZL23rocblas_trmm_lNx_kernelILi16E19rocblas_complex_numIdEPKS1_KS3_KPS1_Ev13rocblas_fill_17rocblas_diagonal_iiT1_lPT2_llSB_llPT3_lli.private_seg_size, 0
	.set _ZL23rocblas_trmm_lNx_kernelILi16E19rocblas_complex_numIdEPKS1_KS3_KPS1_Ev13rocblas_fill_17rocblas_diagonal_iiT1_lPT2_llSB_llPT3_lli.uses_vcc, 1
	.set _ZL23rocblas_trmm_lNx_kernelILi16E19rocblas_complex_numIdEPKS1_KS3_KPS1_Ev13rocblas_fill_17rocblas_diagonal_iiT1_lPT2_llSB_llPT3_lli.uses_flat_scratch, 0
	.set _ZL23rocblas_trmm_lNx_kernelILi16E19rocblas_complex_numIdEPKS1_KS3_KPS1_Ev13rocblas_fill_17rocblas_diagonal_iiT1_lPT2_llSB_llPT3_lli.has_dyn_sized_stack, 0
	.set _ZL23rocblas_trmm_lNx_kernelILi16E19rocblas_complex_numIdEPKS1_KS3_KPS1_Ev13rocblas_fill_17rocblas_diagonal_iiT1_lPT2_llSB_llPT3_lli.has_recursion, 0
	.set _ZL23rocblas_trmm_lNx_kernelILi16E19rocblas_complex_numIdEPKS1_KS3_KPS1_Ev13rocblas_fill_17rocblas_diagonal_iiT1_lPT2_llSB_llPT3_lli.has_indirect_call, 0
	.section	.AMDGPU.csdata,"",@progbits
; Kernel info:
; codeLenInByte = 1748
; TotalNumSgprs: 42
; NumVgprs: 62
; ScratchSize: 0
; MemoryBound: 0
; FloatMode: 240
; IeeeMode: 1
; LDSByteSize: 8192 bytes/workgroup (compile time only)
; SGPRBlocks: 0
; VGPRBlocks: 3
; NumSGPRsForWavesPerEU: 42
; NumVGPRsForWavesPerEU: 62
; NamedBarCnt: 0
; Occupancy: 16
; WaveLimiterHint : 1
; COMPUTE_PGM_RSRC2:SCRATCH_EN: 0
; COMPUTE_PGM_RSRC2:USER_SGPR: 2
; COMPUTE_PGM_RSRC2:TRAP_HANDLER: 0
; COMPUTE_PGM_RSRC2:TGID_X_EN: 1
; COMPUTE_PGM_RSRC2:TGID_Y_EN: 0
; COMPUTE_PGM_RSRC2:TGID_Z_EN: 1
; COMPUTE_PGM_RSRC2:TIDIG_COMP_CNT: 1
	.section	.text._ZL23rocblas_trmm_lNx_kernelILi16E19rocblas_complex_numIdES1_KPKS1_KPS1_Ev13rocblas_fill_17rocblas_diagonal_iiT1_lPT2_llSB_llPT3_lli,"axG",@progbits,_ZL23rocblas_trmm_lNx_kernelILi16E19rocblas_complex_numIdES1_KPKS1_KPS1_Ev13rocblas_fill_17rocblas_diagonal_iiT1_lPT2_llSB_llPT3_lli,comdat
	.globl	_ZL23rocblas_trmm_lNx_kernelILi16E19rocblas_complex_numIdES1_KPKS1_KPS1_Ev13rocblas_fill_17rocblas_diagonal_iiT1_lPT2_llSB_llPT3_lli ; -- Begin function _ZL23rocblas_trmm_lNx_kernelILi16E19rocblas_complex_numIdES1_KPKS1_KPS1_Ev13rocblas_fill_17rocblas_diagonal_iiT1_lPT2_llSB_llPT3_lli
	.p2align	8
	.type	_ZL23rocblas_trmm_lNx_kernelILi16E19rocblas_complex_numIdES1_KPKS1_KPS1_Ev13rocblas_fill_17rocblas_diagonal_iiT1_lPT2_llSB_llPT3_lli,@function
_ZL23rocblas_trmm_lNx_kernelILi16E19rocblas_complex_numIdES1_KPKS1_KPS1_Ev13rocblas_fill_17rocblas_diagonal_iiT1_lPT2_llSB_llPT3_lli: ; @_ZL23rocblas_trmm_lNx_kernelILi16E19rocblas_complex_numIdES1_KPKS1_KPS1_Ev13rocblas_fill_17rocblas_diagonal_iiT1_lPT2_llSB_llPT3_lli
; %bb.0:
	s_load_b32 s33, s[0:1], 0x70
	s_bfe_u32 s2, ttmp6, 0x40014
	s_lshr_b32 s3, ttmp7, 16
	s_add_co_i32 s2, s2, 1
	s_bfe_u32 s5, ttmp6, 0x40008
	s_mul_i32 s4, s3, s2
	s_getreg_b32 s2, hwreg(HW_REG_IB_STS2, 6, 4)
	s_add_co_i32 s5, s5, s4
	s_cmp_eq_u32 s2, 0
	s_mov_b32 s36, 0
	s_cselect_b32 s6, s3, s5
	s_wait_kmcnt 0x0
	s_cmp_ge_u32 s6, s33
	s_cbranch_scc1 .LBB181_19
; %bb.1:
	s_clause 0x2
	s_load_b256 s[24:31], s[0:1], 0x0
	s_load_b512 s[8:23], s[0:1], 0x28
	s_load_b64 s[34:35], s[0:1], 0x68
	s_wait_xcnt 0x0
	s_bfe_u32 s0, ttmp6, 0x4000c
	v_bfe_u32 v4, v0, 10, 10
	v_mov_b32_e32 v5, 0
	s_add_co_i32 s0, s0, 1
	s_and_b32 s5, ttmp6, 15
	s_mul_i32 s7, ttmp9, s0
	v_lshlrev_b32_e32 v2, 4, v4
	s_add_co_i32 s5, s5, s7
	v_and_b32_e32 v0, 0x3ff, v0
	v_mov_b32_e32 v1, 0x3ff00000
	v_lshl_add_u32 v15, v4, 8, 0x1000
	s_delay_alu instid0(VALU_DEP_3)
	v_cmp_eq_u32_e32 vcc_lo, v4, v0
	v_add_lshl_u32 v16, v2, v0, 4
	v_cmp_lt_u32_e64 s0, v0, v4
	v_cmp_gt_u32_e64 s1, v0, v4
	v_lshlrev_b32_e32 v14, 4, v0
	s_wait_kmcnt 0x0
	v_cmp_neq_f64_e64 s3, s[28:29], 0
	v_cmp_neq_f64_e64 s4, s[30:31], 0
	s_add_co_i32 s37, s27, -1
	v_mul_u64_e32 v[6:7], s[10:11], v[4:5]
	s_ashr_i32 s7, s37, 31
	v_mul_u64_e32 v[8:9], s[16:17], v[4:5]
	v_mul_u64_e32 v[10:11], s[22:23], v[4:5]
	s_lshr_b32 s7, s7, 28
	v_add_nc_u32_e32 v17, 0x1000, v16
	s_add_co_i32 s37, s37, s7
	s_delay_alu instid0(SALU_CYCLE_1)
	s_and_b32 s7, s37, -16
	s_ashr_i32 s10, s37, 4
	s_sub_co_i32 s7, s27, s7
	s_or_b32 s27, s3, s4
	s_cmp_eq_u32 s2, 0
	v_cmp_gt_i32_e64 s2, s26, v4
	s_cselect_b32 s5, ttmp9, s5
	v_cmp_gt_i32_e64 s3, s26, v0
	s_cmp_ge_i32 s5, s10
	s_cselect_b32 s4, s7, 16
	s_lshl_b32 s10, s5, 4
	v_cmp_gt_i32_e64 s4, s4, v4
	s_and_b32 s26, s2, s3
	s_ashr_i32 s11, s10, 31
	v_lshlrev_b32_e32 v4, 4, v0
	s_mul_u64 s[16:17], s[16:17], s[10:11]
	s_and_b32 s40, s3, s4
	s_cmp_eq_u32 s25, 0x84
	s_mul_u64 s[38:39], s[22:23], s[10:11]
	s_cselect_b32 s2, -1, 0
	s_delay_alu instid0(SALU_CYCLE_1)
	s_and_b32 s25, vcc_lo, s2
	s_cmp_lg_u32 s24, 0x79
	s_cselect_b32 s22, -1, 0
	s_lshl_b64 s[2:3], s[12:13], 4
	s_lshl_b64 s[4:5], s[18:19], 4
	;; [unrolled: 1-line block ×5, first 2 shown]
	s_branch .LBB181_4
.LBB181_2:                              ;   in Loop: Header=BB181_4 Depth=1
	s_wait_xcnt 0x0
	s_or_b32 exec_lo, exec_lo, s7
.LBB181_3:                              ;   in Loop: Header=BB181_4 Depth=1
	s_add_co_i32 s6, s6, 0x10000
	s_delay_alu instid0(SALU_CYCLE_1)
	s_cmp_lt_u32 s6, s33
	s_cbranch_scc0 .LBB181_19
.LBB181_4:                              ; =>This Inner Loop Header: Depth=1
	s_and_not1_b32 vcc_lo, exec_lo, s27
	s_cbranch_vccnz .LBB181_3
; %bb.5:                                ;   in Loop: Header=BB181_4 Depth=1
	v_mov_b32_e32 v0, s6
	s_mov_b32 s37, s36
	s_mov_b32 s38, s36
	;; [unrolled: 1-line block ×3, first 2 shown]
	v_mov_b64_e32 v[18:19], s[36:37]
	s_clause 0x1
	global_load_b64 v[2:3], v0, s[14:15] scale_offset
	global_load_b64 v[12:13], v0, s[20:21] scale_offset
	v_mov_b64_e32 v[20:21], s[38:39]
	ds_store_b128 v16, v[18:21]
	ds_store_b128 v17, v[18:21]
	s_wait_xcnt 0x0
	s_and_saveexec_b32 s18, s26
	s_cbranch_execnz .LBB181_10
; %bb.6:                                ;   in Loop: Header=BB181_4 Depth=1
	s_or_b32 exec_lo, exec_lo, s18
	s_and_saveexec_b32 s7, s40
	s_cbranch_execnz .LBB181_11
.LBB181_7:                              ;   in Loop: Header=BB181_4 Depth=1
	s_or_b32 exec_lo, exec_lo, s7
	s_and_saveexec_b32 s7, s25
	s_cbranch_execnz .LBB181_12
.LBB181_8:                              ;   in Loop: Header=BB181_4 Depth=1
	s_or_b32 exec_lo, exec_lo, s7
	s_delay_alu instid0(SALU_CYCLE_1)
	s_and_b32 vcc_lo, exec_lo, s22
	s_cbranch_vccz .LBB181_13
.LBB181_9:                              ;   in Loop: Header=BB181_4 Depth=1
	s_and_b32 s7, s0, exec_lo
	s_cbranch_execz .LBB181_14
	s_branch .LBB181_15
.LBB181_10:                             ;   in Loop: Header=BB181_4 Depth=1
	s_mov_b32 s7, s36
	s_delay_alu instid0(SALU_CYCLE_1) | instskip(NEXT) | instid1(SALU_CYCLE_1)
	s_lshl_b64 s[34:35], s[6:7], 3
	s_add_nc_u64 s[34:35], s[8:9], s[34:35]
	global_load_b64 v[18:19], v5, s[34:35]
	s_wait_loadcnt 0x0
	v_add_nc_u64_e32 v[18:19], s[2:3], v[18:19]
	s_delay_alu instid0(VALU_DEP_1) | instskip(NEXT) | instid1(VALU_DEP_1)
	v_lshl_add_u64 v[18:19], v[6:7], 4, v[18:19]
	v_add_nc_u64_e32 v[18:19], v[18:19], v[4:5]
	flat_load_b128 v[18:21], v[18:19]
	s_wait_loadcnt_dscnt 0x0
	ds_store_2addr_b64 v16, v[18:19], v[20:21] offset1:1
	s_wait_xcnt 0x0
	s_or_b32 exec_lo, exec_lo, s18
	s_and_saveexec_b32 s7, s40
	s_cbranch_execz .LBB181_7
.LBB181_11:                             ;   in Loop: Header=BB181_4 Depth=1
	s_wait_loadcnt 0x1
	v_add_nc_u64_e32 v[2:3], s[4:5], v[2:3]
	s_delay_alu instid0(VALU_DEP_1) | instskip(NEXT) | instid1(VALU_DEP_1)
	v_add_nc_u64_e32 v[2:3], s[10:11], v[2:3]
	v_lshl_add_u64 v[2:3], v[8:9], 4, v[2:3]
	s_delay_alu instid0(VALU_DEP_1)
	v_add_nc_u64_e32 v[2:3], v[2:3], v[4:5]
	flat_load_b128 v[18:21], v[2:3]
	s_wait_loadcnt_dscnt 0x0
	ds_store_2addr_b64 v17, v[18:19], v[20:21] offset1:1
	s_wait_xcnt 0x0
	s_or_b32 exec_lo, exec_lo, s7
	s_and_saveexec_b32 s7, s25
	s_cbranch_execz .LBB181_8
.LBB181_12:                             ;   in Loop: Header=BB181_4 Depth=1
	s_wait_loadcnt 0x1
	v_dual_mov_b32 v0, v5 :: v_dual_mov_b32 v2, v5
	v_mov_b32_e32 v3, v5
	ds_store_b128 v16, v[0:3]
	s_or_b32 exec_lo, exec_lo, s7
	s_delay_alu instid0(SALU_CYCLE_1)
	s_and_b32 vcc_lo, exec_lo, s22
	s_cbranch_vccnz .LBB181_9
.LBB181_13:                             ;   in Loop: Header=BB181_4 Depth=1
	s_mov_b32 s7, 0
.LBB181_14:                             ;   in Loop: Header=BB181_4 Depth=1
	s_delay_alu instid0(SALU_CYCLE_1) | instskip(SKIP_1) | instid1(SALU_CYCLE_1)
	s_and_not1_b32 s7, s7, exec_lo
	s_and_b32 s18, s1, exec_lo
	s_or_b32 s7, s7, s18
.LBB181_15:                             ;   in Loop: Header=BB181_4 Depth=1
	s_delay_alu instid0(SALU_CYCLE_1)
	s_and_saveexec_b32 s18, s7
; %bb.16:                               ;   in Loop: Header=BB181_4 Depth=1
	v_dual_mov_b32 v18, v5 :: v_dual_mov_b32 v19, v5
	v_dual_mov_b32 v20, v5 :: v_dual_mov_b32 v21, v5
	ds_store_b128 v16, v[18:21]
; %bb.17:                               ;   in Loop: Header=BB181_4 Depth=1
	s_or_b32 exec_lo, exec_lo, s18
	s_wait_loadcnt_dscnt 0x0
	s_barrier_signal -1
	s_barrier_wait -1
	s_and_saveexec_b32 s7, s40
	s_cbranch_execz .LBB181_2
; %bb.18:                               ;   in Loop: Header=BB181_4 Depth=1
	ds_load_b128 v[18:21], v14
	ds_load_b128 v[22:25], v15
	ds_load_b128 v[26:29], v15 offset:16
	ds_load_b128 v[30:33], v14 offset:256
	;; [unrolled: 1-line block ×6, first 2 shown]
	s_wait_dscnt 0x6
	v_mul_f64_e32 v[2:3], v[22:23], v[20:21]
	v_mul_f64_e32 v[20:21], v[24:25], v[20:21]
	s_wait_dscnt 0x4
	v_mul_f64_e32 v[50:51], v[26:27], v[32:33]
	s_wait_dscnt 0x2
	;; [unrolled: 2-line block ×3, first 2 shown]
	v_mul_f64_e32 v[54:55], v[42:43], v[48:49]
	v_mul_f64_e32 v[36:37], v[40:41], v[36:37]
	;; [unrolled: 1-line block ×3, first 2 shown]
	v_fmac_f64_e32 v[2:3], v[24:25], v[18:19]
	v_mul_f64_e32 v[24:25], v[28:29], v[32:33]
	v_fmac_f64_e32 v[50:51], v[28:29], v[30:31]
	v_fma_f64 v[18:19], v[22:23], v[18:19], -v[20:21]
	v_fmac_f64_e32 v[52:53], v[40:41], v[34:35]
	v_fmac_f64_e32 v[54:55], v[44:45], v[46:47]
	v_fma_f64 v[34:35], v[38:39], v[34:35], -v[36:37]
	v_add_f64_e32 v[2:3], 0, v[2:3]
	v_fma_f64 v[40:41], v[26:27], v[30:31], -v[24:25]
	v_add_f64_e32 v[56:57], 0, v[18:19]
	ds_load_b128 v[18:21], v14 offset:1024
	ds_load_b128 v[22:25], v15 offset:64
	;; [unrolled: 1-line block ×4, first 2 shown]
	v_add_f64_e32 v[2:3], v[2:3], v[50:51]
	s_wait_dscnt 0x2
	v_mul_f64_e32 v[50:51], v[22:23], v[20:21]
	v_mul_f64_e32 v[20:21], v[24:25], v[20:21]
	v_add_f64_e32 v[36:37], v[56:57], v[40:41]
	s_delay_alu instid0(VALU_DEP_4)
	v_add_f64_e32 v[2:3], v[2:3], v[52:53]
	s_wait_dscnt 0x0
	v_mul_f64_e32 v[52:53], v[26:27], v[32:33]
	v_fmac_f64_e32 v[50:51], v[24:25], v[18:19]
	v_fma_f64 v[24:25], v[42:43], v[46:47], -v[48:49]
	v_add_f64_e32 v[56:57], v[36:37], v[34:35]
	ds_load_b128 v[34:37], v14 offset:1536
	ds_load_b128 v[38:41], v15 offset:96
	ds_load_b128 v[42:45], v15 offset:112
	ds_load_b128 v[46:49], v14 offset:1792
	v_mul_f64_e32 v[32:33], v[28:29], v[32:33]
	v_fma_f64 v[18:19], v[22:23], v[18:19], -v[20:21]
	v_add_f64_e32 v[2:3], v[2:3], v[54:55]
	s_wait_dscnt 0x2
	v_mul_f64_e32 v[54:55], v[38:39], v[36:37]
	v_fmac_f64_e32 v[52:53], v[28:29], v[30:31]
	v_mul_f64_e32 v[36:37], v[40:41], v[36:37]
	v_add_f64_e32 v[20:21], v[56:57], v[24:25]
	v_add_f64_e32 v[2:3], v[2:3], v[50:51]
	s_wait_dscnt 0x0
	v_mul_f64_e32 v[50:51], v[42:43], v[48:49]
	v_fmac_f64_e32 v[54:55], v[40:41], v[34:35]
	v_fma_f64 v[40:41], v[26:27], v[30:31], -v[32:33]
	v_add_f64_e32 v[56:57], v[20:21], v[18:19]
	ds_load_b128 v[18:21], v14 offset:2048
	ds_load_b128 v[22:25], v15 offset:128
	ds_load_b128 v[26:29], v15 offset:144
	ds_load_b128 v[30:33], v14 offset:2304
	v_mul_f64_e32 v[48:49], v[44:45], v[48:49]
	v_fma_f64 v[34:35], v[38:39], v[34:35], -v[36:37]
	v_add_f64_e32 v[2:3], v[2:3], v[52:53]
	s_wait_dscnt 0x2
	v_mul_f64_e32 v[52:53], v[22:23], v[20:21]
	v_fmac_f64_e32 v[50:51], v[44:45], v[46:47]
	v_mul_f64_e32 v[20:21], v[24:25], v[20:21]
	v_add_f64_e32 v[36:37], v[56:57], v[40:41]
	;; [unrolled: 18-line block ×4, first 2 shown]
	v_add_f64_e32 v[2:3], v[2:3], v[50:51]
	s_wait_dscnt 0x0
	v_mul_f64_e32 v[50:51], v[26:27], v[32:33]
	v_fmac_f64_e32 v[54:55], v[24:25], v[18:19]
	v_fma_f64 v[24:25], v[42:43], v[46:47], -v[48:49]
	v_add_f64_e32 v[56:57], v[36:37], v[34:35]
	ds_load_b128 v[34:37], v14 offset:3584
	ds_load_b128 v[38:41], v15 offset:224
	;; [unrolled: 1-line block ×4, first 2 shown]
	v_mul_f64_e32 v[32:33], v[28:29], v[32:33]
	v_fma_f64 v[18:19], v[22:23], v[18:19], -v[20:21]
	s_wait_dscnt 0x0
	v_mul_f64_e32 v[22:23], v[42:43], v[48:49]
	v_add_f64_e32 v[2:3], v[2:3], v[52:53]
	v_mul_f64_e32 v[52:53], v[38:39], v[36:37]
	v_fmac_f64_e32 v[50:51], v[28:29], v[30:31]
	v_add_f64_e32 v[20:21], v[56:57], v[24:25]
	v_mul_f64_e32 v[24:25], v[40:41], v[36:37]
	v_fma_f64 v[26:27], v[26:27], v[30:31], -v[32:33]
	v_fmac_f64_e32 v[22:23], v[44:45], v[46:47]
	v_add_f64_e32 v[2:3], v[2:3], v[54:55]
	v_fmac_f64_e32 v[52:53], v[40:41], v[34:35]
	v_add_f64_e32 v[18:19], v[20:21], v[18:19]
	v_mul_f64_e32 v[20:21], v[44:45], v[48:49]
	v_fma_f64 v[24:25], v[38:39], v[34:35], -v[24:25]
	v_add_f64_e32 v[2:3], v[2:3], v[50:51]
	s_delay_alu instid0(VALU_DEP_4) | instskip(NEXT) | instid1(VALU_DEP_4)
	v_add_f64_e32 v[18:19], v[18:19], v[26:27]
	v_fma_f64 v[20:21], v[42:43], v[46:47], -v[20:21]
	s_delay_alu instid0(VALU_DEP_3) | instskip(NEXT) | instid1(VALU_DEP_3)
	v_add_f64_e32 v[2:3], v[2:3], v[52:53]
	v_add_f64_e32 v[18:19], v[18:19], v[24:25]
	s_delay_alu instid0(VALU_DEP_2) | instskip(NEXT) | instid1(VALU_DEP_2)
	v_add_f64_e32 v[2:3], v[2:3], v[22:23]
	v_add_f64_e32 v[18:19], v[18:19], v[20:21]
	s_delay_alu instid0(VALU_DEP_2) | instskip(SKIP_1) | instid1(VALU_DEP_2)
	v_mul_f64_e32 v[20:21], s[28:29], v[2:3]
	v_mul_f64_e32 v[2:3], s[30:31], v[2:3]
	v_fmac_f64_e32 v[20:21], s[30:31], v[18:19]
	s_delay_alu instid0(VALU_DEP_2) | instskip(SKIP_1) | instid1(VALU_DEP_1)
	v_fma_f64 v[18:19], s[28:29], v[18:19], -v[2:3]
	v_add_nc_u64_e32 v[2:3], s[12:13], v[12:13]
	v_add_nc_u64_e32 v[2:3], s[16:17], v[2:3]
	s_delay_alu instid0(VALU_DEP_1) | instskip(NEXT) | instid1(VALU_DEP_1)
	v_lshl_add_u64 v[2:3], v[10:11], 4, v[2:3]
	v_add_nc_u64_e32 v[2:3], v[2:3], v[4:5]
	flat_store_b128 v[2:3], v[18:21]
	s_branch .LBB181_2
.LBB181_19:
	s_endpgm
	.section	.rodata,"a",@progbits
	.p2align	6, 0x0
	.amdhsa_kernel _ZL23rocblas_trmm_lNx_kernelILi16E19rocblas_complex_numIdES1_KPKS1_KPS1_Ev13rocblas_fill_17rocblas_diagonal_iiT1_lPT2_llSB_llPT3_lli
		.amdhsa_group_segment_fixed_size 8192
		.amdhsa_private_segment_fixed_size 0
		.amdhsa_kernarg_size 116
		.amdhsa_user_sgpr_count 2
		.amdhsa_user_sgpr_dispatch_ptr 0
		.amdhsa_user_sgpr_queue_ptr 0
		.amdhsa_user_sgpr_kernarg_segment_ptr 1
		.amdhsa_user_sgpr_dispatch_id 0
		.amdhsa_user_sgpr_kernarg_preload_length 0
		.amdhsa_user_sgpr_kernarg_preload_offset 0
		.amdhsa_user_sgpr_private_segment_size 0
		.amdhsa_wavefront_size32 1
		.amdhsa_uses_dynamic_stack 0
		.amdhsa_enable_private_segment 0
		.amdhsa_system_sgpr_workgroup_id_x 1
		.amdhsa_system_sgpr_workgroup_id_y 0
		.amdhsa_system_sgpr_workgroup_id_z 1
		.amdhsa_system_sgpr_workgroup_info 0
		.amdhsa_system_vgpr_workitem_id 1
		.amdhsa_next_free_vgpr 58
		.amdhsa_next_free_sgpr 41
		.amdhsa_named_barrier_count 0
		.amdhsa_reserve_vcc 1
		.amdhsa_float_round_mode_32 0
		.amdhsa_float_round_mode_16_64 0
		.amdhsa_float_denorm_mode_32 3
		.amdhsa_float_denorm_mode_16_64 3
		.amdhsa_fp16_overflow 0
		.amdhsa_memory_ordered 1
		.amdhsa_forward_progress 1
		.amdhsa_inst_pref_size 14
		.amdhsa_round_robin_scheduling 0
		.amdhsa_exception_fp_ieee_invalid_op 0
		.amdhsa_exception_fp_denorm_src 0
		.amdhsa_exception_fp_ieee_div_zero 0
		.amdhsa_exception_fp_ieee_overflow 0
		.amdhsa_exception_fp_ieee_underflow 0
		.amdhsa_exception_fp_ieee_inexact 0
		.amdhsa_exception_int_div_zero 0
	.end_amdhsa_kernel
	.section	.text._ZL23rocblas_trmm_lNx_kernelILi16E19rocblas_complex_numIdES1_KPKS1_KPS1_Ev13rocblas_fill_17rocblas_diagonal_iiT1_lPT2_llSB_llPT3_lli,"axG",@progbits,_ZL23rocblas_trmm_lNx_kernelILi16E19rocblas_complex_numIdES1_KPKS1_KPS1_Ev13rocblas_fill_17rocblas_diagonal_iiT1_lPT2_llSB_llPT3_lli,comdat
.Lfunc_end181:
	.size	_ZL23rocblas_trmm_lNx_kernelILi16E19rocblas_complex_numIdES1_KPKS1_KPS1_Ev13rocblas_fill_17rocblas_diagonal_iiT1_lPT2_llSB_llPT3_lli, .Lfunc_end181-_ZL23rocblas_trmm_lNx_kernelILi16E19rocblas_complex_numIdES1_KPKS1_KPS1_Ev13rocblas_fill_17rocblas_diagonal_iiT1_lPT2_llSB_llPT3_lli
                                        ; -- End function
	.set _ZL23rocblas_trmm_lNx_kernelILi16E19rocblas_complex_numIdES1_KPKS1_KPS1_Ev13rocblas_fill_17rocblas_diagonal_iiT1_lPT2_llSB_llPT3_lli.num_vgpr, 58
	.set _ZL23rocblas_trmm_lNx_kernelILi16E19rocblas_complex_numIdES1_KPKS1_KPS1_Ev13rocblas_fill_17rocblas_diagonal_iiT1_lPT2_llSB_llPT3_lli.num_agpr, 0
	.set _ZL23rocblas_trmm_lNx_kernelILi16E19rocblas_complex_numIdES1_KPKS1_KPS1_Ev13rocblas_fill_17rocblas_diagonal_iiT1_lPT2_llSB_llPT3_lli.numbered_sgpr, 41
	.set _ZL23rocblas_trmm_lNx_kernelILi16E19rocblas_complex_numIdES1_KPKS1_KPS1_Ev13rocblas_fill_17rocblas_diagonal_iiT1_lPT2_llSB_llPT3_lli.num_named_barrier, 0
	.set _ZL23rocblas_trmm_lNx_kernelILi16E19rocblas_complex_numIdES1_KPKS1_KPS1_Ev13rocblas_fill_17rocblas_diagonal_iiT1_lPT2_llSB_llPT3_lli.private_seg_size, 0
	.set _ZL23rocblas_trmm_lNx_kernelILi16E19rocblas_complex_numIdES1_KPKS1_KPS1_Ev13rocblas_fill_17rocblas_diagonal_iiT1_lPT2_llSB_llPT3_lli.uses_vcc, 1
	.set _ZL23rocblas_trmm_lNx_kernelILi16E19rocblas_complex_numIdES1_KPKS1_KPS1_Ev13rocblas_fill_17rocblas_diagonal_iiT1_lPT2_llSB_llPT3_lli.uses_flat_scratch, 0
	.set _ZL23rocblas_trmm_lNx_kernelILi16E19rocblas_complex_numIdES1_KPKS1_KPS1_Ev13rocblas_fill_17rocblas_diagonal_iiT1_lPT2_llSB_llPT3_lli.has_dyn_sized_stack, 0
	.set _ZL23rocblas_trmm_lNx_kernelILi16E19rocblas_complex_numIdES1_KPKS1_KPS1_Ev13rocblas_fill_17rocblas_diagonal_iiT1_lPT2_llSB_llPT3_lli.has_recursion, 0
	.set _ZL23rocblas_trmm_lNx_kernelILi16E19rocblas_complex_numIdES1_KPKS1_KPS1_Ev13rocblas_fill_17rocblas_diagonal_iiT1_lPT2_llSB_llPT3_lli.has_indirect_call, 0
	.section	.AMDGPU.csdata,"",@progbits
; Kernel info:
; codeLenInByte = 1708
; TotalNumSgprs: 43
; NumVgprs: 58
; ScratchSize: 0
; MemoryBound: 0
; FloatMode: 240
; IeeeMode: 1
; LDSByteSize: 8192 bytes/workgroup (compile time only)
; SGPRBlocks: 0
; VGPRBlocks: 3
; NumSGPRsForWavesPerEU: 43
; NumVGPRsForWavesPerEU: 58
; NamedBarCnt: 0
; Occupancy: 16
; WaveLimiterHint : 1
; COMPUTE_PGM_RSRC2:SCRATCH_EN: 0
; COMPUTE_PGM_RSRC2:USER_SGPR: 2
; COMPUTE_PGM_RSRC2:TRAP_HANDLER: 0
; COMPUTE_PGM_RSRC2:TGID_X_EN: 1
; COMPUTE_PGM_RSRC2:TGID_Y_EN: 0
; COMPUTE_PGM_RSRC2:TGID_Z_EN: 1
; COMPUTE_PGM_RSRC2:TIDIG_COMP_CNT: 1
	.section	.text._ZL23rocblas_trmm_lTx_kernelILi16ELb0E19rocblas_complex_numIdEPKS1_KS3_KPS1_Ev13rocblas_fill_17rocblas_diagonal_iiT2_lPT3_llSB_llPT4_lli,"axG",@progbits,_ZL23rocblas_trmm_lTx_kernelILi16ELb0E19rocblas_complex_numIdEPKS1_KS3_KPS1_Ev13rocblas_fill_17rocblas_diagonal_iiT2_lPT3_llSB_llPT4_lli,comdat
	.globl	_ZL23rocblas_trmm_lTx_kernelILi16ELb0E19rocblas_complex_numIdEPKS1_KS3_KPS1_Ev13rocblas_fill_17rocblas_diagonal_iiT2_lPT3_llSB_llPT4_lli ; -- Begin function _ZL23rocblas_trmm_lTx_kernelILi16ELb0E19rocblas_complex_numIdEPKS1_KS3_KPS1_Ev13rocblas_fill_17rocblas_diagonal_iiT2_lPT3_llSB_llPT4_lli
	.p2align	8
	.type	_ZL23rocblas_trmm_lTx_kernelILi16ELb0E19rocblas_complex_numIdEPKS1_KS3_KPS1_Ev13rocblas_fill_17rocblas_diagonal_iiT2_lPT3_llSB_llPT4_lli,@function
_ZL23rocblas_trmm_lTx_kernelILi16ELb0E19rocblas_complex_numIdEPKS1_KS3_KPS1_Ev13rocblas_fill_17rocblas_diagonal_iiT2_lPT3_llSB_llPT4_lli: ; @_ZL23rocblas_trmm_lTx_kernelILi16ELb0E19rocblas_complex_numIdEPKS1_KS3_KPS1_Ev13rocblas_fill_17rocblas_diagonal_iiT2_lPT3_llSB_llPT4_lli
; %bb.0:
	s_load_b32 s33, s[0:1], 0x68
	s_bfe_u32 s2, ttmp6, 0x40014
	s_lshr_b32 s3, ttmp7, 16
	s_add_co_i32 s2, s2, 1
	s_bfe_u32 s5, ttmp6, 0x40008
	s_mul_i32 s4, s3, s2
	s_getreg_b32 s2, hwreg(HW_REG_IB_STS2, 6, 4)
	s_add_co_i32 s5, s5, s4
	s_cmp_eq_u32 s2, 0
	s_mov_b32 s7, 0
	s_cselect_b32 s6, s3, s5
	s_wait_kmcnt 0x0
	s_cmp_ge_u32 s6, s33
	s_cbranch_scc1 .LBB182_19
; %bb.1:
	s_clause 0x3
	s_load_b128 s[28:31], s[0:1], 0x0
	s_load_b512 s[8:23], s[0:1], 0x10
	s_load_b64 s[34:35], s[0:1], 0x60
	s_load_b128 s[24:27], s[0:1], 0x50
	s_wait_xcnt 0x0
	s_bfe_u32 s0, ttmp6, 0x4000c
	v_bfe_u32 v8, v0, 10, 10
	v_mov_b32_e32 v9, 0
	s_add_co_i32 s0, s0, 1
	s_and_b32 s3, ttmp6, 15
	s_mul_i32 s4, ttmp9, s0
	v_lshlrev_b32_e32 v2, 4, v8
	s_add_co_i32 s3, s3, s4
	v_and_b32_e32 v0, 0x3ff, v0
	v_mov_b32_e32 v1, 0x3ff00000
	v_lshl_add_u32 v21, v8, 8, 0x1000
	s_delay_alu instid0(VALU_DEP_3)
	v_cmp_eq_u32_e32 vcc_lo, v8, v0
	v_add_lshl_u32 v22, v2, v0, 4
	v_cmp_lt_u32_e64 s0, v0, v8
	s_wait_kmcnt 0x0
	s_add_co_i32 s5, s31, -1
	v_mul_u64_e32 v[10:11], s[14:15], v[8:9]
	s_ashr_i32 s4, s5, 31
	v_mul_u64_e32 v[12:13], s[20:21], v[8:9]
	v_mul_u64_e32 v[14:15], s[26:27], v[8:9]
	s_lshr_b32 s4, s4, 28
	v_cmp_gt_u32_e64 s1, v0, v8
	s_add_co_i32 s5, s5, s4
	v_lshlrev_b32_e32 v20, 4, v0
	s_and_b32 s4, s5, -16
	s_ashr_i32 s5, s5, 4
	s_sub_co_i32 s4, s31, s4
	s_cmp_eq_u32 s2, 0
	v_cmp_gt_i32_e64 s2, s30, v8
	s_cselect_b32 s14, ttmp9, s3
	v_cmp_gt_i32_e64 s3, s30, v0
	s_cmp_ge_i32 s14, s5
	v_lshl_add_u32 v23, v0, 8, v2
	s_cselect_b32 s4, s4, 16
	s_lshl_b32 s14, s14, 4
	v_cmp_gt_i32_e64 s4, s4, v8
	s_and_b32 s30, s2, s3
	s_ashr_i32 s15, s14, 31
	v_add_nc_u32_e32 v24, 0x1000, v22
	v_lshlrev_b32_e32 v8, 4, v0
	s_and_b32 s3, s3, s4
	s_cmp_eq_u32 s29, 0x84
	s_mul_u64 s[20:21], s[20:21], s[14:15]
	s_cselect_b32 s2, -1, 0
	s_mul_u64 s[36:37], s[26:27], s[14:15]
	s_and_b32 s29, vcc_lo, s2
	s_cmp_lg_u32 s28, 0x7a
	s_cselect_b32 s26, -1, 0
	s_lshl_b64 s[4:5], s[16:17], 4
	s_lshl_b64 s[14:15], s[22:23], 4
	;; [unrolled: 1-line block ×5, first 2 shown]
	s_branch .LBB182_4
.LBB182_2:                              ;   in Loop: Header=BB182_4 Depth=1
	s_wait_xcnt 0x0
	s_or_b32 exec_lo, exec_lo, s2
.LBB182_3:                              ;   in Loop: Header=BB182_4 Depth=1
	s_add_co_i32 s6, s6, 0x10000
	s_delay_alu instid0(SALU_CYCLE_1)
	s_cmp_lt_u32 s6, s33
	s_cbranch_scc0 .LBB182_19
.LBB182_4:                              ; =>This Inner Loop Header: Depth=1
	s_wait_xcnt 0x0
	s_mul_u64 s[34:35], s[10:11], s[6:7]
	s_delay_alu instid0(SALU_CYCLE_1) | instskip(NEXT) | instid1(SALU_CYCLE_1)
	s_lshl_b64 s[34:35], s[34:35], 4
	s_add_nc_u64 s[34:35], s[8:9], s[34:35]
	global_load_b128 v[4:7], v9, s[34:35]
	s_wait_loadcnt 0x0
	v_cmp_neq_f64_e32 vcc_lo, 0, v[4:5]
	v_cmp_neq_f64_e64 s2, 0, v[6:7]
	s_or_b32 s2, vcc_lo, s2
	s_delay_alu instid0(SALU_CYCLE_1)
	s_and_not1_b32 vcc_lo, exec_lo, s2
	s_cbranch_vccnz .LBB182_3
; %bb.5:                                ;   in Loop: Header=BB182_4 Depth=1
	s_wait_xcnt 0x0
	s_lshl_b64 s[34:35], s[6:7], 3
	s_delay_alu instid0(SALU_CYCLE_1)
	s_add_nc_u64 s[36:37], s[12:13], s[34:35]
	s_add_nc_u64 s[38:39], s[18:19], s[34:35]
	;; [unrolled: 1-line block ×3, first 2 shown]
	s_clause 0x2
	global_load_b64 v[18:19], v9, s[36:37]
	global_load_b64 v[2:3], v9, s[38:39]
	;; [unrolled: 1-line block ×3, first 2 shown]
	s_wait_xcnt 0x2
	s_mov_b32 s36, s7
	s_mov_b32 s37, s7
	s_wait_xcnt 0x1
	s_mov_b32 s38, s7
	s_mov_b32 s39, s7
	v_mov_b64_e32 v[26:27], s[36:37]
	v_mov_b64_e32 v[28:29], s[38:39]
	ds_store_b128 v22, v[26:29]
	ds_store_b128 v24, v[26:29]
	s_wait_loadcnt_dscnt 0x0
	s_barrier_signal -1
	s_barrier_wait -1
	s_wait_xcnt 0x0
	s_and_saveexec_b32 s2, s30
	s_cbranch_execnz .LBB182_11
; %bb.6:                                ;   in Loop: Header=BB182_4 Depth=1
	s_or_b32 exec_lo, exec_lo, s2
	s_and_saveexec_b32 s2, s3
	s_cbranch_execnz .LBB182_12
.LBB182_7:                              ;   in Loop: Header=BB182_4 Depth=1
	s_or_b32 exec_lo, exec_lo, s2
	s_and_saveexec_b32 s2, s29
.LBB182_8:                              ;   in Loop: Header=BB182_4 Depth=1
	v_dual_mov_b32 v0, v9 :: v_dual_mov_b32 v2, v9
	v_mov_b32_e32 v3, v9
	ds_store_b128 v22, v[0:3]
.LBB182_9:                              ;   in Loop: Header=BB182_4 Depth=1
	s_or_b32 exec_lo, exec_lo, s2
	s_delay_alu instid0(SALU_CYCLE_1)
	s_and_b32 vcc_lo, exec_lo, s26
	s_wait_dscnt 0x0
	s_barrier_signal -1
	s_barrier_wait -1
	s_cbranch_vccz .LBB182_13
; %bb.10:                               ;   in Loop: Header=BB182_4 Depth=1
	s_and_b32 s2, s0, exec_lo
	s_cbranch_execz .LBB182_14
	s_branch .LBB182_15
.LBB182_11:                             ;   in Loop: Header=BB182_4 Depth=1
	v_add_nc_u64_e32 v[18:19], s[4:5], v[18:19]
	s_delay_alu instid0(VALU_DEP_1) | instskip(NEXT) | instid1(VALU_DEP_1)
	v_lshl_add_u64 v[18:19], v[10:11], 4, v[18:19]
	v_add_nc_u64_e32 v[18:19], v[18:19], v[8:9]
	flat_load_b128 v[26:29], v[18:19]
	s_wait_loadcnt_dscnt 0x0
	ds_store_2addr_b64 v23, v[26:27], v[28:29] offset1:1
	s_wait_xcnt 0x0
	s_or_b32 exec_lo, exec_lo, s2
	s_and_saveexec_b32 s2, s3
	s_cbranch_execz .LBB182_7
.LBB182_12:                             ;   in Loop: Header=BB182_4 Depth=1
	v_add_nc_u64_e32 v[2:3], s[14:15], v[2:3]
	s_delay_alu instid0(VALU_DEP_1) | instskip(NEXT) | instid1(VALU_DEP_1)
	v_add_nc_u64_e32 v[2:3], s[16:17], v[2:3]
	v_lshl_add_u64 v[2:3], v[12:13], 4, v[2:3]
	s_delay_alu instid0(VALU_DEP_1)
	v_add_nc_u64_e32 v[2:3], v[2:3], v[8:9]
	flat_load_b128 v[26:29], v[2:3]
	s_wait_loadcnt_dscnt 0x0
	ds_store_2addr_b64 v24, v[26:27], v[28:29] offset1:1
	s_wait_xcnt 0x0
	s_or_b32 exec_lo, exec_lo, s2
	s_and_saveexec_b32 s2, s29
	s_cbranch_execnz .LBB182_8
	s_branch .LBB182_9
.LBB182_13:                             ;   in Loop: Header=BB182_4 Depth=1
	s_mov_b32 s2, 0
.LBB182_14:                             ;   in Loop: Header=BB182_4 Depth=1
	s_delay_alu instid0(SALU_CYCLE_1) | instskip(SKIP_1) | instid1(SALU_CYCLE_1)
	s_and_not1_b32 s2, s2, exec_lo
	s_and_b32 s27, s1, exec_lo
	s_or_b32 s2, s2, s27
.LBB182_15:                             ;   in Loop: Header=BB182_4 Depth=1
	s_delay_alu instid0(SALU_CYCLE_1)
	s_and_saveexec_b32 s27, s2
; %bb.16:                               ;   in Loop: Header=BB182_4 Depth=1
	v_dual_mov_b32 v26, v9 :: v_dual_mov_b32 v27, v9
	v_dual_mov_b32 v28, v9 :: v_dual_mov_b32 v29, v9
	ds_store_b128 v22, v[26:29]
; %bb.17:                               ;   in Loop: Header=BB182_4 Depth=1
	s_or_b32 exec_lo, exec_lo, s27
	s_wait_dscnt 0x0
	s_barrier_signal -1
	s_barrier_wait -1
	s_and_saveexec_b32 s2, s3
	s_cbranch_execz .LBB182_2
; %bb.18:                               ;   in Loop: Header=BB182_4 Depth=1
	ds_load_b128 v[26:29], v20
	ds_load_b128 v[30:33], v21
	ds_load_b128 v[34:37], v21 offset:16
	ds_load_b128 v[38:41], v20 offset:256
	;; [unrolled: 1-line block ×6, first 2 shown]
	s_wait_dscnt 0x6
	v_mul_f64_e32 v[2:3], v[30:31], v[28:29]
	v_mul_f64_e32 v[28:29], v[32:33], v[28:29]
	s_wait_dscnt 0x4
	v_mul_f64_e32 v[18:19], v[34:35], v[40:41]
	s_wait_dscnt 0x2
	;; [unrolled: 2-line block ×3, first 2 shown]
	v_mul_f64_e32 v[60:61], v[50:51], v[56:57]
	v_mul_f64_e32 v[44:45], v[48:49], v[44:45]
	;; [unrolled: 1-line block ×3, first 2 shown]
	v_fmac_f64_e32 v[2:3], v[32:33], v[26:27]
	v_mul_f64_e32 v[32:33], v[36:37], v[40:41]
	v_fmac_f64_e32 v[18:19], v[36:37], v[38:39]
	v_fma_f64 v[26:27], v[30:31], v[26:27], -v[28:29]
	v_fmac_f64_e32 v[58:59], v[48:49], v[42:43]
	v_fmac_f64_e32 v[60:61], v[52:53], v[54:55]
	v_fma_f64 v[42:43], v[46:47], v[42:43], -v[44:45]
	v_add_f64_e32 v[2:3], 0, v[2:3]
	v_fma_f64 v[48:49], v[34:35], v[38:39], -v[32:33]
	v_add_f64_e32 v[62:63], 0, v[26:27]
	ds_load_b128 v[26:29], v20 offset:1024
	ds_load_b128 v[30:33], v21 offset:64
	;; [unrolled: 1-line block ×4, first 2 shown]
	v_add_f64_e32 v[2:3], v[2:3], v[18:19]
	s_wait_dscnt 0x2
	v_mul_f64_e32 v[18:19], v[30:31], v[28:29]
	v_mul_f64_e32 v[28:29], v[32:33], v[28:29]
	v_add_f64_e32 v[44:45], v[62:63], v[48:49]
	s_delay_alu instid0(VALU_DEP_4)
	v_add_f64_e32 v[2:3], v[2:3], v[58:59]
	s_wait_dscnt 0x0
	v_mul_f64_e32 v[58:59], v[34:35], v[40:41]
	v_fmac_f64_e32 v[18:19], v[32:33], v[26:27]
	v_fma_f64 v[32:33], v[50:51], v[54:55], -v[56:57]
	v_add_f64_e32 v[62:63], v[44:45], v[42:43]
	ds_load_b128 v[42:45], v20 offset:1536
	ds_load_b128 v[46:49], v21 offset:96
	ds_load_b128 v[50:53], v21 offset:112
	ds_load_b128 v[54:57], v20 offset:1792
	v_mul_f64_e32 v[40:41], v[36:37], v[40:41]
	v_fma_f64 v[26:27], v[30:31], v[26:27], -v[28:29]
	v_add_f64_e32 v[2:3], v[2:3], v[60:61]
	s_wait_dscnt 0x2
	v_mul_f64_e32 v[60:61], v[46:47], v[44:45]
	v_fmac_f64_e32 v[58:59], v[36:37], v[38:39]
	v_mul_f64_e32 v[44:45], v[48:49], v[44:45]
	v_add_f64_e32 v[28:29], v[62:63], v[32:33]
	v_add_f64_e32 v[2:3], v[2:3], v[18:19]
	s_wait_dscnt 0x0
	v_mul_f64_e32 v[18:19], v[50:51], v[56:57]
	v_fmac_f64_e32 v[60:61], v[48:49], v[42:43]
	v_fma_f64 v[48:49], v[34:35], v[38:39], -v[40:41]
	v_add_f64_e32 v[62:63], v[28:29], v[26:27]
	ds_load_b128 v[26:29], v20 offset:2048
	ds_load_b128 v[30:33], v21 offset:128
	ds_load_b128 v[34:37], v21 offset:144
	ds_load_b128 v[38:41], v20 offset:2304
	v_mul_f64_e32 v[56:57], v[52:53], v[56:57]
	v_fma_f64 v[42:43], v[46:47], v[42:43], -v[44:45]
	v_add_f64_e32 v[2:3], v[2:3], v[58:59]
	s_wait_dscnt 0x2
	v_mul_f64_e32 v[58:59], v[30:31], v[28:29]
	v_fmac_f64_e32 v[18:19], v[52:53], v[54:55]
	v_mul_f64_e32 v[28:29], v[32:33], v[28:29]
	v_add_f64_e32 v[44:45], v[62:63], v[48:49]
	;; [unrolled: 18-line block ×4, first 2 shown]
	v_add_f64_e32 v[2:3], v[2:3], v[18:19]
	s_wait_dscnt 0x0
	v_mul_f64_e32 v[18:19], v[34:35], v[40:41]
	v_fmac_f64_e32 v[60:61], v[32:33], v[26:27]
	v_fma_f64 v[32:33], v[50:51], v[54:55], -v[56:57]
	v_add_f64_e32 v[62:63], v[44:45], v[42:43]
	ds_load_b128 v[42:45], v20 offset:3584
	ds_load_b128 v[46:49], v21 offset:224
	;; [unrolled: 1-line block ×4, first 2 shown]
	v_mul_f64_e32 v[40:41], v[36:37], v[40:41]
	v_fma_f64 v[26:27], v[30:31], v[26:27], -v[28:29]
	s_wait_dscnt 0x0
	v_mul_f64_e32 v[30:31], v[50:51], v[56:57]
	v_add_f64_e32 v[2:3], v[2:3], v[58:59]
	v_mul_f64_e32 v[58:59], v[46:47], v[44:45]
	v_fmac_f64_e32 v[18:19], v[36:37], v[38:39]
	v_add_f64_e32 v[28:29], v[62:63], v[32:33]
	v_mul_f64_e32 v[32:33], v[48:49], v[44:45]
	v_fma_f64 v[34:35], v[34:35], v[38:39], -v[40:41]
	v_fmac_f64_e32 v[30:31], v[52:53], v[54:55]
	v_add_f64_e32 v[2:3], v[2:3], v[60:61]
	v_fmac_f64_e32 v[58:59], v[48:49], v[42:43]
	v_add_f64_e32 v[26:27], v[28:29], v[26:27]
	v_fma_f64 v[28:29], v[46:47], v[42:43], -v[32:33]
	s_delay_alu instid0(VALU_DEP_4) | instskip(SKIP_1) | instid1(VALU_DEP_4)
	v_add_f64_e32 v[2:3], v[2:3], v[18:19]
	v_mul_f64_e32 v[18:19], v[52:53], v[56:57]
	v_add_f64_e32 v[26:27], v[26:27], v[34:35]
	s_delay_alu instid0(VALU_DEP_3) | instskip(NEXT) | instid1(VALU_DEP_3)
	v_add_f64_e32 v[2:3], v[2:3], v[58:59]
	v_fma_f64 v[18:19], v[50:51], v[54:55], -v[18:19]
	s_delay_alu instid0(VALU_DEP_3) | instskip(NEXT) | instid1(VALU_DEP_3)
	v_add_f64_e32 v[26:27], v[26:27], v[28:29]
	v_add_f64_e32 v[2:3], v[2:3], v[30:31]
	s_delay_alu instid0(VALU_DEP_2) | instskip(NEXT) | instid1(VALU_DEP_2)
	v_add_f64_e32 v[18:19], v[26:27], v[18:19]
	v_mul_f64_e32 v[28:29], v[4:5], v[2:3]
	v_mul_f64_e32 v[2:3], v[6:7], v[2:3]
	s_delay_alu instid0(VALU_DEP_2) | instskip(NEXT) | instid1(VALU_DEP_2)
	v_fmac_f64_e32 v[28:29], v[6:7], v[18:19]
	v_fma_f64 v[26:27], v[4:5], v[18:19], -v[2:3]
	v_add_nc_u64_e32 v[2:3], s[20:21], v[16:17]
	s_delay_alu instid0(VALU_DEP_1) | instskip(NEXT) | instid1(VALU_DEP_1)
	v_add_nc_u64_e32 v[2:3], s[22:23], v[2:3]
	v_lshl_add_u64 v[2:3], v[14:15], 4, v[2:3]
	s_delay_alu instid0(VALU_DEP_1)
	v_add_nc_u64_e32 v[2:3], v[2:3], v[8:9]
	flat_store_b128 v[2:3], v[26:29]
	s_branch .LBB182_2
.LBB182_19:
	s_endpgm
	.section	.rodata,"a",@progbits
	.p2align	6, 0x0
	.amdhsa_kernel _ZL23rocblas_trmm_lTx_kernelILi16ELb0E19rocblas_complex_numIdEPKS1_KS3_KPS1_Ev13rocblas_fill_17rocblas_diagonal_iiT2_lPT3_llSB_llPT4_lli
		.amdhsa_group_segment_fixed_size 8192
		.amdhsa_private_segment_fixed_size 0
		.amdhsa_kernarg_size 108
		.amdhsa_user_sgpr_count 2
		.amdhsa_user_sgpr_dispatch_ptr 0
		.amdhsa_user_sgpr_queue_ptr 0
		.amdhsa_user_sgpr_kernarg_segment_ptr 1
		.amdhsa_user_sgpr_dispatch_id 0
		.amdhsa_user_sgpr_kernarg_preload_length 0
		.amdhsa_user_sgpr_kernarg_preload_offset 0
		.amdhsa_user_sgpr_private_segment_size 0
		.amdhsa_wavefront_size32 1
		.amdhsa_uses_dynamic_stack 0
		.amdhsa_enable_private_segment 0
		.amdhsa_system_sgpr_workgroup_id_x 1
		.amdhsa_system_sgpr_workgroup_id_y 0
		.amdhsa_system_sgpr_workgroup_id_z 1
		.amdhsa_system_sgpr_workgroup_info 0
		.amdhsa_system_vgpr_workitem_id 1
		.amdhsa_next_free_vgpr 64
		.amdhsa_next_free_sgpr 40
		.amdhsa_named_barrier_count 0
		.amdhsa_reserve_vcc 1
		.amdhsa_float_round_mode_32 0
		.amdhsa_float_round_mode_16_64 0
		.amdhsa_float_denorm_mode_32 3
		.amdhsa_float_denorm_mode_16_64 3
		.amdhsa_fp16_overflow 0
		.amdhsa_memory_ordered 1
		.amdhsa_forward_progress 1
		.amdhsa_inst_pref_size 14
		.amdhsa_round_robin_scheduling 0
		.amdhsa_exception_fp_ieee_invalid_op 0
		.amdhsa_exception_fp_denorm_src 0
		.amdhsa_exception_fp_ieee_div_zero 0
		.amdhsa_exception_fp_ieee_overflow 0
		.amdhsa_exception_fp_ieee_underflow 0
		.amdhsa_exception_fp_ieee_inexact 0
		.amdhsa_exception_int_div_zero 0
	.end_amdhsa_kernel
	.section	.text._ZL23rocblas_trmm_lTx_kernelILi16ELb0E19rocblas_complex_numIdEPKS1_KS3_KPS1_Ev13rocblas_fill_17rocblas_diagonal_iiT2_lPT3_llSB_llPT4_lli,"axG",@progbits,_ZL23rocblas_trmm_lTx_kernelILi16ELb0E19rocblas_complex_numIdEPKS1_KS3_KPS1_Ev13rocblas_fill_17rocblas_diagonal_iiT2_lPT3_llSB_llPT4_lli,comdat
.Lfunc_end182:
	.size	_ZL23rocblas_trmm_lTx_kernelILi16ELb0E19rocblas_complex_numIdEPKS1_KS3_KPS1_Ev13rocblas_fill_17rocblas_diagonal_iiT2_lPT3_llSB_llPT4_lli, .Lfunc_end182-_ZL23rocblas_trmm_lTx_kernelILi16ELb0E19rocblas_complex_numIdEPKS1_KS3_KPS1_Ev13rocblas_fill_17rocblas_diagonal_iiT2_lPT3_llSB_llPT4_lli
                                        ; -- End function
	.set _ZL23rocblas_trmm_lTx_kernelILi16ELb0E19rocblas_complex_numIdEPKS1_KS3_KPS1_Ev13rocblas_fill_17rocblas_diagonal_iiT2_lPT3_llSB_llPT4_lli.num_vgpr, 64
	.set _ZL23rocblas_trmm_lTx_kernelILi16ELb0E19rocblas_complex_numIdEPKS1_KS3_KPS1_Ev13rocblas_fill_17rocblas_diagonal_iiT2_lPT3_llSB_llPT4_lli.num_agpr, 0
	.set _ZL23rocblas_trmm_lTx_kernelILi16ELb0E19rocblas_complex_numIdEPKS1_KS3_KPS1_Ev13rocblas_fill_17rocblas_diagonal_iiT2_lPT3_llSB_llPT4_lli.numbered_sgpr, 40
	.set _ZL23rocblas_trmm_lTx_kernelILi16ELb0E19rocblas_complex_numIdEPKS1_KS3_KPS1_Ev13rocblas_fill_17rocblas_diagonal_iiT2_lPT3_llSB_llPT4_lli.num_named_barrier, 0
	.set _ZL23rocblas_trmm_lTx_kernelILi16ELb0E19rocblas_complex_numIdEPKS1_KS3_KPS1_Ev13rocblas_fill_17rocblas_diagonal_iiT2_lPT3_llSB_llPT4_lli.private_seg_size, 0
	.set _ZL23rocblas_trmm_lTx_kernelILi16ELb0E19rocblas_complex_numIdEPKS1_KS3_KPS1_Ev13rocblas_fill_17rocblas_diagonal_iiT2_lPT3_llSB_llPT4_lli.uses_vcc, 1
	.set _ZL23rocblas_trmm_lTx_kernelILi16ELb0E19rocblas_complex_numIdEPKS1_KS3_KPS1_Ev13rocblas_fill_17rocblas_diagonal_iiT2_lPT3_llSB_llPT4_lli.uses_flat_scratch, 0
	.set _ZL23rocblas_trmm_lTx_kernelILi16ELb0E19rocblas_complex_numIdEPKS1_KS3_KPS1_Ev13rocblas_fill_17rocblas_diagonal_iiT2_lPT3_llSB_llPT4_lli.has_dyn_sized_stack, 0
	.set _ZL23rocblas_trmm_lTx_kernelILi16ELb0E19rocblas_complex_numIdEPKS1_KS3_KPS1_Ev13rocblas_fill_17rocblas_diagonal_iiT2_lPT3_llSB_llPT4_lli.has_recursion, 0
	.set _ZL23rocblas_trmm_lTx_kernelILi16ELb0E19rocblas_complex_numIdEPKS1_KS3_KPS1_Ev13rocblas_fill_17rocblas_diagonal_iiT2_lPT3_llSB_llPT4_lli.has_indirect_call, 0
	.section	.AMDGPU.csdata,"",@progbits
; Kernel info:
; codeLenInByte = 1768
; TotalNumSgprs: 42
; NumVgprs: 64
; ScratchSize: 0
; MemoryBound: 0
; FloatMode: 240
; IeeeMode: 1
; LDSByteSize: 8192 bytes/workgroup (compile time only)
; SGPRBlocks: 0
; VGPRBlocks: 3
; NumSGPRsForWavesPerEU: 42
; NumVGPRsForWavesPerEU: 64
; NamedBarCnt: 0
; Occupancy: 16
; WaveLimiterHint : 1
; COMPUTE_PGM_RSRC2:SCRATCH_EN: 0
; COMPUTE_PGM_RSRC2:USER_SGPR: 2
; COMPUTE_PGM_RSRC2:TRAP_HANDLER: 0
; COMPUTE_PGM_RSRC2:TGID_X_EN: 1
; COMPUTE_PGM_RSRC2:TGID_Y_EN: 0
; COMPUTE_PGM_RSRC2:TGID_Z_EN: 1
; COMPUTE_PGM_RSRC2:TIDIG_COMP_CNT: 1
	.section	.text._ZL23rocblas_trmm_lTx_kernelILi16ELb0E19rocblas_complex_numIdES1_KPKS1_KPS1_Ev13rocblas_fill_17rocblas_diagonal_iiT2_lPT3_llSB_llPT4_lli,"axG",@progbits,_ZL23rocblas_trmm_lTx_kernelILi16ELb0E19rocblas_complex_numIdES1_KPKS1_KPS1_Ev13rocblas_fill_17rocblas_diagonal_iiT2_lPT3_llSB_llPT4_lli,comdat
	.globl	_ZL23rocblas_trmm_lTx_kernelILi16ELb0E19rocblas_complex_numIdES1_KPKS1_KPS1_Ev13rocblas_fill_17rocblas_diagonal_iiT2_lPT3_llSB_llPT4_lli ; -- Begin function _ZL23rocblas_trmm_lTx_kernelILi16ELb0E19rocblas_complex_numIdES1_KPKS1_KPS1_Ev13rocblas_fill_17rocblas_diagonal_iiT2_lPT3_llSB_llPT4_lli
	.p2align	8
	.type	_ZL23rocblas_trmm_lTx_kernelILi16ELb0E19rocblas_complex_numIdES1_KPKS1_KPS1_Ev13rocblas_fill_17rocblas_diagonal_iiT2_lPT3_llSB_llPT4_lli,@function
_ZL23rocblas_trmm_lTx_kernelILi16ELb0E19rocblas_complex_numIdES1_KPKS1_KPS1_Ev13rocblas_fill_17rocblas_diagonal_iiT2_lPT3_llSB_llPT4_lli: ; @_ZL23rocblas_trmm_lTx_kernelILi16ELb0E19rocblas_complex_numIdES1_KPKS1_KPS1_Ev13rocblas_fill_17rocblas_diagonal_iiT2_lPT3_llSB_llPT4_lli
; %bb.0:
	s_load_b32 s33, s[0:1], 0x70
	s_bfe_u32 s2, ttmp6, 0x40014
	s_lshr_b32 s3, ttmp7, 16
	s_add_co_i32 s2, s2, 1
	s_bfe_u32 s5, ttmp6, 0x40008
	s_mul_i32 s4, s3, s2
	s_getreg_b32 s2, hwreg(HW_REG_IB_STS2, 6, 4)
	s_add_co_i32 s5, s5, s4
	s_cmp_eq_u32 s2, 0
	s_mov_b32 s36, 0
	s_cselect_b32 s40, s3, s5
	s_wait_kmcnt 0x0
	s_cmp_ge_u32 s40, s33
	s_cbranch_scc1 .LBB183_19
; %bb.1:
	s_clause 0x2
	s_load_b256 s[24:31], s[0:1], 0x0
	s_load_b512 s[8:23], s[0:1], 0x28
	s_load_b64 s[34:35], s[0:1], 0x68
	s_wait_xcnt 0x0
	s_bfe_u32 s0, ttmp6, 0x4000c
	v_bfe_u32 v4, v0, 10, 10
	s_add_co_i32 s0, s0, 1
	v_mov_b32_e32 v5, 0
	s_and_b32 s5, ttmp6, 15
	s_mul_i32 s6, ttmp9, s0
	v_lshlrev_b32_e32 v2, 4, v4
	s_add_co_i32 s5, s5, s6
	v_and_b32_e32 v0, 0x3ff, v0
	v_mov_b32_e32 v1, 0x3ff00000
	v_lshl_add_u32 v17, v4, 8, 0x1000
	s_delay_alu instid0(VALU_DEP_3)
	v_cmp_eq_u32_e32 vcc_lo, v4, v0
	v_add_lshl_u32 v18, v2, v0, 4
	v_cmp_lt_u32_e64 s0, v0, v4
	v_cmp_gt_u32_e64 s1, v0, v4
	v_lshlrev_b32_e32 v16, 4, v0
	s_wait_kmcnt 0x0
	v_cmp_neq_f64_e64 s3, s[28:29], 0
	v_cmp_neq_f64_e64 s4, s[30:31], 0
	s_add_co_i32 s6, s27, -1
	v_mul_u64_e32 v[6:7], s[10:11], v[4:5]
	s_ashr_i32 s7, s6, 31
	v_mul_u64_e32 v[8:9], s[16:17], v[4:5]
	v_mul_u64_e32 v[10:11], s[22:23], v[4:5]
	s_lshr_b32 s7, s7, 28
	v_lshl_add_u32 v19, v0, 8, v2
	s_add_co_i32 s6, s6, s7
	v_add_nc_u32_e32 v20, 0x1000, v18
	s_and_b32 s7, s6, -16
	s_ashr_i32 s6, s6, 4
	s_sub_co_i32 s7, s27, s7
	s_or_b32 s27, s3, s4
	s_cmp_eq_u32 s2, 0
	v_cmp_gt_i32_e64 s2, s26, v4
	s_cselect_b32 s5, ttmp9, s5
	v_cmp_gt_i32_e64 s3, s26, v0
	s_cmp_ge_i32 s5, s6
	s_cselect_b32 s4, s7, 16
	s_lshl_b32 s6, s5, 4
	v_cmp_gt_i32_e64 s4, s4, v4
	s_and_b32 s26, s2, s3
	s_ashr_i32 s7, s6, 31
	v_lshlrev_b32_e32 v4, 4, v0
	s_mul_u64 s[10:11], s[16:17], s[6:7]
	s_and_b32 s41, s3, s4
	s_cmp_eq_u32 s25, 0x84
	s_mul_u64 s[22:23], s[22:23], s[6:7]
	s_cselect_b32 s2, -1, 0
	s_delay_alu instid0(SALU_CYCLE_1)
	s_and_b32 s16, vcc_lo, s2
	s_cmp_lg_u32 s24, 0x7a
	s_cselect_b32 s17, -1, 0
	s_lshl_b64 s[2:3], s[12:13], 4
	s_lshl_b64 s[4:5], s[18:19], 4
	;; [unrolled: 1-line block ×5, first 2 shown]
	s_branch .LBB183_4
.LBB183_2:                              ;   in Loop: Header=BB183_4 Depth=1
	s_wait_xcnt 0x0
	s_or_b32 exec_lo, exec_lo, s18
.LBB183_3:                              ;   in Loop: Header=BB183_4 Depth=1
	s_add_co_i32 s40, s40, 0x10000
	s_delay_alu instid0(SALU_CYCLE_1)
	s_cmp_lt_u32 s40, s33
	s_cbranch_scc0 .LBB183_19
.LBB183_4:                              ; =>This Inner Loop Header: Depth=1
	s_and_not1_b32 vcc_lo, exec_lo, s27
	s_cbranch_vccnz .LBB183_3
; %bb.5:                                ;   in Loop: Header=BB183_4 Depth=1
	v_mov_b32_e32 v0, s40
	s_mov_b32 s37, s36
	s_mov_b32 s38, s36
	;; [unrolled: 1-line block ×3, first 2 shown]
	v_mov_b64_e32 v[22:23], s[36:37]
	s_clause 0x2
	global_load_b64 v[14:15], v0, s[8:9] scale_offset
	global_load_b64 v[2:3], v0, s[14:15] scale_offset
	;; [unrolled: 1-line block ×3, first 2 shown]
	v_mov_b64_e32 v[24:25], s[38:39]
	ds_store_b128 v18, v[22:25]
	ds_store_b128 v20, v[22:25]
	s_wait_loadcnt_dscnt 0x0
	s_barrier_signal -1
	s_barrier_wait -1
	s_wait_xcnt 0x0
	s_and_saveexec_b32 s18, s26
	s_cbranch_execnz .LBB183_11
; %bb.6:                                ;   in Loop: Header=BB183_4 Depth=1
	s_or_b32 exec_lo, exec_lo, s18
	s_and_saveexec_b32 s18, s41
	s_cbranch_execnz .LBB183_12
.LBB183_7:                              ;   in Loop: Header=BB183_4 Depth=1
	s_or_b32 exec_lo, exec_lo, s18
	s_and_saveexec_b32 s18, s16
.LBB183_8:                              ;   in Loop: Header=BB183_4 Depth=1
	v_dual_mov_b32 v0, v5 :: v_dual_mov_b32 v2, v5
	v_mov_b32_e32 v3, v5
	ds_store_b128 v18, v[0:3]
.LBB183_9:                              ;   in Loop: Header=BB183_4 Depth=1
	s_or_b32 exec_lo, exec_lo, s18
	s_delay_alu instid0(SALU_CYCLE_1)
	s_and_b32 vcc_lo, exec_lo, s17
	s_wait_dscnt 0x0
	s_barrier_signal -1
	s_barrier_wait -1
	s_cbranch_vccz .LBB183_13
; %bb.10:                               ;   in Loop: Header=BB183_4 Depth=1
	s_and_b32 s18, s0, exec_lo
	s_cbranch_execz .LBB183_14
	s_branch .LBB183_15
.LBB183_11:                             ;   in Loop: Header=BB183_4 Depth=1
	v_add_nc_u64_e32 v[14:15], s[2:3], v[14:15]
	s_delay_alu instid0(VALU_DEP_1) | instskip(NEXT) | instid1(VALU_DEP_1)
	v_lshl_add_u64 v[14:15], v[6:7], 4, v[14:15]
	v_add_nc_u64_e32 v[14:15], v[14:15], v[4:5]
	flat_load_b128 v[22:25], v[14:15]
	s_wait_loadcnt_dscnt 0x0
	ds_store_2addr_b64 v19, v[22:23], v[24:25] offset1:1
	s_wait_xcnt 0x0
	s_or_b32 exec_lo, exec_lo, s18
	s_and_saveexec_b32 s18, s41
	s_cbranch_execz .LBB183_7
.LBB183_12:                             ;   in Loop: Header=BB183_4 Depth=1
	v_add_nc_u64_e32 v[2:3], s[4:5], v[2:3]
	s_delay_alu instid0(VALU_DEP_1) | instskip(NEXT) | instid1(VALU_DEP_1)
	v_add_nc_u64_e32 v[2:3], s[6:7], v[2:3]
	v_lshl_add_u64 v[2:3], v[8:9], 4, v[2:3]
	s_delay_alu instid0(VALU_DEP_1)
	v_add_nc_u64_e32 v[2:3], v[2:3], v[4:5]
	flat_load_b128 v[22:25], v[2:3]
	s_wait_loadcnt_dscnt 0x0
	ds_store_2addr_b64 v20, v[22:23], v[24:25] offset1:1
	s_wait_xcnt 0x0
	s_or_b32 exec_lo, exec_lo, s18
	s_and_saveexec_b32 s18, s16
	s_cbranch_execnz .LBB183_8
	s_branch .LBB183_9
.LBB183_13:                             ;   in Loop: Header=BB183_4 Depth=1
	s_mov_b32 s18, 0
.LBB183_14:                             ;   in Loop: Header=BB183_4 Depth=1
	s_delay_alu instid0(SALU_CYCLE_1) | instskip(SKIP_1) | instid1(SALU_CYCLE_1)
	s_and_not1_b32 s18, s18, exec_lo
	s_and_b32 s19, s1, exec_lo
	s_or_b32 s18, s18, s19
.LBB183_15:                             ;   in Loop: Header=BB183_4 Depth=1
	s_delay_alu instid0(SALU_CYCLE_1)
	s_and_saveexec_b32 s19, s18
; %bb.16:                               ;   in Loop: Header=BB183_4 Depth=1
	v_dual_mov_b32 v22, v5 :: v_dual_mov_b32 v23, v5
	v_dual_mov_b32 v24, v5 :: v_dual_mov_b32 v25, v5
	ds_store_b128 v18, v[22:25]
; %bb.17:                               ;   in Loop: Header=BB183_4 Depth=1
	s_or_b32 exec_lo, exec_lo, s19
	s_wait_dscnt 0x0
	s_barrier_signal -1
	s_barrier_wait -1
	s_and_saveexec_b32 s18, s41
	s_cbranch_execz .LBB183_2
; %bb.18:                               ;   in Loop: Header=BB183_4 Depth=1
	ds_load_b128 v[22:25], v16
	ds_load_b128 v[26:29], v17
	ds_load_b128 v[30:33], v17 offset:16
	ds_load_b128 v[34:37], v16 offset:256
	;; [unrolled: 1-line block ×6, first 2 shown]
	s_wait_dscnt 0x6
	v_mul_f64_e32 v[2:3], v[26:27], v[24:25]
	v_mul_f64_e32 v[24:25], v[28:29], v[24:25]
	s_wait_dscnt 0x4
	v_mul_f64_e32 v[14:15], v[30:31], v[36:37]
	s_wait_dscnt 0x2
	;; [unrolled: 2-line block ×3, first 2 shown]
	v_mul_f64_e32 v[56:57], v[46:47], v[52:53]
	v_mul_f64_e32 v[40:41], v[44:45], v[40:41]
	;; [unrolled: 1-line block ×3, first 2 shown]
	v_fmac_f64_e32 v[2:3], v[28:29], v[22:23]
	v_mul_f64_e32 v[28:29], v[32:33], v[36:37]
	v_fmac_f64_e32 v[14:15], v[32:33], v[34:35]
	v_fma_f64 v[22:23], v[26:27], v[22:23], -v[24:25]
	v_fmac_f64_e32 v[54:55], v[44:45], v[38:39]
	v_fmac_f64_e32 v[56:57], v[48:49], v[50:51]
	v_fma_f64 v[38:39], v[42:43], v[38:39], -v[40:41]
	v_add_f64_e32 v[2:3], 0, v[2:3]
	v_fma_f64 v[44:45], v[30:31], v[34:35], -v[28:29]
	v_add_f64_e32 v[58:59], 0, v[22:23]
	ds_load_b128 v[22:25], v16 offset:1024
	ds_load_b128 v[26:29], v17 offset:64
	;; [unrolled: 1-line block ×4, first 2 shown]
	v_add_f64_e32 v[2:3], v[2:3], v[14:15]
	s_wait_dscnt 0x2
	v_mul_f64_e32 v[14:15], v[26:27], v[24:25]
	v_mul_f64_e32 v[24:25], v[28:29], v[24:25]
	v_add_f64_e32 v[40:41], v[58:59], v[44:45]
	s_delay_alu instid0(VALU_DEP_4)
	v_add_f64_e32 v[2:3], v[2:3], v[54:55]
	s_wait_dscnt 0x0
	v_mul_f64_e32 v[54:55], v[30:31], v[36:37]
	v_fmac_f64_e32 v[14:15], v[28:29], v[22:23]
	v_fma_f64 v[28:29], v[46:47], v[50:51], -v[52:53]
	v_add_f64_e32 v[58:59], v[40:41], v[38:39]
	ds_load_b128 v[38:41], v16 offset:1536
	ds_load_b128 v[42:45], v17 offset:96
	ds_load_b128 v[46:49], v17 offset:112
	ds_load_b128 v[50:53], v16 offset:1792
	v_mul_f64_e32 v[36:37], v[32:33], v[36:37]
	v_fma_f64 v[22:23], v[26:27], v[22:23], -v[24:25]
	v_add_f64_e32 v[2:3], v[2:3], v[56:57]
	s_wait_dscnt 0x2
	v_mul_f64_e32 v[56:57], v[42:43], v[40:41]
	v_fmac_f64_e32 v[54:55], v[32:33], v[34:35]
	v_mul_f64_e32 v[40:41], v[44:45], v[40:41]
	v_add_f64_e32 v[24:25], v[58:59], v[28:29]
	v_add_f64_e32 v[2:3], v[2:3], v[14:15]
	s_wait_dscnt 0x0
	v_mul_f64_e32 v[14:15], v[46:47], v[52:53]
	v_fmac_f64_e32 v[56:57], v[44:45], v[38:39]
	v_fma_f64 v[44:45], v[30:31], v[34:35], -v[36:37]
	v_add_f64_e32 v[58:59], v[24:25], v[22:23]
	ds_load_b128 v[22:25], v16 offset:2048
	ds_load_b128 v[26:29], v17 offset:128
	ds_load_b128 v[30:33], v17 offset:144
	ds_load_b128 v[34:37], v16 offset:2304
	v_mul_f64_e32 v[52:53], v[48:49], v[52:53]
	v_fma_f64 v[38:39], v[42:43], v[38:39], -v[40:41]
	v_add_f64_e32 v[2:3], v[2:3], v[54:55]
	s_wait_dscnt 0x2
	v_mul_f64_e32 v[54:55], v[26:27], v[24:25]
	v_fmac_f64_e32 v[14:15], v[48:49], v[50:51]
	v_mul_f64_e32 v[24:25], v[28:29], v[24:25]
	v_add_f64_e32 v[40:41], v[58:59], v[44:45]
	;; [unrolled: 18-line block ×4, first 2 shown]
	v_add_f64_e32 v[2:3], v[2:3], v[14:15]
	s_wait_dscnt 0x0
	v_mul_f64_e32 v[14:15], v[30:31], v[36:37]
	v_fmac_f64_e32 v[56:57], v[28:29], v[22:23]
	v_fma_f64 v[28:29], v[46:47], v[50:51], -v[52:53]
	v_add_f64_e32 v[58:59], v[40:41], v[38:39]
	ds_load_b128 v[38:41], v16 offset:3584
	ds_load_b128 v[42:45], v17 offset:224
	;; [unrolled: 1-line block ×4, first 2 shown]
	v_mul_f64_e32 v[36:37], v[32:33], v[36:37]
	v_fma_f64 v[22:23], v[26:27], v[22:23], -v[24:25]
	s_wait_dscnt 0x0
	v_mul_f64_e32 v[26:27], v[46:47], v[52:53]
	v_add_f64_e32 v[2:3], v[2:3], v[54:55]
	v_mul_f64_e32 v[54:55], v[42:43], v[40:41]
	v_fmac_f64_e32 v[14:15], v[32:33], v[34:35]
	v_add_f64_e32 v[24:25], v[58:59], v[28:29]
	v_mul_f64_e32 v[28:29], v[44:45], v[40:41]
	v_fma_f64 v[30:31], v[30:31], v[34:35], -v[36:37]
	v_fmac_f64_e32 v[26:27], v[48:49], v[50:51]
	v_add_f64_e32 v[2:3], v[2:3], v[56:57]
	v_fmac_f64_e32 v[54:55], v[44:45], v[38:39]
	v_add_f64_e32 v[22:23], v[24:25], v[22:23]
	v_fma_f64 v[24:25], v[42:43], v[38:39], -v[28:29]
	s_delay_alu instid0(VALU_DEP_4) | instskip(SKIP_1) | instid1(VALU_DEP_4)
	v_add_f64_e32 v[2:3], v[2:3], v[14:15]
	v_mul_f64_e32 v[14:15], v[48:49], v[52:53]
	v_add_f64_e32 v[22:23], v[22:23], v[30:31]
	s_delay_alu instid0(VALU_DEP_3) | instskip(NEXT) | instid1(VALU_DEP_3)
	v_add_f64_e32 v[2:3], v[2:3], v[54:55]
	v_fma_f64 v[14:15], v[46:47], v[50:51], -v[14:15]
	s_delay_alu instid0(VALU_DEP_3) | instskip(NEXT) | instid1(VALU_DEP_3)
	v_add_f64_e32 v[22:23], v[22:23], v[24:25]
	v_add_f64_e32 v[2:3], v[2:3], v[26:27]
	s_delay_alu instid0(VALU_DEP_2) | instskip(NEXT) | instid1(VALU_DEP_2)
	v_add_f64_e32 v[14:15], v[22:23], v[14:15]
	v_mul_f64_e32 v[24:25], s[28:29], v[2:3]
	v_mul_f64_e32 v[2:3], s[30:31], v[2:3]
	s_delay_alu instid0(VALU_DEP_2) | instskip(NEXT) | instid1(VALU_DEP_2)
	v_fmac_f64_e32 v[24:25], s[30:31], v[14:15]
	v_fma_f64 v[22:23], s[28:29], v[14:15], -v[2:3]
	v_add_nc_u64_e32 v[2:3], s[10:11], v[12:13]
	s_delay_alu instid0(VALU_DEP_1) | instskip(NEXT) | instid1(VALU_DEP_1)
	v_add_nc_u64_e32 v[2:3], s[12:13], v[2:3]
	v_lshl_add_u64 v[2:3], v[10:11], 4, v[2:3]
	s_delay_alu instid0(VALU_DEP_1)
	v_add_nc_u64_e32 v[2:3], v[2:3], v[4:5]
	flat_store_b128 v[2:3], v[22:25]
	s_branch .LBB183_2
.LBB183_19:
	s_endpgm
	.section	.rodata,"a",@progbits
	.p2align	6, 0x0
	.amdhsa_kernel _ZL23rocblas_trmm_lTx_kernelILi16ELb0E19rocblas_complex_numIdES1_KPKS1_KPS1_Ev13rocblas_fill_17rocblas_diagonal_iiT2_lPT3_llSB_llPT4_lli
		.amdhsa_group_segment_fixed_size 8192
		.amdhsa_private_segment_fixed_size 0
		.amdhsa_kernarg_size 116
		.amdhsa_user_sgpr_count 2
		.amdhsa_user_sgpr_dispatch_ptr 0
		.amdhsa_user_sgpr_queue_ptr 0
		.amdhsa_user_sgpr_kernarg_segment_ptr 1
		.amdhsa_user_sgpr_dispatch_id 0
		.amdhsa_user_sgpr_kernarg_preload_length 0
		.amdhsa_user_sgpr_kernarg_preload_offset 0
		.amdhsa_user_sgpr_private_segment_size 0
		.amdhsa_wavefront_size32 1
		.amdhsa_uses_dynamic_stack 0
		.amdhsa_enable_private_segment 0
		.amdhsa_system_sgpr_workgroup_id_x 1
		.amdhsa_system_sgpr_workgroup_id_y 0
		.amdhsa_system_sgpr_workgroup_id_z 1
		.amdhsa_system_sgpr_workgroup_info 0
		.amdhsa_system_vgpr_workitem_id 1
		.amdhsa_next_free_vgpr 60
		.amdhsa_next_free_sgpr 42
		.amdhsa_named_barrier_count 0
		.amdhsa_reserve_vcc 1
		.amdhsa_float_round_mode_32 0
		.amdhsa_float_round_mode_16_64 0
		.amdhsa_float_denorm_mode_32 3
		.amdhsa_float_denorm_mode_16_64 3
		.amdhsa_fp16_overflow 0
		.amdhsa_memory_ordered 1
		.amdhsa_forward_progress 1
		.amdhsa_inst_pref_size 14
		.amdhsa_round_robin_scheduling 0
		.amdhsa_exception_fp_ieee_invalid_op 0
		.amdhsa_exception_fp_denorm_src 0
		.amdhsa_exception_fp_ieee_div_zero 0
		.amdhsa_exception_fp_ieee_overflow 0
		.amdhsa_exception_fp_ieee_underflow 0
		.amdhsa_exception_fp_ieee_inexact 0
		.amdhsa_exception_int_div_zero 0
	.end_amdhsa_kernel
	.section	.text._ZL23rocblas_trmm_lTx_kernelILi16ELb0E19rocblas_complex_numIdES1_KPKS1_KPS1_Ev13rocblas_fill_17rocblas_diagonal_iiT2_lPT3_llSB_llPT4_lli,"axG",@progbits,_ZL23rocblas_trmm_lTx_kernelILi16ELb0E19rocblas_complex_numIdES1_KPKS1_KPS1_Ev13rocblas_fill_17rocblas_diagonal_iiT2_lPT3_llSB_llPT4_lli,comdat
.Lfunc_end183:
	.size	_ZL23rocblas_trmm_lTx_kernelILi16ELb0E19rocblas_complex_numIdES1_KPKS1_KPS1_Ev13rocblas_fill_17rocblas_diagonal_iiT2_lPT3_llSB_llPT4_lli, .Lfunc_end183-_ZL23rocblas_trmm_lTx_kernelILi16ELb0E19rocblas_complex_numIdES1_KPKS1_KPS1_Ev13rocblas_fill_17rocblas_diagonal_iiT2_lPT3_llSB_llPT4_lli
                                        ; -- End function
	.set _ZL23rocblas_trmm_lTx_kernelILi16ELb0E19rocblas_complex_numIdES1_KPKS1_KPS1_Ev13rocblas_fill_17rocblas_diagonal_iiT2_lPT3_llSB_llPT4_lli.num_vgpr, 60
	.set _ZL23rocblas_trmm_lTx_kernelILi16ELb0E19rocblas_complex_numIdES1_KPKS1_KPS1_Ev13rocblas_fill_17rocblas_diagonal_iiT2_lPT3_llSB_llPT4_lli.num_agpr, 0
	.set _ZL23rocblas_trmm_lTx_kernelILi16ELb0E19rocblas_complex_numIdES1_KPKS1_KPS1_Ev13rocblas_fill_17rocblas_diagonal_iiT2_lPT3_llSB_llPT4_lli.numbered_sgpr, 42
	.set _ZL23rocblas_trmm_lTx_kernelILi16ELb0E19rocblas_complex_numIdES1_KPKS1_KPS1_Ev13rocblas_fill_17rocblas_diagonal_iiT2_lPT3_llSB_llPT4_lli.num_named_barrier, 0
	.set _ZL23rocblas_trmm_lTx_kernelILi16ELb0E19rocblas_complex_numIdES1_KPKS1_KPS1_Ev13rocblas_fill_17rocblas_diagonal_iiT2_lPT3_llSB_llPT4_lli.private_seg_size, 0
	.set _ZL23rocblas_trmm_lTx_kernelILi16ELb0E19rocblas_complex_numIdES1_KPKS1_KPS1_Ev13rocblas_fill_17rocblas_diagonal_iiT2_lPT3_llSB_llPT4_lli.uses_vcc, 1
	.set _ZL23rocblas_trmm_lTx_kernelILi16ELb0E19rocblas_complex_numIdES1_KPKS1_KPS1_Ev13rocblas_fill_17rocblas_diagonal_iiT2_lPT3_llSB_llPT4_lli.uses_flat_scratch, 0
	.set _ZL23rocblas_trmm_lTx_kernelILi16ELb0E19rocblas_complex_numIdES1_KPKS1_KPS1_Ev13rocblas_fill_17rocblas_diagonal_iiT2_lPT3_llSB_llPT4_lli.has_dyn_sized_stack, 0
	.set _ZL23rocblas_trmm_lTx_kernelILi16ELb0E19rocblas_complex_numIdES1_KPKS1_KPS1_Ev13rocblas_fill_17rocblas_diagonal_iiT2_lPT3_llSB_llPT4_lli.has_recursion, 0
	.set _ZL23rocblas_trmm_lTx_kernelILi16ELb0E19rocblas_complex_numIdES1_KPKS1_KPS1_Ev13rocblas_fill_17rocblas_diagonal_iiT2_lPT3_llSB_llPT4_lli.has_indirect_call, 0
	.section	.AMDGPU.csdata,"",@progbits
; Kernel info:
; codeLenInByte = 1696
; TotalNumSgprs: 44
; NumVgprs: 60
; ScratchSize: 0
; MemoryBound: 0
; FloatMode: 240
; IeeeMode: 1
; LDSByteSize: 8192 bytes/workgroup (compile time only)
; SGPRBlocks: 0
; VGPRBlocks: 3
; NumSGPRsForWavesPerEU: 44
; NumVGPRsForWavesPerEU: 60
; NamedBarCnt: 0
; Occupancy: 16
; WaveLimiterHint : 1
; COMPUTE_PGM_RSRC2:SCRATCH_EN: 0
; COMPUTE_PGM_RSRC2:USER_SGPR: 2
; COMPUTE_PGM_RSRC2:TRAP_HANDLER: 0
; COMPUTE_PGM_RSRC2:TGID_X_EN: 1
; COMPUTE_PGM_RSRC2:TGID_Y_EN: 0
; COMPUTE_PGM_RSRC2:TGID_Z_EN: 1
; COMPUTE_PGM_RSRC2:TIDIG_COMP_CNT: 1
	.section	.text._ZL23rocblas_trmm_lTx_kernelILi16ELb1E19rocblas_complex_numIdEPKS1_KS3_KPS1_Ev13rocblas_fill_17rocblas_diagonal_iiT2_lPT3_llSB_llPT4_lli,"axG",@progbits,_ZL23rocblas_trmm_lTx_kernelILi16ELb1E19rocblas_complex_numIdEPKS1_KS3_KPS1_Ev13rocblas_fill_17rocblas_diagonal_iiT2_lPT3_llSB_llPT4_lli,comdat
	.globl	_ZL23rocblas_trmm_lTx_kernelILi16ELb1E19rocblas_complex_numIdEPKS1_KS3_KPS1_Ev13rocblas_fill_17rocblas_diagonal_iiT2_lPT3_llSB_llPT4_lli ; -- Begin function _ZL23rocblas_trmm_lTx_kernelILi16ELb1E19rocblas_complex_numIdEPKS1_KS3_KPS1_Ev13rocblas_fill_17rocblas_diagonal_iiT2_lPT3_llSB_llPT4_lli
	.p2align	8
	.type	_ZL23rocblas_trmm_lTx_kernelILi16ELb1E19rocblas_complex_numIdEPKS1_KS3_KPS1_Ev13rocblas_fill_17rocblas_diagonal_iiT2_lPT3_llSB_llPT4_lli,@function
_ZL23rocblas_trmm_lTx_kernelILi16ELb1E19rocblas_complex_numIdEPKS1_KS3_KPS1_Ev13rocblas_fill_17rocblas_diagonal_iiT2_lPT3_llSB_llPT4_lli: ; @_ZL23rocblas_trmm_lTx_kernelILi16ELb1E19rocblas_complex_numIdEPKS1_KS3_KPS1_Ev13rocblas_fill_17rocblas_diagonal_iiT2_lPT3_llSB_llPT4_lli
; %bb.0:
	s_load_b32 s33, s[0:1], 0x68
	s_bfe_u32 s2, ttmp6, 0x40014
	s_lshr_b32 s3, ttmp7, 16
	s_add_co_i32 s2, s2, 1
	s_bfe_u32 s5, ttmp6, 0x40008
	s_mul_i32 s4, s3, s2
	s_getreg_b32 s2, hwreg(HW_REG_IB_STS2, 6, 4)
	s_add_co_i32 s5, s5, s4
	s_cmp_eq_u32 s2, 0
	s_mov_b32 s7, 0
	s_cselect_b32 s6, s3, s5
	s_wait_kmcnt 0x0
	s_cmp_ge_u32 s6, s33
	s_cbranch_scc1 .LBB184_19
; %bb.1:
	s_clause 0x3
	s_load_b128 s[28:31], s[0:1], 0x0
	s_load_b512 s[8:23], s[0:1], 0x10
	s_load_b64 s[34:35], s[0:1], 0x60
	s_load_b128 s[24:27], s[0:1], 0x50
	s_wait_xcnt 0x0
	s_bfe_u32 s0, ttmp6, 0x4000c
	v_bfe_u32 v8, v0, 10, 10
	v_mov_b32_e32 v9, 0
	s_add_co_i32 s0, s0, 1
	s_and_b32 s3, ttmp6, 15
	s_mul_i32 s4, ttmp9, s0
	v_lshlrev_b32_e32 v1, 4, v8
	s_add_co_i32 s3, s3, s4
	v_and_b32_e32 v0, 0x3ff, v0
	v_lshl_add_u32 v21, v8, 8, 0x1000
	s_delay_alu instid0(VALU_DEP_2)
	v_dual_lshlrev_b32 v2, 8, v0 :: v_dual_lshlrev_b32 v20, 4, v0
	v_cmp_eq_u32_e32 vcc_lo, v8, v0
	s_wait_kmcnt 0x0
	s_add_co_i32 s5, s31, -1
	v_mul_u64_e32 v[10:11], s[14:15], v[8:9]
	s_ashr_i32 s4, s5, 31
	v_mul_u64_e32 v[12:13], s[20:21], v[8:9]
	v_mul_u64_e32 v[14:15], s[26:27], v[8:9]
	s_lshr_b32 s4, s4, 28
	v_add_lshl_u32 v22, v1, v0, 4
	s_add_co_i32 s5, s5, s4
	v_cmp_lt_u32_e64 s0, v0, v8
	s_and_b32 s4, s5, -16
	s_ashr_i32 s5, s5, 4
	s_sub_co_i32 s4, s31, s4
	s_cmp_eq_u32 s2, 0
	v_cmp_gt_i32_e64 s2, s30, v8
	s_cselect_b32 s14, ttmp9, s3
	v_cmp_gt_i32_e64 s3, s30, v0
	s_cmp_ge_i32 s14, s5
	v_cmp_gt_u32_e64 s1, v0, v8
	s_cselect_b32 s4, s4, 16
	s_lshl_b32 s14, s14, 4
	v_cmp_gt_i32_e64 s4, s4, v8
	s_and_b32 s30, s2, s3
	s_ashr_i32 s15, s14, 31
	v_dual_add_nc_u32 v23, v1, v2 :: v_dual_lshlrev_b32 v8, 4, v0
	s_and_b32 s3, s3, s4
	s_cmp_eq_u32 s29, 0x84
	v_add_nc_u32_e32 v24, 0x1000, v22
	s_cselect_b32 s2, -1, 0
	v_mov_b32_e32 v1, 0x3ff00000
	s_and_b32 s29, vcc_lo, s2
	s_mul_u64 s[20:21], s[20:21], s[14:15]
	s_cmp_lg_u32 s28, 0x7a
	s_mul_u64 s[36:37], s[26:27], s[14:15]
	s_cselect_b32 s26, -1, 0
	s_lshl_b64 s[4:5], s[16:17], 4
	s_lshl_b64 s[14:15], s[22:23], 4
	;; [unrolled: 1-line block ×5, first 2 shown]
	s_branch .LBB184_4
.LBB184_2:                              ;   in Loop: Header=BB184_4 Depth=1
	s_wait_xcnt 0x0
	s_or_b32 exec_lo, exec_lo, s2
.LBB184_3:                              ;   in Loop: Header=BB184_4 Depth=1
	s_add_co_i32 s6, s6, 0x10000
	s_delay_alu instid0(SALU_CYCLE_1)
	s_cmp_lt_u32 s6, s33
	s_cbranch_scc0 .LBB184_19
.LBB184_4:                              ; =>This Inner Loop Header: Depth=1
	s_wait_xcnt 0x0
	s_mul_u64 s[34:35], s[10:11], s[6:7]
	s_delay_alu instid0(SALU_CYCLE_1) | instskip(NEXT) | instid1(SALU_CYCLE_1)
	s_lshl_b64 s[34:35], s[34:35], 4
	s_add_nc_u64 s[34:35], s[8:9], s[34:35]
	global_load_b128 v[4:7], v9, s[34:35]
	s_wait_loadcnt 0x0
	v_cmp_neq_f64_e32 vcc_lo, 0, v[4:5]
	v_cmp_neq_f64_e64 s2, 0, v[6:7]
	s_or_b32 s2, vcc_lo, s2
	s_delay_alu instid0(SALU_CYCLE_1)
	s_and_not1_b32 vcc_lo, exec_lo, s2
	s_cbranch_vccnz .LBB184_3
; %bb.5:                                ;   in Loop: Header=BB184_4 Depth=1
	s_wait_xcnt 0x0
	s_lshl_b64 s[34:35], s[6:7], 3
	s_delay_alu instid0(SALU_CYCLE_1)
	s_add_nc_u64 s[36:37], s[12:13], s[34:35]
	s_add_nc_u64 s[38:39], s[18:19], s[34:35]
	;; [unrolled: 1-line block ×3, first 2 shown]
	s_clause 0x2
	global_load_b64 v[18:19], v9, s[36:37]
	global_load_b64 v[2:3], v9, s[38:39]
	;; [unrolled: 1-line block ×3, first 2 shown]
	s_wait_xcnt 0x2
	s_mov_b32 s36, s7
	s_mov_b32 s37, s7
	s_wait_xcnt 0x1
	s_mov_b32 s38, s7
	s_mov_b32 s39, s7
	v_mov_b64_e32 v[26:27], s[36:37]
	v_mov_b64_e32 v[28:29], s[38:39]
	ds_store_b128 v22, v[26:29]
	ds_store_b128 v24, v[26:29]
	s_wait_loadcnt_dscnt 0x0
	s_barrier_signal -1
	s_barrier_wait -1
	s_wait_xcnt 0x0
	s_and_saveexec_b32 s2, s30
	s_cbranch_execnz .LBB184_11
; %bb.6:                                ;   in Loop: Header=BB184_4 Depth=1
	s_or_b32 exec_lo, exec_lo, s2
	s_and_saveexec_b32 s2, s3
	s_cbranch_execnz .LBB184_12
.LBB184_7:                              ;   in Loop: Header=BB184_4 Depth=1
	s_or_b32 exec_lo, exec_lo, s2
	s_and_saveexec_b32 s2, s29
.LBB184_8:                              ;   in Loop: Header=BB184_4 Depth=1
	v_dual_mov_b32 v0, v9 :: v_dual_mov_b32 v2, v9
	v_mov_b32_e32 v3, v9
	ds_store_b128 v22, v[0:3]
.LBB184_9:                              ;   in Loop: Header=BB184_4 Depth=1
	s_or_b32 exec_lo, exec_lo, s2
	s_delay_alu instid0(SALU_CYCLE_1)
	s_and_b32 vcc_lo, exec_lo, s26
	s_wait_dscnt 0x0
	s_barrier_signal -1
	s_barrier_wait -1
	s_cbranch_vccz .LBB184_13
; %bb.10:                               ;   in Loop: Header=BB184_4 Depth=1
	s_and_b32 s2, s0, exec_lo
	s_cbranch_execz .LBB184_14
	s_branch .LBB184_15
.LBB184_11:                             ;   in Loop: Header=BB184_4 Depth=1
	v_add_nc_u64_e32 v[18:19], s[4:5], v[18:19]
	s_delay_alu instid0(VALU_DEP_1) | instskip(NEXT) | instid1(VALU_DEP_1)
	v_lshl_add_u64 v[18:19], v[10:11], 4, v[18:19]
	v_add_nc_u64_e32 v[18:19], v[18:19], v[8:9]
	flat_load_b128 v[26:29], v[18:19]
	s_wait_loadcnt_dscnt 0x0
	v_xor_b32_e32 v29, 0x80000000, v29
	ds_store_b128 v23, v[26:29]
	s_wait_xcnt 0x0
	s_or_b32 exec_lo, exec_lo, s2
	s_and_saveexec_b32 s2, s3
	s_cbranch_execz .LBB184_7
.LBB184_12:                             ;   in Loop: Header=BB184_4 Depth=1
	v_add_nc_u64_e32 v[2:3], s[14:15], v[2:3]
	s_delay_alu instid0(VALU_DEP_1) | instskip(NEXT) | instid1(VALU_DEP_1)
	v_add_nc_u64_e32 v[2:3], s[16:17], v[2:3]
	v_lshl_add_u64 v[2:3], v[12:13], 4, v[2:3]
	s_delay_alu instid0(VALU_DEP_1)
	v_add_nc_u64_e32 v[2:3], v[2:3], v[8:9]
	flat_load_b128 v[26:29], v[2:3]
	s_wait_loadcnt_dscnt 0x0
	ds_store_2addr_b64 v24, v[26:27], v[28:29] offset1:1
	s_wait_xcnt 0x0
	s_or_b32 exec_lo, exec_lo, s2
	s_and_saveexec_b32 s2, s29
	s_cbranch_execnz .LBB184_8
	s_branch .LBB184_9
.LBB184_13:                             ;   in Loop: Header=BB184_4 Depth=1
	s_mov_b32 s2, 0
.LBB184_14:                             ;   in Loop: Header=BB184_4 Depth=1
	s_delay_alu instid0(SALU_CYCLE_1) | instskip(SKIP_1) | instid1(SALU_CYCLE_1)
	s_and_not1_b32 s2, s2, exec_lo
	s_and_b32 s27, s1, exec_lo
	s_or_b32 s2, s2, s27
.LBB184_15:                             ;   in Loop: Header=BB184_4 Depth=1
	s_delay_alu instid0(SALU_CYCLE_1)
	s_and_saveexec_b32 s27, s2
; %bb.16:                               ;   in Loop: Header=BB184_4 Depth=1
	v_dual_mov_b32 v26, v9 :: v_dual_mov_b32 v27, v9
	v_dual_mov_b32 v28, v9 :: v_dual_mov_b32 v29, v9
	ds_store_b128 v22, v[26:29]
; %bb.17:                               ;   in Loop: Header=BB184_4 Depth=1
	s_or_b32 exec_lo, exec_lo, s27
	s_wait_dscnt 0x0
	s_barrier_signal -1
	s_barrier_wait -1
	s_and_saveexec_b32 s2, s3
	s_cbranch_execz .LBB184_2
; %bb.18:                               ;   in Loop: Header=BB184_4 Depth=1
	ds_load_b128 v[26:29], v20
	ds_load_b128 v[30:33], v21
	ds_load_b128 v[34:37], v21 offset:16
	ds_load_b128 v[38:41], v20 offset:256
	ds_load_b128 v[42:45], v20 offset:512
	ds_load_b128 v[46:49], v21 offset:32
	ds_load_b128 v[50:53], v21 offset:48
	ds_load_b128 v[54:57], v20 offset:768
	s_wait_dscnt 0x6
	v_mul_f64_e32 v[2:3], v[30:31], v[28:29]
	v_mul_f64_e32 v[28:29], v[32:33], v[28:29]
	s_wait_dscnt 0x4
	v_mul_f64_e32 v[18:19], v[34:35], v[40:41]
	s_wait_dscnt 0x2
	v_mul_f64_e32 v[58:59], v[46:47], v[44:45]
	s_wait_dscnt 0x0
	v_mul_f64_e32 v[60:61], v[50:51], v[56:57]
	v_mul_f64_e32 v[44:45], v[48:49], v[44:45]
	;; [unrolled: 1-line block ×3, first 2 shown]
	v_fmac_f64_e32 v[2:3], v[32:33], v[26:27]
	v_mul_f64_e32 v[32:33], v[36:37], v[40:41]
	v_fmac_f64_e32 v[18:19], v[36:37], v[38:39]
	v_fma_f64 v[26:27], v[30:31], v[26:27], -v[28:29]
	v_fmac_f64_e32 v[58:59], v[48:49], v[42:43]
	v_fmac_f64_e32 v[60:61], v[52:53], v[54:55]
	v_fma_f64 v[42:43], v[46:47], v[42:43], -v[44:45]
	v_add_f64_e32 v[2:3], 0, v[2:3]
	v_fma_f64 v[48:49], v[34:35], v[38:39], -v[32:33]
	v_add_f64_e32 v[62:63], 0, v[26:27]
	ds_load_b128 v[26:29], v20 offset:1024
	ds_load_b128 v[30:33], v21 offset:64
	;; [unrolled: 1-line block ×4, first 2 shown]
	v_add_f64_e32 v[2:3], v[2:3], v[18:19]
	s_wait_dscnt 0x2
	v_mul_f64_e32 v[18:19], v[30:31], v[28:29]
	v_mul_f64_e32 v[28:29], v[32:33], v[28:29]
	v_add_f64_e32 v[44:45], v[62:63], v[48:49]
	s_delay_alu instid0(VALU_DEP_4)
	v_add_f64_e32 v[2:3], v[2:3], v[58:59]
	s_wait_dscnt 0x0
	v_mul_f64_e32 v[58:59], v[34:35], v[40:41]
	v_fmac_f64_e32 v[18:19], v[32:33], v[26:27]
	v_fma_f64 v[32:33], v[50:51], v[54:55], -v[56:57]
	v_add_f64_e32 v[62:63], v[44:45], v[42:43]
	ds_load_b128 v[42:45], v20 offset:1536
	ds_load_b128 v[46:49], v21 offset:96
	ds_load_b128 v[50:53], v21 offset:112
	ds_load_b128 v[54:57], v20 offset:1792
	v_mul_f64_e32 v[40:41], v[36:37], v[40:41]
	v_fma_f64 v[26:27], v[30:31], v[26:27], -v[28:29]
	v_add_f64_e32 v[2:3], v[2:3], v[60:61]
	s_wait_dscnt 0x2
	v_mul_f64_e32 v[60:61], v[46:47], v[44:45]
	v_fmac_f64_e32 v[58:59], v[36:37], v[38:39]
	v_mul_f64_e32 v[44:45], v[48:49], v[44:45]
	v_add_f64_e32 v[28:29], v[62:63], v[32:33]
	v_add_f64_e32 v[2:3], v[2:3], v[18:19]
	s_wait_dscnt 0x0
	v_mul_f64_e32 v[18:19], v[50:51], v[56:57]
	v_fmac_f64_e32 v[60:61], v[48:49], v[42:43]
	v_fma_f64 v[48:49], v[34:35], v[38:39], -v[40:41]
	v_add_f64_e32 v[62:63], v[28:29], v[26:27]
	ds_load_b128 v[26:29], v20 offset:2048
	ds_load_b128 v[30:33], v21 offset:128
	ds_load_b128 v[34:37], v21 offset:144
	ds_load_b128 v[38:41], v20 offset:2304
	v_mul_f64_e32 v[56:57], v[52:53], v[56:57]
	v_fma_f64 v[42:43], v[46:47], v[42:43], -v[44:45]
	v_add_f64_e32 v[2:3], v[2:3], v[58:59]
	s_wait_dscnt 0x2
	v_mul_f64_e32 v[58:59], v[30:31], v[28:29]
	v_fmac_f64_e32 v[18:19], v[52:53], v[54:55]
	v_mul_f64_e32 v[28:29], v[32:33], v[28:29]
	v_add_f64_e32 v[44:45], v[62:63], v[48:49]
	;; [unrolled: 18-line block ×4, first 2 shown]
	v_add_f64_e32 v[2:3], v[2:3], v[18:19]
	s_wait_dscnt 0x0
	v_mul_f64_e32 v[18:19], v[34:35], v[40:41]
	v_fmac_f64_e32 v[60:61], v[32:33], v[26:27]
	v_fma_f64 v[32:33], v[50:51], v[54:55], -v[56:57]
	v_add_f64_e32 v[62:63], v[44:45], v[42:43]
	ds_load_b128 v[42:45], v20 offset:3584
	ds_load_b128 v[46:49], v21 offset:224
	;; [unrolled: 1-line block ×4, first 2 shown]
	v_mul_f64_e32 v[40:41], v[36:37], v[40:41]
	v_fma_f64 v[26:27], v[30:31], v[26:27], -v[28:29]
	s_wait_dscnt 0x0
	v_mul_f64_e32 v[30:31], v[50:51], v[56:57]
	v_add_f64_e32 v[2:3], v[2:3], v[58:59]
	v_mul_f64_e32 v[58:59], v[46:47], v[44:45]
	v_fmac_f64_e32 v[18:19], v[36:37], v[38:39]
	v_add_f64_e32 v[28:29], v[62:63], v[32:33]
	v_mul_f64_e32 v[32:33], v[48:49], v[44:45]
	v_fma_f64 v[34:35], v[34:35], v[38:39], -v[40:41]
	v_fmac_f64_e32 v[30:31], v[52:53], v[54:55]
	v_add_f64_e32 v[2:3], v[2:3], v[60:61]
	v_fmac_f64_e32 v[58:59], v[48:49], v[42:43]
	v_add_f64_e32 v[26:27], v[28:29], v[26:27]
	v_fma_f64 v[28:29], v[46:47], v[42:43], -v[32:33]
	s_delay_alu instid0(VALU_DEP_4) | instskip(SKIP_1) | instid1(VALU_DEP_4)
	v_add_f64_e32 v[2:3], v[2:3], v[18:19]
	v_mul_f64_e32 v[18:19], v[52:53], v[56:57]
	v_add_f64_e32 v[26:27], v[26:27], v[34:35]
	s_delay_alu instid0(VALU_DEP_3) | instskip(NEXT) | instid1(VALU_DEP_3)
	v_add_f64_e32 v[2:3], v[2:3], v[58:59]
	v_fma_f64 v[18:19], v[50:51], v[54:55], -v[18:19]
	s_delay_alu instid0(VALU_DEP_3) | instskip(NEXT) | instid1(VALU_DEP_3)
	v_add_f64_e32 v[26:27], v[26:27], v[28:29]
	v_add_f64_e32 v[2:3], v[2:3], v[30:31]
	s_delay_alu instid0(VALU_DEP_2) | instskip(NEXT) | instid1(VALU_DEP_2)
	v_add_f64_e32 v[18:19], v[26:27], v[18:19]
	v_mul_f64_e32 v[28:29], v[4:5], v[2:3]
	v_mul_f64_e32 v[2:3], v[6:7], v[2:3]
	s_delay_alu instid0(VALU_DEP_2) | instskip(NEXT) | instid1(VALU_DEP_2)
	v_fmac_f64_e32 v[28:29], v[6:7], v[18:19]
	v_fma_f64 v[26:27], v[4:5], v[18:19], -v[2:3]
	v_add_nc_u64_e32 v[2:3], s[20:21], v[16:17]
	s_delay_alu instid0(VALU_DEP_1) | instskip(NEXT) | instid1(VALU_DEP_1)
	v_add_nc_u64_e32 v[2:3], s[22:23], v[2:3]
	v_lshl_add_u64 v[2:3], v[14:15], 4, v[2:3]
	s_delay_alu instid0(VALU_DEP_1)
	v_add_nc_u64_e32 v[2:3], v[2:3], v[8:9]
	flat_store_b128 v[2:3], v[26:29]
	s_branch .LBB184_2
.LBB184_19:
	s_endpgm
	.section	.rodata,"a",@progbits
	.p2align	6, 0x0
	.amdhsa_kernel _ZL23rocblas_trmm_lTx_kernelILi16ELb1E19rocblas_complex_numIdEPKS1_KS3_KPS1_Ev13rocblas_fill_17rocblas_diagonal_iiT2_lPT3_llSB_llPT4_lli
		.amdhsa_group_segment_fixed_size 8192
		.amdhsa_private_segment_fixed_size 0
		.amdhsa_kernarg_size 108
		.amdhsa_user_sgpr_count 2
		.amdhsa_user_sgpr_dispatch_ptr 0
		.amdhsa_user_sgpr_queue_ptr 0
		.amdhsa_user_sgpr_kernarg_segment_ptr 1
		.amdhsa_user_sgpr_dispatch_id 0
		.amdhsa_user_sgpr_kernarg_preload_length 0
		.amdhsa_user_sgpr_kernarg_preload_offset 0
		.amdhsa_user_sgpr_private_segment_size 0
		.amdhsa_wavefront_size32 1
		.amdhsa_uses_dynamic_stack 0
		.amdhsa_enable_private_segment 0
		.amdhsa_system_sgpr_workgroup_id_x 1
		.amdhsa_system_sgpr_workgroup_id_y 0
		.amdhsa_system_sgpr_workgroup_id_z 1
		.amdhsa_system_sgpr_workgroup_info 0
		.amdhsa_system_vgpr_workitem_id 1
		.amdhsa_next_free_vgpr 64
		.amdhsa_next_free_sgpr 40
		.amdhsa_named_barrier_count 0
		.amdhsa_reserve_vcc 1
		.amdhsa_float_round_mode_32 0
		.amdhsa_float_round_mode_16_64 0
		.amdhsa_float_denorm_mode_32 3
		.amdhsa_float_denorm_mode_16_64 3
		.amdhsa_fp16_overflow 0
		.amdhsa_memory_ordered 1
		.amdhsa_forward_progress 1
		.amdhsa_inst_pref_size 14
		.amdhsa_round_robin_scheduling 0
		.amdhsa_exception_fp_ieee_invalid_op 0
		.amdhsa_exception_fp_denorm_src 0
		.amdhsa_exception_fp_ieee_div_zero 0
		.amdhsa_exception_fp_ieee_overflow 0
		.amdhsa_exception_fp_ieee_underflow 0
		.amdhsa_exception_fp_ieee_inexact 0
		.amdhsa_exception_int_div_zero 0
	.end_amdhsa_kernel
	.section	.text._ZL23rocblas_trmm_lTx_kernelILi16ELb1E19rocblas_complex_numIdEPKS1_KS3_KPS1_Ev13rocblas_fill_17rocblas_diagonal_iiT2_lPT3_llSB_llPT4_lli,"axG",@progbits,_ZL23rocblas_trmm_lTx_kernelILi16ELb1E19rocblas_complex_numIdEPKS1_KS3_KPS1_Ev13rocblas_fill_17rocblas_diagonal_iiT2_lPT3_llSB_llPT4_lli,comdat
.Lfunc_end184:
	.size	_ZL23rocblas_trmm_lTx_kernelILi16ELb1E19rocblas_complex_numIdEPKS1_KS3_KPS1_Ev13rocblas_fill_17rocblas_diagonal_iiT2_lPT3_llSB_llPT4_lli, .Lfunc_end184-_ZL23rocblas_trmm_lTx_kernelILi16ELb1E19rocblas_complex_numIdEPKS1_KS3_KPS1_Ev13rocblas_fill_17rocblas_diagonal_iiT2_lPT3_llSB_llPT4_lli
                                        ; -- End function
	.set _ZL23rocblas_trmm_lTx_kernelILi16ELb1E19rocblas_complex_numIdEPKS1_KS3_KPS1_Ev13rocblas_fill_17rocblas_diagonal_iiT2_lPT3_llSB_llPT4_lli.num_vgpr, 64
	.set _ZL23rocblas_trmm_lTx_kernelILi16ELb1E19rocblas_complex_numIdEPKS1_KS3_KPS1_Ev13rocblas_fill_17rocblas_diagonal_iiT2_lPT3_llSB_llPT4_lli.num_agpr, 0
	.set _ZL23rocblas_trmm_lTx_kernelILi16ELb1E19rocblas_complex_numIdEPKS1_KS3_KPS1_Ev13rocblas_fill_17rocblas_diagonal_iiT2_lPT3_llSB_llPT4_lli.numbered_sgpr, 40
	.set _ZL23rocblas_trmm_lTx_kernelILi16ELb1E19rocblas_complex_numIdEPKS1_KS3_KPS1_Ev13rocblas_fill_17rocblas_diagonal_iiT2_lPT3_llSB_llPT4_lli.num_named_barrier, 0
	.set _ZL23rocblas_trmm_lTx_kernelILi16ELb1E19rocblas_complex_numIdEPKS1_KS3_KPS1_Ev13rocblas_fill_17rocblas_diagonal_iiT2_lPT3_llSB_llPT4_lli.private_seg_size, 0
	.set _ZL23rocblas_trmm_lTx_kernelILi16ELb1E19rocblas_complex_numIdEPKS1_KS3_KPS1_Ev13rocblas_fill_17rocblas_diagonal_iiT2_lPT3_llSB_llPT4_lli.uses_vcc, 1
	.set _ZL23rocblas_trmm_lTx_kernelILi16ELb1E19rocblas_complex_numIdEPKS1_KS3_KPS1_Ev13rocblas_fill_17rocblas_diagonal_iiT2_lPT3_llSB_llPT4_lli.uses_flat_scratch, 0
	.set _ZL23rocblas_trmm_lTx_kernelILi16ELb1E19rocblas_complex_numIdEPKS1_KS3_KPS1_Ev13rocblas_fill_17rocblas_diagonal_iiT2_lPT3_llSB_llPT4_lli.has_dyn_sized_stack, 0
	.set _ZL23rocblas_trmm_lTx_kernelILi16ELb1E19rocblas_complex_numIdEPKS1_KS3_KPS1_Ev13rocblas_fill_17rocblas_diagonal_iiT2_lPT3_llSB_llPT4_lli.has_recursion, 0
	.set _ZL23rocblas_trmm_lTx_kernelILi16ELb1E19rocblas_complex_numIdEPKS1_KS3_KPS1_Ev13rocblas_fill_17rocblas_diagonal_iiT2_lPT3_llSB_llPT4_lli.has_indirect_call, 0
	.section	.AMDGPU.csdata,"",@progbits
; Kernel info:
; codeLenInByte = 1784
; TotalNumSgprs: 42
; NumVgprs: 64
; ScratchSize: 0
; MemoryBound: 0
; FloatMode: 240
; IeeeMode: 1
; LDSByteSize: 8192 bytes/workgroup (compile time only)
; SGPRBlocks: 0
; VGPRBlocks: 3
; NumSGPRsForWavesPerEU: 42
; NumVGPRsForWavesPerEU: 64
; NamedBarCnt: 0
; Occupancy: 16
; WaveLimiterHint : 1
; COMPUTE_PGM_RSRC2:SCRATCH_EN: 0
; COMPUTE_PGM_RSRC2:USER_SGPR: 2
; COMPUTE_PGM_RSRC2:TRAP_HANDLER: 0
; COMPUTE_PGM_RSRC2:TGID_X_EN: 1
; COMPUTE_PGM_RSRC2:TGID_Y_EN: 0
; COMPUTE_PGM_RSRC2:TGID_Z_EN: 1
; COMPUTE_PGM_RSRC2:TIDIG_COMP_CNT: 1
	.section	.text._ZL23rocblas_trmm_lTx_kernelILi16ELb1E19rocblas_complex_numIdES1_KPKS1_KPS1_Ev13rocblas_fill_17rocblas_diagonal_iiT2_lPT3_llSB_llPT4_lli,"axG",@progbits,_ZL23rocblas_trmm_lTx_kernelILi16ELb1E19rocblas_complex_numIdES1_KPKS1_KPS1_Ev13rocblas_fill_17rocblas_diagonal_iiT2_lPT3_llSB_llPT4_lli,comdat
	.globl	_ZL23rocblas_trmm_lTx_kernelILi16ELb1E19rocblas_complex_numIdES1_KPKS1_KPS1_Ev13rocblas_fill_17rocblas_diagonal_iiT2_lPT3_llSB_llPT4_lli ; -- Begin function _ZL23rocblas_trmm_lTx_kernelILi16ELb1E19rocblas_complex_numIdES1_KPKS1_KPS1_Ev13rocblas_fill_17rocblas_diagonal_iiT2_lPT3_llSB_llPT4_lli
	.p2align	8
	.type	_ZL23rocblas_trmm_lTx_kernelILi16ELb1E19rocblas_complex_numIdES1_KPKS1_KPS1_Ev13rocblas_fill_17rocblas_diagonal_iiT2_lPT3_llSB_llPT4_lli,@function
_ZL23rocblas_trmm_lTx_kernelILi16ELb1E19rocblas_complex_numIdES1_KPKS1_KPS1_Ev13rocblas_fill_17rocblas_diagonal_iiT2_lPT3_llSB_llPT4_lli: ; @_ZL23rocblas_trmm_lTx_kernelILi16ELb1E19rocblas_complex_numIdES1_KPKS1_KPS1_Ev13rocblas_fill_17rocblas_diagonal_iiT2_lPT3_llSB_llPT4_lli
; %bb.0:
	s_load_b32 s33, s[0:1], 0x70
	s_bfe_u32 s2, ttmp6, 0x40014
	s_lshr_b32 s3, ttmp7, 16
	s_add_co_i32 s2, s2, 1
	s_bfe_u32 s5, ttmp6, 0x40008
	s_mul_i32 s4, s3, s2
	s_getreg_b32 s2, hwreg(HW_REG_IB_STS2, 6, 4)
	s_add_co_i32 s5, s5, s4
	s_cmp_eq_u32 s2, 0
	s_mov_b32 s36, 0
	s_cselect_b32 s40, s3, s5
	s_wait_kmcnt 0x0
	s_cmp_ge_u32 s40, s33
	s_cbranch_scc1 .LBB185_19
; %bb.1:
	s_clause 0x2
	s_load_b256 s[24:31], s[0:1], 0x0
	s_load_b512 s[8:23], s[0:1], 0x28
	s_load_b64 s[34:35], s[0:1], 0x68
	s_wait_xcnt 0x0
	s_bfe_u32 s0, ttmp6, 0x4000c
	v_bfe_u32 v4, v0, 10, 10
	s_add_co_i32 s0, s0, 1
	v_mov_b32_e32 v5, 0
	s_and_b32 s5, ttmp6, 15
	s_mul_i32 s6, ttmp9, s0
	v_lshlrev_b32_e32 v2, 4, v4
	s_add_co_i32 s5, s5, s6
	v_and_b32_e32 v0, 0x3ff, v0
	v_mov_b32_e32 v1, 0x3ff00000
	v_lshl_add_u32 v17, v4, 8, 0x1000
	s_delay_alu instid0(VALU_DEP_3)
	v_lshlrev_b32_e32 v3, 8, v0
	v_cmp_eq_u32_e32 vcc_lo, v4, v0
	v_add_lshl_u32 v18, v2, v0, 4
	v_cmp_lt_u32_e64 s0, v0, v4
	v_cmp_gt_u32_e64 s1, v0, v4
	s_wait_kmcnt 0x0
	v_cmp_neq_f64_e64 s3, s[28:29], 0
	v_cmp_neq_f64_e64 s4, s[30:31], 0
	s_add_co_i32 s6, s27, -1
	v_mul_u64_e32 v[6:7], s[10:11], v[4:5]
	s_ashr_i32 s7, s6, 31
	v_mul_u64_e32 v[8:9], s[16:17], v[4:5]
	v_mul_u64_e32 v[10:11], s[22:23], v[4:5]
	s_lshr_b32 s7, s7, 28
	v_lshlrev_b32_e32 v16, 4, v0
	s_add_co_i32 s6, s6, s7
	v_add_nc_u32_e32 v20, 0x1000, v18
	s_and_b32 s7, s6, -16
	s_ashr_i32 s6, s6, 4
	s_sub_co_i32 s7, s27, s7
	s_or_b32 s27, s3, s4
	s_cmp_eq_u32 s2, 0
	v_cmp_gt_i32_e64 s2, s26, v4
	s_cselect_b32 s5, ttmp9, s5
	v_cmp_gt_i32_e64 s3, s26, v0
	s_cmp_ge_i32 s5, s6
	s_cselect_b32 s4, s7, 16
	s_lshl_b32 s6, s5, 4
	v_cmp_gt_i32_e64 s4, s4, v4
	s_and_b32 s26, s2, s3
	s_ashr_i32 s7, s6, 31
	v_dual_lshlrev_b32 v4, 4, v0 :: v_dual_add_nc_u32 v19, v2, v3
	s_and_b32 s41, s3, s4
	s_cmp_eq_u32 s25, 0x84
	s_mul_u64 s[10:11], s[16:17], s[6:7]
	s_cselect_b32 s2, -1, 0
	s_mul_u64 s[22:23], s[22:23], s[6:7]
	s_and_b32 s16, vcc_lo, s2
	s_cmp_lg_u32 s24, 0x7a
	s_cselect_b32 s17, -1, 0
	s_lshl_b64 s[2:3], s[12:13], 4
	s_lshl_b64 s[4:5], s[18:19], 4
	;; [unrolled: 1-line block ×5, first 2 shown]
	s_branch .LBB185_4
.LBB185_2:                              ;   in Loop: Header=BB185_4 Depth=1
	s_wait_xcnt 0x0
	s_or_b32 exec_lo, exec_lo, s18
.LBB185_3:                              ;   in Loop: Header=BB185_4 Depth=1
	s_add_co_i32 s40, s40, 0x10000
	s_delay_alu instid0(SALU_CYCLE_1)
	s_cmp_lt_u32 s40, s33
	s_cbranch_scc0 .LBB185_19
.LBB185_4:                              ; =>This Inner Loop Header: Depth=1
	s_and_not1_b32 vcc_lo, exec_lo, s27
	s_cbranch_vccnz .LBB185_3
; %bb.5:                                ;   in Loop: Header=BB185_4 Depth=1
	v_mov_b32_e32 v0, s40
	s_mov_b32 s37, s36
	s_mov_b32 s38, s36
	;; [unrolled: 1-line block ×3, first 2 shown]
	v_mov_b64_e32 v[22:23], s[36:37]
	s_clause 0x2
	global_load_b64 v[14:15], v0, s[8:9] scale_offset
	global_load_b64 v[2:3], v0, s[14:15] scale_offset
	;; [unrolled: 1-line block ×3, first 2 shown]
	v_mov_b64_e32 v[24:25], s[38:39]
	ds_store_b128 v18, v[22:25]
	ds_store_b128 v20, v[22:25]
	s_wait_loadcnt_dscnt 0x0
	s_barrier_signal -1
	s_barrier_wait -1
	s_wait_xcnt 0x0
	s_and_saveexec_b32 s18, s26
	s_cbranch_execnz .LBB185_11
; %bb.6:                                ;   in Loop: Header=BB185_4 Depth=1
	s_or_b32 exec_lo, exec_lo, s18
	s_and_saveexec_b32 s18, s41
	s_cbranch_execnz .LBB185_12
.LBB185_7:                              ;   in Loop: Header=BB185_4 Depth=1
	s_or_b32 exec_lo, exec_lo, s18
	s_and_saveexec_b32 s18, s16
.LBB185_8:                              ;   in Loop: Header=BB185_4 Depth=1
	v_dual_mov_b32 v0, v5 :: v_dual_mov_b32 v2, v5
	v_mov_b32_e32 v3, v5
	ds_store_b128 v18, v[0:3]
.LBB185_9:                              ;   in Loop: Header=BB185_4 Depth=1
	s_or_b32 exec_lo, exec_lo, s18
	s_delay_alu instid0(SALU_CYCLE_1)
	s_and_b32 vcc_lo, exec_lo, s17
	s_wait_dscnt 0x0
	s_barrier_signal -1
	s_barrier_wait -1
	s_cbranch_vccz .LBB185_13
; %bb.10:                               ;   in Loop: Header=BB185_4 Depth=1
	s_and_b32 s18, s0, exec_lo
	s_cbranch_execz .LBB185_14
	s_branch .LBB185_15
.LBB185_11:                             ;   in Loop: Header=BB185_4 Depth=1
	v_add_nc_u64_e32 v[14:15], s[2:3], v[14:15]
	s_delay_alu instid0(VALU_DEP_1) | instskip(NEXT) | instid1(VALU_DEP_1)
	v_lshl_add_u64 v[14:15], v[6:7], 4, v[14:15]
	v_add_nc_u64_e32 v[14:15], v[14:15], v[4:5]
	flat_load_b128 v[22:25], v[14:15]
	s_wait_loadcnt_dscnt 0x0
	v_xor_b32_e32 v25, 0x80000000, v25
	ds_store_b128 v19, v[22:25]
	s_wait_xcnt 0x0
	s_or_b32 exec_lo, exec_lo, s18
	s_and_saveexec_b32 s18, s41
	s_cbranch_execz .LBB185_7
.LBB185_12:                             ;   in Loop: Header=BB185_4 Depth=1
	v_add_nc_u64_e32 v[2:3], s[4:5], v[2:3]
	s_delay_alu instid0(VALU_DEP_1) | instskip(NEXT) | instid1(VALU_DEP_1)
	v_add_nc_u64_e32 v[2:3], s[6:7], v[2:3]
	v_lshl_add_u64 v[2:3], v[8:9], 4, v[2:3]
	s_delay_alu instid0(VALU_DEP_1)
	v_add_nc_u64_e32 v[2:3], v[2:3], v[4:5]
	flat_load_b128 v[22:25], v[2:3]
	s_wait_loadcnt_dscnt 0x0
	ds_store_2addr_b64 v20, v[22:23], v[24:25] offset1:1
	s_wait_xcnt 0x0
	s_or_b32 exec_lo, exec_lo, s18
	s_and_saveexec_b32 s18, s16
	s_cbranch_execnz .LBB185_8
	s_branch .LBB185_9
.LBB185_13:                             ;   in Loop: Header=BB185_4 Depth=1
	s_mov_b32 s18, 0
.LBB185_14:                             ;   in Loop: Header=BB185_4 Depth=1
	s_delay_alu instid0(SALU_CYCLE_1) | instskip(SKIP_1) | instid1(SALU_CYCLE_1)
	s_and_not1_b32 s18, s18, exec_lo
	s_and_b32 s19, s1, exec_lo
	s_or_b32 s18, s18, s19
.LBB185_15:                             ;   in Loop: Header=BB185_4 Depth=1
	s_delay_alu instid0(SALU_CYCLE_1)
	s_and_saveexec_b32 s19, s18
; %bb.16:                               ;   in Loop: Header=BB185_4 Depth=1
	v_dual_mov_b32 v22, v5 :: v_dual_mov_b32 v23, v5
	v_dual_mov_b32 v24, v5 :: v_dual_mov_b32 v25, v5
	ds_store_b128 v18, v[22:25]
; %bb.17:                               ;   in Loop: Header=BB185_4 Depth=1
	s_or_b32 exec_lo, exec_lo, s19
	s_wait_dscnt 0x0
	s_barrier_signal -1
	s_barrier_wait -1
	s_and_saveexec_b32 s18, s41
	s_cbranch_execz .LBB185_2
; %bb.18:                               ;   in Loop: Header=BB185_4 Depth=1
	ds_load_b128 v[22:25], v16
	ds_load_b128 v[26:29], v17
	ds_load_b128 v[30:33], v17 offset:16
	ds_load_b128 v[34:37], v16 offset:256
	;; [unrolled: 1-line block ×6, first 2 shown]
	s_wait_dscnt 0x6
	v_mul_f64_e32 v[2:3], v[26:27], v[24:25]
	v_mul_f64_e32 v[24:25], v[28:29], v[24:25]
	s_wait_dscnt 0x4
	v_mul_f64_e32 v[14:15], v[30:31], v[36:37]
	s_wait_dscnt 0x2
	;; [unrolled: 2-line block ×3, first 2 shown]
	v_mul_f64_e32 v[56:57], v[46:47], v[52:53]
	v_mul_f64_e32 v[40:41], v[44:45], v[40:41]
	;; [unrolled: 1-line block ×3, first 2 shown]
	v_fmac_f64_e32 v[2:3], v[28:29], v[22:23]
	v_mul_f64_e32 v[28:29], v[32:33], v[36:37]
	v_fmac_f64_e32 v[14:15], v[32:33], v[34:35]
	v_fma_f64 v[22:23], v[26:27], v[22:23], -v[24:25]
	v_fmac_f64_e32 v[54:55], v[44:45], v[38:39]
	v_fmac_f64_e32 v[56:57], v[48:49], v[50:51]
	v_fma_f64 v[38:39], v[42:43], v[38:39], -v[40:41]
	v_add_f64_e32 v[2:3], 0, v[2:3]
	v_fma_f64 v[44:45], v[30:31], v[34:35], -v[28:29]
	v_add_f64_e32 v[58:59], 0, v[22:23]
	ds_load_b128 v[22:25], v16 offset:1024
	ds_load_b128 v[26:29], v17 offset:64
	;; [unrolled: 1-line block ×4, first 2 shown]
	v_add_f64_e32 v[2:3], v[2:3], v[14:15]
	s_wait_dscnt 0x2
	v_mul_f64_e32 v[14:15], v[26:27], v[24:25]
	v_mul_f64_e32 v[24:25], v[28:29], v[24:25]
	v_add_f64_e32 v[40:41], v[58:59], v[44:45]
	s_delay_alu instid0(VALU_DEP_4)
	v_add_f64_e32 v[2:3], v[2:3], v[54:55]
	s_wait_dscnt 0x0
	v_mul_f64_e32 v[54:55], v[30:31], v[36:37]
	v_fmac_f64_e32 v[14:15], v[28:29], v[22:23]
	v_fma_f64 v[28:29], v[46:47], v[50:51], -v[52:53]
	v_add_f64_e32 v[58:59], v[40:41], v[38:39]
	ds_load_b128 v[38:41], v16 offset:1536
	ds_load_b128 v[42:45], v17 offset:96
	ds_load_b128 v[46:49], v17 offset:112
	ds_load_b128 v[50:53], v16 offset:1792
	v_mul_f64_e32 v[36:37], v[32:33], v[36:37]
	v_fma_f64 v[22:23], v[26:27], v[22:23], -v[24:25]
	v_add_f64_e32 v[2:3], v[2:3], v[56:57]
	s_wait_dscnt 0x2
	v_mul_f64_e32 v[56:57], v[42:43], v[40:41]
	v_fmac_f64_e32 v[54:55], v[32:33], v[34:35]
	v_mul_f64_e32 v[40:41], v[44:45], v[40:41]
	v_add_f64_e32 v[24:25], v[58:59], v[28:29]
	v_add_f64_e32 v[2:3], v[2:3], v[14:15]
	s_wait_dscnt 0x0
	v_mul_f64_e32 v[14:15], v[46:47], v[52:53]
	v_fmac_f64_e32 v[56:57], v[44:45], v[38:39]
	v_fma_f64 v[44:45], v[30:31], v[34:35], -v[36:37]
	v_add_f64_e32 v[58:59], v[24:25], v[22:23]
	ds_load_b128 v[22:25], v16 offset:2048
	ds_load_b128 v[26:29], v17 offset:128
	ds_load_b128 v[30:33], v17 offset:144
	ds_load_b128 v[34:37], v16 offset:2304
	v_mul_f64_e32 v[52:53], v[48:49], v[52:53]
	v_fma_f64 v[38:39], v[42:43], v[38:39], -v[40:41]
	v_add_f64_e32 v[2:3], v[2:3], v[54:55]
	s_wait_dscnt 0x2
	v_mul_f64_e32 v[54:55], v[26:27], v[24:25]
	v_fmac_f64_e32 v[14:15], v[48:49], v[50:51]
	v_mul_f64_e32 v[24:25], v[28:29], v[24:25]
	v_add_f64_e32 v[40:41], v[58:59], v[44:45]
	;; [unrolled: 18-line block ×4, first 2 shown]
	v_add_f64_e32 v[2:3], v[2:3], v[14:15]
	s_wait_dscnt 0x0
	v_mul_f64_e32 v[14:15], v[30:31], v[36:37]
	v_fmac_f64_e32 v[56:57], v[28:29], v[22:23]
	v_fma_f64 v[28:29], v[46:47], v[50:51], -v[52:53]
	v_add_f64_e32 v[58:59], v[40:41], v[38:39]
	ds_load_b128 v[38:41], v16 offset:3584
	ds_load_b128 v[42:45], v17 offset:224
	;; [unrolled: 1-line block ×4, first 2 shown]
	v_mul_f64_e32 v[36:37], v[32:33], v[36:37]
	v_fma_f64 v[22:23], v[26:27], v[22:23], -v[24:25]
	s_wait_dscnt 0x0
	v_mul_f64_e32 v[26:27], v[46:47], v[52:53]
	v_add_f64_e32 v[2:3], v[2:3], v[54:55]
	v_mul_f64_e32 v[54:55], v[42:43], v[40:41]
	v_fmac_f64_e32 v[14:15], v[32:33], v[34:35]
	v_add_f64_e32 v[24:25], v[58:59], v[28:29]
	v_mul_f64_e32 v[28:29], v[44:45], v[40:41]
	v_fma_f64 v[30:31], v[30:31], v[34:35], -v[36:37]
	v_fmac_f64_e32 v[26:27], v[48:49], v[50:51]
	v_add_f64_e32 v[2:3], v[2:3], v[56:57]
	v_fmac_f64_e32 v[54:55], v[44:45], v[38:39]
	v_add_f64_e32 v[22:23], v[24:25], v[22:23]
	v_fma_f64 v[24:25], v[42:43], v[38:39], -v[28:29]
	s_delay_alu instid0(VALU_DEP_4) | instskip(SKIP_1) | instid1(VALU_DEP_4)
	v_add_f64_e32 v[2:3], v[2:3], v[14:15]
	v_mul_f64_e32 v[14:15], v[48:49], v[52:53]
	v_add_f64_e32 v[22:23], v[22:23], v[30:31]
	s_delay_alu instid0(VALU_DEP_3) | instskip(NEXT) | instid1(VALU_DEP_3)
	v_add_f64_e32 v[2:3], v[2:3], v[54:55]
	v_fma_f64 v[14:15], v[46:47], v[50:51], -v[14:15]
	s_delay_alu instid0(VALU_DEP_3) | instskip(NEXT) | instid1(VALU_DEP_3)
	v_add_f64_e32 v[22:23], v[22:23], v[24:25]
	v_add_f64_e32 v[2:3], v[2:3], v[26:27]
	s_delay_alu instid0(VALU_DEP_2) | instskip(NEXT) | instid1(VALU_DEP_2)
	v_add_f64_e32 v[14:15], v[22:23], v[14:15]
	v_mul_f64_e32 v[24:25], s[28:29], v[2:3]
	v_mul_f64_e32 v[2:3], s[30:31], v[2:3]
	s_delay_alu instid0(VALU_DEP_2) | instskip(NEXT) | instid1(VALU_DEP_2)
	v_fmac_f64_e32 v[24:25], s[30:31], v[14:15]
	v_fma_f64 v[22:23], s[28:29], v[14:15], -v[2:3]
	v_add_nc_u64_e32 v[2:3], s[10:11], v[12:13]
	s_delay_alu instid0(VALU_DEP_1) | instskip(NEXT) | instid1(VALU_DEP_1)
	v_add_nc_u64_e32 v[2:3], s[12:13], v[2:3]
	v_lshl_add_u64 v[2:3], v[10:11], 4, v[2:3]
	s_delay_alu instid0(VALU_DEP_1)
	v_add_nc_u64_e32 v[2:3], v[2:3], v[4:5]
	flat_store_b128 v[2:3], v[22:25]
	s_branch .LBB185_2
.LBB185_19:
	s_endpgm
	.section	.rodata,"a",@progbits
	.p2align	6, 0x0
	.amdhsa_kernel _ZL23rocblas_trmm_lTx_kernelILi16ELb1E19rocblas_complex_numIdES1_KPKS1_KPS1_Ev13rocblas_fill_17rocblas_diagonal_iiT2_lPT3_llSB_llPT4_lli
		.amdhsa_group_segment_fixed_size 8192
		.amdhsa_private_segment_fixed_size 0
		.amdhsa_kernarg_size 116
		.amdhsa_user_sgpr_count 2
		.amdhsa_user_sgpr_dispatch_ptr 0
		.amdhsa_user_sgpr_queue_ptr 0
		.amdhsa_user_sgpr_kernarg_segment_ptr 1
		.amdhsa_user_sgpr_dispatch_id 0
		.amdhsa_user_sgpr_kernarg_preload_length 0
		.amdhsa_user_sgpr_kernarg_preload_offset 0
		.amdhsa_user_sgpr_private_segment_size 0
		.amdhsa_wavefront_size32 1
		.amdhsa_uses_dynamic_stack 0
		.amdhsa_enable_private_segment 0
		.amdhsa_system_sgpr_workgroup_id_x 1
		.amdhsa_system_sgpr_workgroup_id_y 0
		.amdhsa_system_sgpr_workgroup_id_z 1
		.amdhsa_system_sgpr_workgroup_info 0
		.amdhsa_system_vgpr_workitem_id 1
		.amdhsa_next_free_vgpr 60
		.amdhsa_next_free_sgpr 42
		.amdhsa_named_barrier_count 0
		.amdhsa_reserve_vcc 1
		.amdhsa_float_round_mode_32 0
		.amdhsa_float_round_mode_16_64 0
		.amdhsa_float_denorm_mode_32 3
		.amdhsa_float_denorm_mode_16_64 3
		.amdhsa_fp16_overflow 0
		.amdhsa_memory_ordered 1
		.amdhsa_forward_progress 1
		.amdhsa_inst_pref_size 14
		.amdhsa_round_robin_scheduling 0
		.amdhsa_exception_fp_ieee_invalid_op 0
		.amdhsa_exception_fp_denorm_src 0
		.amdhsa_exception_fp_ieee_div_zero 0
		.amdhsa_exception_fp_ieee_overflow 0
		.amdhsa_exception_fp_ieee_underflow 0
		.amdhsa_exception_fp_ieee_inexact 0
		.amdhsa_exception_int_div_zero 0
	.end_amdhsa_kernel
	.section	.text._ZL23rocblas_trmm_lTx_kernelILi16ELb1E19rocblas_complex_numIdES1_KPKS1_KPS1_Ev13rocblas_fill_17rocblas_diagonal_iiT2_lPT3_llSB_llPT4_lli,"axG",@progbits,_ZL23rocblas_trmm_lTx_kernelILi16ELb1E19rocblas_complex_numIdES1_KPKS1_KPS1_Ev13rocblas_fill_17rocblas_diagonal_iiT2_lPT3_llSB_llPT4_lli,comdat
.Lfunc_end185:
	.size	_ZL23rocblas_trmm_lTx_kernelILi16ELb1E19rocblas_complex_numIdES1_KPKS1_KPS1_Ev13rocblas_fill_17rocblas_diagonal_iiT2_lPT3_llSB_llPT4_lli, .Lfunc_end185-_ZL23rocblas_trmm_lTx_kernelILi16ELb1E19rocblas_complex_numIdES1_KPKS1_KPS1_Ev13rocblas_fill_17rocblas_diagonal_iiT2_lPT3_llSB_llPT4_lli
                                        ; -- End function
	.set _ZL23rocblas_trmm_lTx_kernelILi16ELb1E19rocblas_complex_numIdES1_KPKS1_KPS1_Ev13rocblas_fill_17rocblas_diagonal_iiT2_lPT3_llSB_llPT4_lli.num_vgpr, 60
	.set _ZL23rocblas_trmm_lTx_kernelILi16ELb1E19rocblas_complex_numIdES1_KPKS1_KPS1_Ev13rocblas_fill_17rocblas_diagonal_iiT2_lPT3_llSB_llPT4_lli.num_agpr, 0
	.set _ZL23rocblas_trmm_lTx_kernelILi16ELb1E19rocblas_complex_numIdES1_KPKS1_KPS1_Ev13rocblas_fill_17rocblas_diagonal_iiT2_lPT3_llSB_llPT4_lli.numbered_sgpr, 42
	.set _ZL23rocblas_trmm_lTx_kernelILi16ELb1E19rocblas_complex_numIdES1_KPKS1_KPS1_Ev13rocblas_fill_17rocblas_diagonal_iiT2_lPT3_llSB_llPT4_lli.num_named_barrier, 0
	.set _ZL23rocblas_trmm_lTx_kernelILi16ELb1E19rocblas_complex_numIdES1_KPKS1_KPS1_Ev13rocblas_fill_17rocblas_diagonal_iiT2_lPT3_llSB_llPT4_lli.private_seg_size, 0
	.set _ZL23rocblas_trmm_lTx_kernelILi16ELb1E19rocblas_complex_numIdES1_KPKS1_KPS1_Ev13rocblas_fill_17rocblas_diagonal_iiT2_lPT3_llSB_llPT4_lli.uses_vcc, 1
	.set _ZL23rocblas_trmm_lTx_kernelILi16ELb1E19rocblas_complex_numIdES1_KPKS1_KPS1_Ev13rocblas_fill_17rocblas_diagonal_iiT2_lPT3_llSB_llPT4_lli.uses_flat_scratch, 0
	.set _ZL23rocblas_trmm_lTx_kernelILi16ELb1E19rocblas_complex_numIdES1_KPKS1_KPS1_Ev13rocblas_fill_17rocblas_diagonal_iiT2_lPT3_llSB_llPT4_lli.has_dyn_sized_stack, 0
	.set _ZL23rocblas_trmm_lTx_kernelILi16ELb1E19rocblas_complex_numIdES1_KPKS1_KPS1_Ev13rocblas_fill_17rocblas_diagonal_iiT2_lPT3_llSB_llPT4_lli.has_recursion, 0
	.set _ZL23rocblas_trmm_lTx_kernelILi16ELb1E19rocblas_complex_numIdES1_KPKS1_KPS1_Ev13rocblas_fill_17rocblas_diagonal_iiT2_lPT3_llSB_llPT4_lli.has_indirect_call, 0
	.section	.AMDGPU.csdata,"",@progbits
; Kernel info:
; codeLenInByte = 1704
; TotalNumSgprs: 44
; NumVgprs: 60
; ScratchSize: 0
; MemoryBound: 0
; FloatMode: 240
; IeeeMode: 1
; LDSByteSize: 8192 bytes/workgroup (compile time only)
; SGPRBlocks: 0
; VGPRBlocks: 3
; NumSGPRsForWavesPerEU: 44
; NumVGPRsForWavesPerEU: 60
; NamedBarCnt: 0
; Occupancy: 16
; WaveLimiterHint : 1
; COMPUTE_PGM_RSRC2:SCRATCH_EN: 0
; COMPUTE_PGM_RSRC2:USER_SGPR: 2
; COMPUTE_PGM_RSRC2:TRAP_HANDLER: 0
; COMPUTE_PGM_RSRC2:TGID_X_EN: 1
; COMPUTE_PGM_RSRC2:TGID_Y_EN: 0
; COMPUTE_PGM_RSRC2:TGID_Z_EN: 1
; COMPUTE_PGM_RSRC2:TIDIG_COMP_CNT: 1
	.section	.text._ZL23rocblas_trmm_rNx_kernelILi16E19rocblas_complex_numIdEPKS1_KS3_KPS1_Ev13rocblas_fill_17rocblas_diagonal_iiT1_lPT2_llSB_llPT3_lli,"axG",@progbits,_ZL23rocblas_trmm_rNx_kernelILi16E19rocblas_complex_numIdEPKS1_KS3_KPS1_Ev13rocblas_fill_17rocblas_diagonal_iiT1_lPT2_llSB_llPT3_lli,comdat
	.globl	_ZL23rocblas_trmm_rNx_kernelILi16E19rocblas_complex_numIdEPKS1_KS3_KPS1_Ev13rocblas_fill_17rocblas_diagonal_iiT1_lPT2_llSB_llPT3_lli ; -- Begin function _ZL23rocblas_trmm_rNx_kernelILi16E19rocblas_complex_numIdEPKS1_KS3_KPS1_Ev13rocblas_fill_17rocblas_diagonal_iiT1_lPT2_llSB_llPT3_lli
	.p2align	8
	.type	_ZL23rocblas_trmm_rNx_kernelILi16E19rocblas_complex_numIdEPKS1_KS3_KPS1_Ev13rocblas_fill_17rocblas_diagonal_iiT1_lPT2_llSB_llPT3_lli,@function
_ZL23rocblas_trmm_rNx_kernelILi16E19rocblas_complex_numIdEPKS1_KS3_KPS1_Ev13rocblas_fill_17rocblas_diagonal_iiT1_lPT2_llSB_llPT3_lli: ; @_ZL23rocblas_trmm_rNx_kernelILi16E19rocblas_complex_numIdEPKS1_KS3_KPS1_Ev13rocblas_fill_17rocblas_diagonal_iiT1_lPT2_llSB_llPT3_lli
; %bb.0:
	s_load_b32 s33, s[0:1], 0x68
	s_bfe_u32 s2, ttmp6, 0x40014
	s_lshr_b32 s3, ttmp7, 16
	s_add_co_i32 s2, s2, 1
	s_bfe_u32 s5, ttmp6, 0x40008
	s_mul_i32 s4, s3, s2
	s_getreg_b32 s2, hwreg(HW_REG_IB_STS2, 6, 4)
	s_add_co_i32 s5, s5, s4
	s_cmp_eq_u32 s2, 0
	s_mov_b32 s7, 0
	s_cselect_b32 s6, s3, s5
	s_wait_kmcnt 0x0
	s_cmp_ge_u32 s6, s33
	s_cbranch_scc1 .LBB186_19
; %bb.1:
	s_clause 0x3
	s_load_b128 s[28:31], s[0:1], 0x0
	s_load_b512 s[8:23], s[0:1], 0x10
	s_load_b128 s[24:27], s[0:1], 0x50
	s_load_b64 s[34:35], s[0:1], 0x60
	v_bfe_u32 v8, v0, 10, 10
	v_mov_b32_e32 v9, 0
	s_wait_xcnt 0x0
	s_bfe_u32 s0, ttmp6, 0x4000c
	s_and_b32 s1, ttmp6, 15
	s_add_co_i32 s0, s0, 1
	v_lshlrev_b32_e32 v2, 4, v8
	s_mul_i32 s3, ttmp9, s0
	v_and_b32_e32 v0, 0x3ff, v0
	s_add_co_i32 s3, s1, s3
	v_dual_mov_b32 v1, 0x3ff00000 :: v_dual_lshlrev_b32 v20, 8, v8
	s_delay_alu instid0(VALU_DEP_2)
	v_cmp_eq_u32_e32 vcc_lo, v8, v0
	v_add_lshl_u32 v19, v2, v0, 4
	v_cmp_lt_u32_e64 s0, v0, v8
	v_lshl_add_u32 v18, v0, 4, 0x1000
	s_wait_kmcnt 0x0
	s_add_co_i32 s4, s30, -1
	v_mul_u64_e32 v[10:11], s[14:15], v[8:9]
	s_ashr_i32 s5, s4, 31
	v_mul_u64_e32 v[12:13], s[20:21], v[8:9]
	v_mul_u64_e32 v[14:15], s[26:27], v[8:9]
	s_lshr_b32 s5, s5, 28
	v_add_nc_u32_e32 v21, 0x1000, v19
	s_add_co_i32 s4, s4, s5
	s_delay_alu instid0(SALU_CYCLE_1)
	s_and_b32 s1, s4, -16
	s_ashr_i32 s4, s4, 4
	s_sub_co_i32 s5, s30, s1
	s_cmp_eq_u32 s2, 0
	v_cmp_gt_i32_e64 s2, s31, v8
	s_cselect_b32 s14, ttmp9, s3
	v_cmp_gt_i32_e64 s3, s31, v0
	s_cmp_ge_i32 s14, s4
	v_cmp_gt_u32_e64 s1, v0, v8
	s_cselect_b32 s4, s5, 16
	s_lshl_b32 s20, s14, 4
	v_cmp_gt_i32_e64 s4, s4, v0
	s_and_b32 s26, s2, s3
	s_ashr_i32 s21, s20, 31
	v_lshlrev_b32_e32 v8, 4, v0
	s_and_b32 s27, s2, s4
	s_cmp_eq_u32 s29, 0x84
	s_cselect_b32 s2, -1, 0
	s_delay_alu instid0(SALU_CYCLE_1)
	s_and_b32 s29, vcc_lo, s2
	s_cmp_lg_u32 s28, 0x79
	s_cselect_b32 s28, -1, 0
	s_lshl_b64 s[4:5], s[16:17], 4
	s_lshl_b64 s[14:15], s[22:23], 4
	;; [unrolled: 1-line block ×4, first 2 shown]
	s_branch .LBB186_4
.LBB186_2:                              ;   in Loop: Header=BB186_4 Depth=1
	s_wait_xcnt 0x0
	s_or_b32 exec_lo, exec_lo, s2
.LBB186_3:                              ;   in Loop: Header=BB186_4 Depth=1
	s_add_co_i32 s6, s6, 0x10000
	s_delay_alu instid0(SALU_CYCLE_1)
	s_cmp_lt_u32 s6, s33
	s_cbranch_scc0 .LBB186_19
.LBB186_4:                              ; =>This Inner Loop Header: Depth=1
	s_mul_u64 s[2:3], s[10:11], s[6:7]
	s_delay_alu instid0(SALU_CYCLE_1) | instskip(NEXT) | instid1(SALU_CYCLE_1)
	s_lshl_b64 s[2:3], s[2:3], 4
	s_add_nc_u64 s[2:3], s[8:9], s[2:3]
	global_load_b128 v[4:7], v9, s[2:3]
	s_wait_loadcnt 0x0
	v_cmp_neq_f64_e32 vcc_lo, 0, v[4:5]
	s_wait_xcnt 0x0
	v_cmp_neq_f64_e64 s2, 0, v[6:7]
	s_or_b32 s2, vcc_lo, s2
	s_delay_alu instid0(SALU_CYCLE_1)
	s_and_not1_b32 vcc_lo, exec_lo, s2
	s_cbranch_vccnz .LBB186_3
; %bb.5:                                ;   in Loop: Header=BB186_4 Depth=1
	s_lshl_b64 s[2:3], s[6:7], 3
	s_mov_b32 s36, s7
	s_add_nc_u64 s[22:23], s[18:19], s[2:3]
	s_add_nc_u64 s[30:31], s[24:25], s[2:3]
	s_clause 0x1
	global_load_b64 v[2:3], v9, s[22:23]
	global_load_b64 v[16:17], v9, s[30:31]
	s_mov_b32 s37, s7
	s_mov_b32 s38, s7
	;; [unrolled: 1-line block ×3, first 2 shown]
	v_mov_b64_e32 v[22:23], s[36:37]
	v_mov_b64_e32 v[24:25], s[38:39]
	ds_store_b128 v19, v[22:25]
	ds_store_b128 v21, v[22:25]
	s_wait_xcnt 0x0
	s_and_saveexec_b32 s22, s26
	s_cbranch_execnz .LBB186_10
; %bb.6:                                ;   in Loop: Header=BB186_4 Depth=1
	s_or_b32 exec_lo, exec_lo, s22
	s_and_saveexec_b32 s2, s27
	s_cbranch_execnz .LBB186_11
.LBB186_7:                              ;   in Loop: Header=BB186_4 Depth=1
	s_or_b32 exec_lo, exec_lo, s2
	s_and_saveexec_b32 s2, s29
	s_cbranch_execnz .LBB186_12
.LBB186_8:                              ;   in Loop: Header=BB186_4 Depth=1
	s_or_b32 exec_lo, exec_lo, s2
	s_delay_alu instid0(SALU_CYCLE_1)
	s_and_b32 vcc_lo, exec_lo, s28
	s_cbranch_vccz .LBB186_13
.LBB186_9:                              ;   in Loop: Header=BB186_4 Depth=1
	s_and_b32 s2, s0, exec_lo
	s_cbranch_execz .LBB186_14
	s_branch .LBB186_15
.LBB186_10:                             ;   in Loop: Header=BB186_4 Depth=1
	s_add_nc_u64 s[2:3], s[12:13], s[2:3]
	global_load_b64 v[22:23], v9, s[2:3]
	s_wait_loadcnt 0x0
	v_add_nc_u64_e32 v[22:23], s[4:5], v[22:23]
	s_delay_alu instid0(VALU_DEP_1) | instskip(NEXT) | instid1(VALU_DEP_1)
	v_lshl_add_u64 v[22:23], v[10:11], 4, v[22:23]
	v_add_nc_u64_e32 v[22:23], v[22:23], v[8:9]
	flat_load_b128 v[22:25], v[22:23]
	s_wait_loadcnt_dscnt 0x0
	ds_store_2addr_b64 v19, v[22:23], v[24:25] offset1:1
	s_wait_xcnt 0x0
	s_or_b32 exec_lo, exec_lo, s22
	s_and_saveexec_b32 s2, s27
	s_cbranch_execz .LBB186_7
.LBB186_11:                             ;   in Loop: Header=BB186_4 Depth=1
	s_wait_loadcnt 0x1
	v_add_nc_u64_e32 v[2:3], s[14:15], v[2:3]
	s_delay_alu instid0(VALU_DEP_1) | instskip(NEXT) | instid1(VALU_DEP_1)
	v_add_nc_u64_e32 v[2:3], s[16:17], v[2:3]
	v_lshl_add_u64 v[2:3], v[12:13], 4, v[2:3]
	s_delay_alu instid0(VALU_DEP_1)
	v_add_nc_u64_e32 v[2:3], v[2:3], v[8:9]
	flat_load_b128 v[22:25], v[2:3]
	s_wait_loadcnt_dscnt 0x0
	ds_store_2addr_b64 v21, v[22:23], v[24:25] offset1:1
	s_wait_xcnt 0x0
	s_or_b32 exec_lo, exec_lo, s2
	s_and_saveexec_b32 s2, s29
	s_cbranch_execz .LBB186_8
.LBB186_12:                             ;   in Loop: Header=BB186_4 Depth=1
	s_wait_loadcnt 0x1
	v_dual_mov_b32 v0, v9 :: v_dual_mov_b32 v2, v9
	v_mov_b32_e32 v3, v9
	ds_store_b128 v19, v[0:3]
	s_or_b32 exec_lo, exec_lo, s2
	s_delay_alu instid0(SALU_CYCLE_1)
	s_and_b32 vcc_lo, exec_lo, s28
	s_cbranch_vccnz .LBB186_9
.LBB186_13:                             ;   in Loop: Header=BB186_4 Depth=1
	s_mov_b32 s2, 0
.LBB186_14:                             ;   in Loop: Header=BB186_4 Depth=1
	s_delay_alu instid0(SALU_CYCLE_1) | instskip(SKIP_1) | instid1(SALU_CYCLE_1)
	s_and_not1_b32 s2, s2, exec_lo
	s_and_b32 s3, s1, exec_lo
	s_or_b32 s2, s2, s3
.LBB186_15:                             ;   in Loop: Header=BB186_4 Depth=1
	s_delay_alu instid0(SALU_CYCLE_1)
	s_and_saveexec_b32 s3, s2
; %bb.16:                               ;   in Loop: Header=BB186_4 Depth=1
	v_dual_mov_b32 v22, v9 :: v_dual_mov_b32 v23, v9
	v_dual_mov_b32 v24, v9 :: v_dual_mov_b32 v25, v9
	ds_store_b128 v19, v[22:25]
; %bb.17:                               ;   in Loop: Header=BB186_4 Depth=1
	s_or_b32 exec_lo, exec_lo, s3
	s_wait_loadcnt_dscnt 0x0
	s_barrier_signal -1
	s_barrier_wait -1
	s_and_saveexec_b32 s2, s27
	s_cbranch_execz .LBB186_2
; %bb.18:                               ;   in Loop: Header=BB186_4 Depth=1
	ds_load_b128 v[22:25], v18
	ds_load_b128 v[26:29], v20
	ds_load_b128 v[30:33], v20 offset:16
	ds_load_b128 v[34:37], v18 offset:256
	;; [unrolled: 1-line block ×6, first 2 shown]
	s_wait_dscnt 0x6
	v_mul_f64_e32 v[2:3], v[26:27], v[24:25]
	v_mul_f64_e32 v[24:25], v[28:29], v[24:25]
	s_wait_dscnt 0x4
	v_mul_f64_e32 v[54:55], v[30:31], v[36:37]
	s_wait_dscnt 0x2
	;; [unrolled: 2-line block ×3, first 2 shown]
	v_mul_f64_e32 v[58:59], v[46:47], v[52:53]
	v_mul_f64_e32 v[40:41], v[44:45], v[40:41]
	;; [unrolled: 1-line block ×3, first 2 shown]
	v_fmac_f64_e32 v[2:3], v[28:29], v[22:23]
	v_mul_f64_e32 v[28:29], v[32:33], v[36:37]
	v_fmac_f64_e32 v[54:55], v[32:33], v[34:35]
	v_fma_f64 v[22:23], v[26:27], v[22:23], -v[24:25]
	v_fmac_f64_e32 v[56:57], v[44:45], v[38:39]
	v_fmac_f64_e32 v[58:59], v[48:49], v[50:51]
	v_fma_f64 v[38:39], v[42:43], v[38:39], -v[40:41]
	v_add_f64_e32 v[2:3], 0, v[2:3]
	v_fma_f64 v[44:45], v[30:31], v[34:35], -v[28:29]
	v_add_f64_e32 v[60:61], 0, v[22:23]
	ds_load_b128 v[22:25], v18 offset:1024
	ds_load_b128 v[26:29], v20 offset:64
	;; [unrolled: 1-line block ×4, first 2 shown]
	v_add_f64_e32 v[2:3], v[2:3], v[54:55]
	s_wait_dscnt 0x2
	v_mul_f64_e32 v[54:55], v[26:27], v[24:25]
	v_mul_f64_e32 v[24:25], v[28:29], v[24:25]
	v_add_f64_e32 v[40:41], v[60:61], v[44:45]
	s_delay_alu instid0(VALU_DEP_4)
	v_add_f64_e32 v[2:3], v[2:3], v[56:57]
	s_wait_dscnt 0x0
	v_mul_f64_e32 v[56:57], v[30:31], v[36:37]
	v_fmac_f64_e32 v[54:55], v[28:29], v[22:23]
	v_fma_f64 v[28:29], v[46:47], v[50:51], -v[52:53]
	v_add_f64_e32 v[60:61], v[40:41], v[38:39]
	ds_load_b128 v[38:41], v18 offset:1536
	ds_load_b128 v[42:45], v20 offset:96
	ds_load_b128 v[46:49], v20 offset:112
	ds_load_b128 v[50:53], v18 offset:1792
	v_mul_f64_e32 v[36:37], v[32:33], v[36:37]
	v_fma_f64 v[22:23], v[26:27], v[22:23], -v[24:25]
	v_add_f64_e32 v[2:3], v[2:3], v[58:59]
	s_wait_dscnt 0x2
	v_mul_f64_e32 v[58:59], v[42:43], v[40:41]
	v_fmac_f64_e32 v[56:57], v[32:33], v[34:35]
	v_mul_f64_e32 v[40:41], v[44:45], v[40:41]
	v_add_f64_e32 v[24:25], v[60:61], v[28:29]
	v_add_f64_e32 v[2:3], v[2:3], v[54:55]
	s_wait_dscnt 0x0
	v_mul_f64_e32 v[54:55], v[46:47], v[52:53]
	v_fmac_f64_e32 v[58:59], v[44:45], v[38:39]
	v_fma_f64 v[44:45], v[30:31], v[34:35], -v[36:37]
	v_add_f64_e32 v[60:61], v[24:25], v[22:23]
	ds_load_b128 v[22:25], v18 offset:2048
	ds_load_b128 v[26:29], v20 offset:128
	ds_load_b128 v[30:33], v20 offset:144
	ds_load_b128 v[34:37], v18 offset:2304
	v_mul_f64_e32 v[52:53], v[48:49], v[52:53]
	v_fma_f64 v[38:39], v[42:43], v[38:39], -v[40:41]
	v_add_f64_e32 v[2:3], v[2:3], v[56:57]
	s_wait_dscnt 0x2
	v_mul_f64_e32 v[56:57], v[26:27], v[24:25]
	v_fmac_f64_e32 v[54:55], v[48:49], v[50:51]
	v_mul_f64_e32 v[24:25], v[28:29], v[24:25]
	v_add_f64_e32 v[40:41], v[60:61], v[44:45]
	;; [unrolled: 18-line block ×4, first 2 shown]
	v_add_f64_e32 v[2:3], v[2:3], v[54:55]
	s_wait_dscnt 0x0
	v_mul_f64_e32 v[54:55], v[30:31], v[36:37]
	v_fmac_f64_e32 v[58:59], v[28:29], v[22:23]
	v_fma_f64 v[28:29], v[46:47], v[50:51], -v[52:53]
	v_add_f64_e32 v[60:61], v[40:41], v[38:39]
	ds_load_b128 v[38:41], v18 offset:3584
	ds_load_b128 v[42:45], v20 offset:224
	;; [unrolled: 1-line block ×4, first 2 shown]
	v_mul_f64_e32 v[36:37], v[32:33], v[36:37]
	v_fma_f64 v[22:23], v[26:27], v[22:23], -v[24:25]
	s_wait_dscnt 0x0
	v_mul_f64_e32 v[26:27], v[46:47], v[52:53]
	v_add_f64_e32 v[2:3], v[2:3], v[56:57]
	v_mul_f64_e32 v[56:57], v[42:43], v[40:41]
	v_fmac_f64_e32 v[54:55], v[32:33], v[34:35]
	v_add_f64_e32 v[24:25], v[60:61], v[28:29]
	v_mul_f64_e32 v[28:29], v[44:45], v[40:41]
	v_fma_f64 v[30:31], v[30:31], v[34:35], -v[36:37]
	v_fmac_f64_e32 v[26:27], v[48:49], v[50:51]
	v_add_f64_e32 v[2:3], v[2:3], v[58:59]
	v_fmac_f64_e32 v[56:57], v[44:45], v[38:39]
	v_add_f64_e32 v[22:23], v[24:25], v[22:23]
	v_mul_f64_e32 v[24:25], v[48:49], v[52:53]
	v_fma_f64 v[28:29], v[42:43], v[38:39], -v[28:29]
	v_add_f64_e32 v[2:3], v[2:3], v[54:55]
	s_delay_alu instid0(VALU_DEP_4) | instskip(NEXT) | instid1(VALU_DEP_4)
	v_add_f64_e32 v[22:23], v[22:23], v[30:31]
	v_fma_f64 v[24:25], v[46:47], v[50:51], -v[24:25]
	s_delay_alu instid0(VALU_DEP_3) | instskip(NEXT) | instid1(VALU_DEP_3)
	v_add_f64_e32 v[2:3], v[2:3], v[56:57]
	v_add_f64_e32 v[22:23], v[22:23], v[28:29]
	s_delay_alu instid0(VALU_DEP_2) | instskip(NEXT) | instid1(VALU_DEP_2)
	v_add_f64_e32 v[2:3], v[2:3], v[26:27]
	v_add_f64_e32 v[22:23], v[22:23], v[24:25]
	s_delay_alu instid0(VALU_DEP_2) | instskip(SKIP_1) | instid1(VALU_DEP_2)
	v_mul_f64_e32 v[24:25], v[4:5], v[2:3]
	v_mul_f64_e32 v[2:3], v[6:7], v[2:3]
	v_fmac_f64_e32 v[24:25], v[6:7], v[22:23]
	s_delay_alu instid0(VALU_DEP_2) | instskip(SKIP_1) | instid1(VALU_DEP_1)
	v_fma_f64 v[22:23], v[4:5], v[22:23], -v[2:3]
	v_add_nc_u64_e32 v[2:3], s[20:21], v[16:17]
	v_add_nc_u64_e32 v[2:3], s[16:17], v[2:3]
	s_delay_alu instid0(VALU_DEP_1) | instskip(NEXT) | instid1(VALU_DEP_1)
	v_lshl_add_u64 v[2:3], v[14:15], 4, v[2:3]
	v_add_nc_u64_e32 v[2:3], v[2:3], v[8:9]
	flat_store_b128 v[2:3], v[22:25]
	s_branch .LBB186_2
.LBB186_19:
	s_endpgm
	.section	.rodata,"a",@progbits
	.p2align	6, 0x0
	.amdhsa_kernel _ZL23rocblas_trmm_rNx_kernelILi16E19rocblas_complex_numIdEPKS1_KS3_KPS1_Ev13rocblas_fill_17rocblas_diagonal_iiT1_lPT2_llSB_llPT3_lli
		.amdhsa_group_segment_fixed_size 8192
		.amdhsa_private_segment_fixed_size 0
		.amdhsa_kernarg_size 108
		.amdhsa_user_sgpr_count 2
		.amdhsa_user_sgpr_dispatch_ptr 0
		.amdhsa_user_sgpr_queue_ptr 0
		.amdhsa_user_sgpr_kernarg_segment_ptr 1
		.amdhsa_user_sgpr_dispatch_id 0
		.amdhsa_user_sgpr_kernarg_preload_length 0
		.amdhsa_user_sgpr_kernarg_preload_offset 0
		.amdhsa_user_sgpr_private_segment_size 0
		.amdhsa_wavefront_size32 1
		.amdhsa_uses_dynamic_stack 0
		.amdhsa_enable_private_segment 0
		.amdhsa_system_sgpr_workgroup_id_x 1
		.amdhsa_system_sgpr_workgroup_id_y 0
		.amdhsa_system_sgpr_workgroup_id_z 1
		.amdhsa_system_sgpr_workgroup_info 0
		.amdhsa_system_vgpr_workitem_id 1
		.amdhsa_next_free_vgpr 62
		.amdhsa_next_free_sgpr 40
		.amdhsa_named_barrier_count 0
		.amdhsa_reserve_vcc 1
		.amdhsa_float_round_mode_32 0
		.amdhsa_float_round_mode_16_64 0
		.amdhsa_float_denorm_mode_32 3
		.amdhsa_float_denorm_mode_16_64 3
		.amdhsa_fp16_overflow 0
		.amdhsa_memory_ordered 1
		.amdhsa_forward_progress 1
		.amdhsa_inst_pref_size 14
		.amdhsa_round_robin_scheduling 0
		.amdhsa_exception_fp_ieee_invalid_op 0
		.amdhsa_exception_fp_denorm_src 0
		.amdhsa_exception_fp_ieee_div_zero 0
		.amdhsa_exception_fp_ieee_overflow 0
		.amdhsa_exception_fp_ieee_underflow 0
		.amdhsa_exception_fp_ieee_inexact 0
		.amdhsa_exception_int_div_zero 0
	.end_amdhsa_kernel
	.section	.text._ZL23rocblas_trmm_rNx_kernelILi16E19rocblas_complex_numIdEPKS1_KS3_KPS1_Ev13rocblas_fill_17rocblas_diagonal_iiT1_lPT2_llSB_llPT3_lli,"axG",@progbits,_ZL23rocblas_trmm_rNx_kernelILi16E19rocblas_complex_numIdEPKS1_KS3_KPS1_Ev13rocblas_fill_17rocblas_diagonal_iiT1_lPT2_llSB_llPT3_lli,comdat
.Lfunc_end186:
	.size	_ZL23rocblas_trmm_rNx_kernelILi16E19rocblas_complex_numIdEPKS1_KS3_KPS1_Ev13rocblas_fill_17rocblas_diagonal_iiT1_lPT2_llSB_llPT3_lli, .Lfunc_end186-_ZL23rocblas_trmm_rNx_kernelILi16E19rocblas_complex_numIdEPKS1_KS3_KPS1_Ev13rocblas_fill_17rocblas_diagonal_iiT1_lPT2_llSB_llPT3_lli
                                        ; -- End function
	.set _ZL23rocblas_trmm_rNx_kernelILi16E19rocblas_complex_numIdEPKS1_KS3_KPS1_Ev13rocblas_fill_17rocblas_diagonal_iiT1_lPT2_llSB_llPT3_lli.num_vgpr, 62
	.set _ZL23rocblas_trmm_rNx_kernelILi16E19rocblas_complex_numIdEPKS1_KS3_KPS1_Ev13rocblas_fill_17rocblas_diagonal_iiT1_lPT2_llSB_llPT3_lli.num_agpr, 0
	.set _ZL23rocblas_trmm_rNx_kernelILi16E19rocblas_complex_numIdEPKS1_KS3_KPS1_Ev13rocblas_fill_17rocblas_diagonal_iiT1_lPT2_llSB_llPT3_lli.numbered_sgpr, 40
	.set _ZL23rocblas_trmm_rNx_kernelILi16E19rocblas_complex_numIdEPKS1_KS3_KPS1_Ev13rocblas_fill_17rocblas_diagonal_iiT1_lPT2_llSB_llPT3_lli.num_named_barrier, 0
	.set _ZL23rocblas_trmm_rNx_kernelILi16E19rocblas_complex_numIdEPKS1_KS3_KPS1_Ev13rocblas_fill_17rocblas_diagonal_iiT1_lPT2_llSB_llPT3_lli.private_seg_size, 0
	.set _ZL23rocblas_trmm_rNx_kernelILi16E19rocblas_complex_numIdEPKS1_KS3_KPS1_Ev13rocblas_fill_17rocblas_diagonal_iiT1_lPT2_llSB_llPT3_lli.uses_vcc, 1
	.set _ZL23rocblas_trmm_rNx_kernelILi16E19rocblas_complex_numIdEPKS1_KS3_KPS1_Ev13rocblas_fill_17rocblas_diagonal_iiT1_lPT2_llSB_llPT3_lli.uses_flat_scratch, 0
	.set _ZL23rocblas_trmm_rNx_kernelILi16E19rocblas_complex_numIdEPKS1_KS3_KPS1_Ev13rocblas_fill_17rocblas_diagonal_iiT1_lPT2_llSB_llPT3_lli.has_dyn_sized_stack, 0
	.set _ZL23rocblas_trmm_rNx_kernelILi16E19rocblas_complex_numIdEPKS1_KS3_KPS1_Ev13rocblas_fill_17rocblas_diagonal_iiT1_lPT2_llSB_llPT3_lli.has_recursion, 0
	.set _ZL23rocblas_trmm_rNx_kernelILi16E19rocblas_complex_numIdEPKS1_KS3_KPS1_Ev13rocblas_fill_17rocblas_diagonal_iiT1_lPT2_llSB_llPT3_lli.has_indirect_call, 0
	.section	.AMDGPU.csdata,"",@progbits
; Kernel info:
; codeLenInByte = 1740
; TotalNumSgprs: 42
; NumVgprs: 62
; ScratchSize: 0
; MemoryBound: 0
; FloatMode: 240
; IeeeMode: 1
; LDSByteSize: 8192 bytes/workgroup (compile time only)
; SGPRBlocks: 0
; VGPRBlocks: 3
; NumSGPRsForWavesPerEU: 42
; NumVGPRsForWavesPerEU: 62
; NamedBarCnt: 0
; Occupancy: 16
; WaveLimiterHint : 1
; COMPUTE_PGM_RSRC2:SCRATCH_EN: 0
; COMPUTE_PGM_RSRC2:USER_SGPR: 2
; COMPUTE_PGM_RSRC2:TRAP_HANDLER: 0
; COMPUTE_PGM_RSRC2:TGID_X_EN: 1
; COMPUTE_PGM_RSRC2:TGID_Y_EN: 0
; COMPUTE_PGM_RSRC2:TGID_Z_EN: 1
; COMPUTE_PGM_RSRC2:TIDIG_COMP_CNT: 1
	.section	.text._ZL23rocblas_trmm_rNx_kernelILi16E19rocblas_complex_numIdES1_KPKS1_KPS1_Ev13rocblas_fill_17rocblas_diagonal_iiT1_lPT2_llSB_llPT3_lli,"axG",@progbits,_ZL23rocblas_trmm_rNx_kernelILi16E19rocblas_complex_numIdES1_KPKS1_KPS1_Ev13rocblas_fill_17rocblas_diagonal_iiT1_lPT2_llSB_llPT3_lli,comdat
	.globl	_ZL23rocblas_trmm_rNx_kernelILi16E19rocblas_complex_numIdES1_KPKS1_KPS1_Ev13rocblas_fill_17rocblas_diagonal_iiT1_lPT2_llSB_llPT3_lli ; -- Begin function _ZL23rocblas_trmm_rNx_kernelILi16E19rocblas_complex_numIdES1_KPKS1_KPS1_Ev13rocblas_fill_17rocblas_diagonal_iiT1_lPT2_llSB_llPT3_lli
	.p2align	8
	.type	_ZL23rocblas_trmm_rNx_kernelILi16E19rocblas_complex_numIdES1_KPKS1_KPS1_Ev13rocblas_fill_17rocblas_diagonal_iiT1_lPT2_llSB_llPT3_lli,@function
_ZL23rocblas_trmm_rNx_kernelILi16E19rocblas_complex_numIdES1_KPKS1_KPS1_Ev13rocblas_fill_17rocblas_diagonal_iiT1_lPT2_llSB_llPT3_lli: ; @_ZL23rocblas_trmm_rNx_kernelILi16E19rocblas_complex_numIdES1_KPKS1_KPS1_Ev13rocblas_fill_17rocblas_diagonal_iiT1_lPT2_llSB_llPT3_lli
; %bb.0:
	s_load_b32 s33, s[0:1], 0x70
	s_bfe_u32 s2, ttmp6, 0x40014
	s_lshr_b32 s3, ttmp7, 16
	s_add_co_i32 s2, s2, 1
	s_bfe_u32 s5, ttmp6, 0x40008
	s_mul_i32 s4, s3, s2
	s_getreg_b32 s2, hwreg(HW_REG_IB_STS2, 6, 4)
	s_add_co_i32 s5, s5, s4
	s_cmp_eq_u32 s2, 0
	s_mov_b32 s36, 0
	s_cselect_b32 s6, s3, s5
	s_wait_kmcnt 0x0
	s_cmp_ge_u32 s6, s33
	s_cbranch_scc1 .LBB187_19
; %bb.1:
	s_clause 0x2
	s_load_b256 s[24:31], s[0:1], 0x0
	s_load_b512 s[8:23], s[0:1], 0x28
	s_load_b64 s[34:35], s[0:1], 0x68
	s_wait_xcnt 0x0
	s_bfe_u32 s0, ttmp6, 0x4000c
	v_bfe_u32 v4, v0, 10, 10
	v_mov_b32_e32 v5, 0
	s_add_co_i32 s0, s0, 1
	s_and_b32 s5, ttmp6, 15
	s_mul_i32 s7, ttmp9, s0
	v_lshlrev_b32_e32 v2, 4, v4
	s_add_co_i32 s5, s5, s7
	v_and_b32_e32 v0, 0x3ff, v0
	v_mov_b32_e32 v1, 0x3ff00000
	v_lshlrev_b32_e32 v15, 8, v4
	s_delay_alu instid0(VALU_DEP_3)
	v_cmp_eq_u32_e32 vcc_lo, v4, v0
	v_add_lshl_u32 v16, v2, v0, 4
	v_cmp_lt_u32_e64 s0, v0, v4
	v_cmp_gt_u32_e64 s1, v0, v4
	v_lshl_add_u32 v14, v0, 4, 0x1000
	s_wait_kmcnt 0x0
	v_cmp_neq_f64_e64 s3, s[28:29], 0
	v_cmp_neq_f64_e64 s4, s[30:31], 0
	s_add_co_i32 s37, s26, -1
	v_mul_u64_e32 v[6:7], s[10:11], v[4:5]
	s_ashr_i32 s7, s37, 31
	v_mul_u64_e32 v[8:9], s[16:17], v[4:5]
	v_mul_u64_e32 v[10:11], s[22:23], v[4:5]
	s_lshr_b32 s7, s7, 28
	v_add_nc_u32_e32 v17, 0x1000, v16
	s_add_co_i32 s37, s37, s7
	s_delay_alu instid0(SALU_CYCLE_1)
	s_and_b32 s7, s37, -16
	s_ashr_i32 s10, s37, 4
	s_sub_co_i32 s7, s26, s7
	s_or_b32 s16, s3, s4
	s_cmp_eq_u32 s2, 0
	v_cmp_gt_i32_e64 s2, s27, v4
	s_cselect_b32 s5, ttmp9, s5
	v_cmp_gt_i32_e64 s3, s27, v0
	s_cmp_ge_i32 s5, s10
	v_lshlrev_b32_e32 v4, 4, v0
	s_cselect_b32 s4, s7, 16
	s_lshl_b32 s10, s5, 4
	v_cmp_gt_i32_e64 s4, s4, v0
	s_and_b32 s17, s2, s3
	s_ashr_i32 s11, s10, 31
	s_and_b32 s22, s2, s4
	s_cmp_eq_u32 s25, 0x84
	s_cselect_b32 s2, -1, 0
	s_delay_alu instid0(SALU_CYCLE_1)
	s_and_b32 s23, vcc_lo, s2
	s_cmp_lg_u32 s24, 0x79
	s_cselect_b32 s24, -1, 0
	s_lshl_b64 s[2:3], s[12:13], 4
	s_lshl_b64 s[4:5], s[18:19], 4
	;; [unrolled: 1-line block ×4, first 2 shown]
	s_branch .LBB187_4
.LBB187_2:                              ;   in Loop: Header=BB187_4 Depth=1
	s_wait_xcnt 0x0
	s_or_b32 exec_lo, exec_lo, s7
.LBB187_3:                              ;   in Loop: Header=BB187_4 Depth=1
	s_add_co_i32 s6, s6, 0x10000
	s_delay_alu instid0(SALU_CYCLE_1)
	s_cmp_lt_u32 s6, s33
	s_cbranch_scc0 .LBB187_19
.LBB187_4:                              ; =>This Inner Loop Header: Depth=1
	s_and_not1_b32 vcc_lo, exec_lo, s16
	s_cbranch_vccnz .LBB187_3
; %bb.5:                                ;   in Loop: Header=BB187_4 Depth=1
	v_mov_b32_e32 v0, s6
	s_mov_b32 s37, s36
	s_mov_b32 s38, s36
	;; [unrolled: 1-line block ×3, first 2 shown]
	v_mov_b64_e32 v[18:19], s[36:37]
	s_clause 0x1
	global_load_b64 v[2:3], v0, s[14:15] scale_offset
	global_load_b64 v[12:13], v0, s[20:21] scale_offset
	v_mov_b64_e32 v[20:21], s[38:39]
	ds_store_b128 v16, v[18:21]
	ds_store_b128 v17, v[18:21]
	s_wait_xcnt 0x0
	s_and_saveexec_b32 s18, s17
	s_cbranch_execnz .LBB187_10
; %bb.6:                                ;   in Loop: Header=BB187_4 Depth=1
	s_or_b32 exec_lo, exec_lo, s18
	s_and_saveexec_b32 s7, s22
	s_cbranch_execnz .LBB187_11
.LBB187_7:                              ;   in Loop: Header=BB187_4 Depth=1
	s_or_b32 exec_lo, exec_lo, s7
	s_and_saveexec_b32 s7, s23
	s_cbranch_execnz .LBB187_12
.LBB187_8:                              ;   in Loop: Header=BB187_4 Depth=1
	s_or_b32 exec_lo, exec_lo, s7
	s_delay_alu instid0(SALU_CYCLE_1)
	s_and_b32 vcc_lo, exec_lo, s24
	s_cbranch_vccz .LBB187_13
.LBB187_9:                              ;   in Loop: Header=BB187_4 Depth=1
	s_and_b32 s7, s0, exec_lo
	s_cbranch_execz .LBB187_14
	s_branch .LBB187_15
.LBB187_10:                             ;   in Loop: Header=BB187_4 Depth=1
	s_mov_b32 s7, s36
	s_delay_alu instid0(SALU_CYCLE_1) | instskip(NEXT) | instid1(SALU_CYCLE_1)
	s_lshl_b64 s[26:27], s[6:7], 3
	s_add_nc_u64 s[26:27], s[8:9], s[26:27]
	global_load_b64 v[18:19], v5, s[26:27]
	s_wait_loadcnt 0x0
	v_add_nc_u64_e32 v[18:19], s[2:3], v[18:19]
	s_delay_alu instid0(VALU_DEP_1) | instskip(NEXT) | instid1(VALU_DEP_1)
	v_lshl_add_u64 v[18:19], v[6:7], 4, v[18:19]
	v_add_nc_u64_e32 v[18:19], v[18:19], v[4:5]
	flat_load_b128 v[18:21], v[18:19]
	s_wait_loadcnt_dscnt 0x0
	ds_store_2addr_b64 v16, v[18:19], v[20:21] offset1:1
	s_wait_xcnt 0x0
	s_or_b32 exec_lo, exec_lo, s18
	s_and_saveexec_b32 s7, s22
	s_cbranch_execz .LBB187_7
.LBB187_11:                             ;   in Loop: Header=BB187_4 Depth=1
	s_wait_loadcnt 0x1
	v_add_nc_u64_e32 v[2:3], s[4:5], v[2:3]
	s_delay_alu instid0(VALU_DEP_1) | instskip(NEXT) | instid1(VALU_DEP_1)
	v_add_nc_u64_e32 v[2:3], s[10:11], v[2:3]
	v_lshl_add_u64 v[2:3], v[8:9], 4, v[2:3]
	s_delay_alu instid0(VALU_DEP_1)
	v_add_nc_u64_e32 v[2:3], v[2:3], v[4:5]
	flat_load_b128 v[18:21], v[2:3]
	s_wait_loadcnt_dscnt 0x0
	ds_store_2addr_b64 v17, v[18:19], v[20:21] offset1:1
	s_wait_xcnt 0x0
	s_or_b32 exec_lo, exec_lo, s7
	s_and_saveexec_b32 s7, s23
	s_cbranch_execz .LBB187_8
.LBB187_12:                             ;   in Loop: Header=BB187_4 Depth=1
	s_wait_loadcnt 0x1
	v_dual_mov_b32 v0, v5 :: v_dual_mov_b32 v2, v5
	v_mov_b32_e32 v3, v5
	ds_store_b128 v16, v[0:3]
	s_or_b32 exec_lo, exec_lo, s7
	s_delay_alu instid0(SALU_CYCLE_1)
	s_and_b32 vcc_lo, exec_lo, s24
	s_cbranch_vccnz .LBB187_9
.LBB187_13:                             ;   in Loop: Header=BB187_4 Depth=1
	s_mov_b32 s7, 0
.LBB187_14:                             ;   in Loop: Header=BB187_4 Depth=1
	s_delay_alu instid0(SALU_CYCLE_1) | instskip(SKIP_1) | instid1(SALU_CYCLE_1)
	s_and_not1_b32 s7, s7, exec_lo
	s_and_b32 s18, s1, exec_lo
	s_or_b32 s7, s7, s18
.LBB187_15:                             ;   in Loop: Header=BB187_4 Depth=1
	s_delay_alu instid0(SALU_CYCLE_1)
	s_and_saveexec_b32 s18, s7
; %bb.16:                               ;   in Loop: Header=BB187_4 Depth=1
	v_dual_mov_b32 v18, v5 :: v_dual_mov_b32 v19, v5
	v_dual_mov_b32 v20, v5 :: v_dual_mov_b32 v21, v5
	ds_store_b128 v16, v[18:21]
; %bb.17:                               ;   in Loop: Header=BB187_4 Depth=1
	s_or_b32 exec_lo, exec_lo, s18
	s_wait_loadcnt_dscnt 0x0
	s_barrier_signal -1
	s_barrier_wait -1
	s_and_saveexec_b32 s7, s22
	s_cbranch_execz .LBB187_2
; %bb.18:                               ;   in Loop: Header=BB187_4 Depth=1
	ds_load_b128 v[18:21], v14
	ds_load_b128 v[22:25], v15
	ds_load_b128 v[26:29], v15 offset:16
	ds_load_b128 v[30:33], v14 offset:256
	;; [unrolled: 1-line block ×6, first 2 shown]
	s_wait_dscnt 0x6
	v_mul_f64_e32 v[2:3], v[22:23], v[20:21]
	v_mul_f64_e32 v[20:21], v[24:25], v[20:21]
	s_wait_dscnt 0x4
	v_mul_f64_e32 v[50:51], v[26:27], v[32:33]
	s_wait_dscnt 0x2
	;; [unrolled: 2-line block ×3, first 2 shown]
	v_mul_f64_e32 v[54:55], v[42:43], v[48:49]
	v_mul_f64_e32 v[36:37], v[40:41], v[36:37]
	;; [unrolled: 1-line block ×3, first 2 shown]
	v_fmac_f64_e32 v[2:3], v[24:25], v[18:19]
	v_mul_f64_e32 v[24:25], v[28:29], v[32:33]
	v_fmac_f64_e32 v[50:51], v[28:29], v[30:31]
	v_fma_f64 v[18:19], v[22:23], v[18:19], -v[20:21]
	v_fmac_f64_e32 v[52:53], v[40:41], v[34:35]
	v_fmac_f64_e32 v[54:55], v[44:45], v[46:47]
	v_fma_f64 v[34:35], v[38:39], v[34:35], -v[36:37]
	v_add_f64_e32 v[2:3], 0, v[2:3]
	v_fma_f64 v[40:41], v[26:27], v[30:31], -v[24:25]
	v_add_f64_e32 v[56:57], 0, v[18:19]
	ds_load_b128 v[18:21], v14 offset:1024
	ds_load_b128 v[22:25], v15 offset:64
	;; [unrolled: 1-line block ×4, first 2 shown]
	v_add_f64_e32 v[2:3], v[2:3], v[50:51]
	s_wait_dscnt 0x2
	v_mul_f64_e32 v[50:51], v[22:23], v[20:21]
	v_mul_f64_e32 v[20:21], v[24:25], v[20:21]
	v_add_f64_e32 v[36:37], v[56:57], v[40:41]
	s_delay_alu instid0(VALU_DEP_4)
	v_add_f64_e32 v[2:3], v[2:3], v[52:53]
	s_wait_dscnt 0x0
	v_mul_f64_e32 v[52:53], v[26:27], v[32:33]
	v_fmac_f64_e32 v[50:51], v[24:25], v[18:19]
	v_fma_f64 v[24:25], v[42:43], v[46:47], -v[48:49]
	v_add_f64_e32 v[56:57], v[36:37], v[34:35]
	ds_load_b128 v[34:37], v14 offset:1536
	ds_load_b128 v[38:41], v15 offset:96
	ds_load_b128 v[42:45], v15 offset:112
	ds_load_b128 v[46:49], v14 offset:1792
	v_mul_f64_e32 v[32:33], v[28:29], v[32:33]
	v_fma_f64 v[18:19], v[22:23], v[18:19], -v[20:21]
	v_add_f64_e32 v[2:3], v[2:3], v[54:55]
	s_wait_dscnt 0x2
	v_mul_f64_e32 v[54:55], v[38:39], v[36:37]
	v_fmac_f64_e32 v[52:53], v[28:29], v[30:31]
	v_mul_f64_e32 v[36:37], v[40:41], v[36:37]
	v_add_f64_e32 v[20:21], v[56:57], v[24:25]
	v_add_f64_e32 v[2:3], v[2:3], v[50:51]
	s_wait_dscnt 0x0
	v_mul_f64_e32 v[50:51], v[42:43], v[48:49]
	v_fmac_f64_e32 v[54:55], v[40:41], v[34:35]
	v_fma_f64 v[40:41], v[26:27], v[30:31], -v[32:33]
	v_add_f64_e32 v[56:57], v[20:21], v[18:19]
	ds_load_b128 v[18:21], v14 offset:2048
	ds_load_b128 v[22:25], v15 offset:128
	ds_load_b128 v[26:29], v15 offset:144
	ds_load_b128 v[30:33], v14 offset:2304
	v_mul_f64_e32 v[48:49], v[44:45], v[48:49]
	v_fma_f64 v[34:35], v[38:39], v[34:35], -v[36:37]
	v_add_f64_e32 v[2:3], v[2:3], v[52:53]
	s_wait_dscnt 0x2
	v_mul_f64_e32 v[52:53], v[22:23], v[20:21]
	v_fmac_f64_e32 v[50:51], v[44:45], v[46:47]
	v_mul_f64_e32 v[20:21], v[24:25], v[20:21]
	v_add_f64_e32 v[36:37], v[56:57], v[40:41]
	;; [unrolled: 18-line block ×4, first 2 shown]
	v_add_f64_e32 v[2:3], v[2:3], v[50:51]
	s_wait_dscnt 0x0
	v_mul_f64_e32 v[50:51], v[26:27], v[32:33]
	v_fmac_f64_e32 v[54:55], v[24:25], v[18:19]
	v_fma_f64 v[24:25], v[42:43], v[46:47], -v[48:49]
	v_add_f64_e32 v[56:57], v[36:37], v[34:35]
	ds_load_b128 v[34:37], v14 offset:3584
	ds_load_b128 v[38:41], v15 offset:224
	;; [unrolled: 1-line block ×4, first 2 shown]
	v_mul_f64_e32 v[32:33], v[28:29], v[32:33]
	v_fma_f64 v[18:19], v[22:23], v[18:19], -v[20:21]
	s_wait_dscnt 0x0
	v_mul_f64_e32 v[22:23], v[42:43], v[48:49]
	v_add_f64_e32 v[2:3], v[2:3], v[52:53]
	v_mul_f64_e32 v[52:53], v[38:39], v[36:37]
	v_fmac_f64_e32 v[50:51], v[28:29], v[30:31]
	v_add_f64_e32 v[20:21], v[56:57], v[24:25]
	v_mul_f64_e32 v[24:25], v[40:41], v[36:37]
	v_fma_f64 v[26:27], v[26:27], v[30:31], -v[32:33]
	v_fmac_f64_e32 v[22:23], v[44:45], v[46:47]
	v_add_f64_e32 v[2:3], v[2:3], v[54:55]
	v_fmac_f64_e32 v[52:53], v[40:41], v[34:35]
	v_add_f64_e32 v[18:19], v[20:21], v[18:19]
	v_mul_f64_e32 v[20:21], v[44:45], v[48:49]
	v_fma_f64 v[24:25], v[38:39], v[34:35], -v[24:25]
	v_add_f64_e32 v[2:3], v[2:3], v[50:51]
	s_delay_alu instid0(VALU_DEP_4) | instskip(NEXT) | instid1(VALU_DEP_4)
	v_add_f64_e32 v[18:19], v[18:19], v[26:27]
	v_fma_f64 v[20:21], v[42:43], v[46:47], -v[20:21]
	s_delay_alu instid0(VALU_DEP_3) | instskip(NEXT) | instid1(VALU_DEP_3)
	v_add_f64_e32 v[2:3], v[2:3], v[52:53]
	v_add_f64_e32 v[18:19], v[18:19], v[24:25]
	s_delay_alu instid0(VALU_DEP_2) | instskip(NEXT) | instid1(VALU_DEP_2)
	v_add_f64_e32 v[2:3], v[2:3], v[22:23]
	v_add_f64_e32 v[18:19], v[18:19], v[20:21]
	s_delay_alu instid0(VALU_DEP_2) | instskip(SKIP_1) | instid1(VALU_DEP_2)
	v_mul_f64_e32 v[20:21], s[28:29], v[2:3]
	v_mul_f64_e32 v[2:3], s[30:31], v[2:3]
	v_fmac_f64_e32 v[20:21], s[30:31], v[18:19]
	s_delay_alu instid0(VALU_DEP_2) | instskip(SKIP_1) | instid1(VALU_DEP_1)
	v_fma_f64 v[18:19], s[28:29], v[18:19], -v[2:3]
	v_add_nc_u64_e32 v[2:3], s[12:13], v[12:13]
	v_add_nc_u64_e32 v[2:3], s[10:11], v[2:3]
	s_delay_alu instid0(VALU_DEP_1) | instskip(NEXT) | instid1(VALU_DEP_1)
	v_lshl_add_u64 v[2:3], v[10:11], 4, v[2:3]
	v_add_nc_u64_e32 v[2:3], v[2:3], v[4:5]
	flat_store_b128 v[2:3], v[18:21]
	s_branch .LBB187_2
.LBB187_19:
	s_endpgm
	.section	.rodata,"a",@progbits
	.p2align	6, 0x0
	.amdhsa_kernel _ZL23rocblas_trmm_rNx_kernelILi16E19rocblas_complex_numIdES1_KPKS1_KPS1_Ev13rocblas_fill_17rocblas_diagonal_iiT1_lPT2_llSB_llPT3_lli
		.amdhsa_group_segment_fixed_size 8192
		.amdhsa_private_segment_fixed_size 0
		.amdhsa_kernarg_size 116
		.amdhsa_user_sgpr_count 2
		.amdhsa_user_sgpr_dispatch_ptr 0
		.amdhsa_user_sgpr_queue_ptr 0
		.amdhsa_user_sgpr_kernarg_segment_ptr 1
		.amdhsa_user_sgpr_dispatch_id 0
		.amdhsa_user_sgpr_kernarg_preload_length 0
		.amdhsa_user_sgpr_kernarg_preload_offset 0
		.amdhsa_user_sgpr_private_segment_size 0
		.amdhsa_wavefront_size32 1
		.amdhsa_uses_dynamic_stack 0
		.amdhsa_enable_private_segment 0
		.amdhsa_system_sgpr_workgroup_id_x 1
		.amdhsa_system_sgpr_workgroup_id_y 0
		.amdhsa_system_sgpr_workgroup_id_z 1
		.amdhsa_system_sgpr_workgroup_info 0
		.amdhsa_system_vgpr_workitem_id 1
		.amdhsa_next_free_vgpr 58
		.amdhsa_next_free_sgpr 40
		.amdhsa_named_barrier_count 0
		.amdhsa_reserve_vcc 1
		.amdhsa_float_round_mode_32 0
		.amdhsa_float_round_mode_16_64 0
		.amdhsa_float_denorm_mode_32 3
		.amdhsa_float_denorm_mode_16_64 3
		.amdhsa_fp16_overflow 0
		.amdhsa_memory_ordered 1
		.amdhsa_forward_progress 1
		.amdhsa_inst_pref_size 14
		.amdhsa_round_robin_scheduling 0
		.amdhsa_exception_fp_ieee_invalid_op 0
		.amdhsa_exception_fp_denorm_src 0
		.amdhsa_exception_fp_ieee_div_zero 0
		.amdhsa_exception_fp_ieee_overflow 0
		.amdhsa_exception_fp_ieee_underflow 0
		.amdhsa_exception_fp_ieee_inexact 0
		.amdhsa_exception_int_div_zero 0
	.end_amdhsa_kernel
	.section	.text._ZL23rocblas_trmm_rNx_kernelILi16E19rocblas_complex_numIdES1_KPKS1_KPS1_Ev13rocblas_fill_17rocblas_diagonal_iiT1_lPT2_llSB_llPT3_lli,"axG",@progbits,_ZL23rocblas_trmm_rNx_kernelILi16E19rocblas_complex_numIdES1_KPKS1_KPS1_Ev13rocblas_fill_17rocblas_diagonal_iiT1_lPT2_llSB_llPT3_lli,comdat
.Lfunc_end187:
	.size	_ZL23rocblas_trmm_rNx_kernelILi16E19rocblas_complex_numIdES1_KPKS1_KPS1_Ev13rocblas_fill_17rocblas_diagonal_iiT1_lPT2_llSB_llPT3_lli, .Lfunc_end187-_ZL23rocblas_trmm_rNx_kernelILi16E19rocblas_complex_numIdES1_KPKS1_KPS1_Ev13rocblas_fill_17rocblas_diagonal_iiT1_lPT2_llSB_llPT3_lli
                                        ; -- End function
	.set _ZL23rocblas_trmm_rNx_kernelILi16E19rocblas_complex_numIdES1_KPKS1_KPS1_Ev13rocblas_fill_17rocblas_diagonal_iiT1_lPT2_llSB_llPT3_lli.num_vgpr, 58
	.set _ZL23rocblas_trmm_rNx_kernelILi16E19rocblas_complex_numIdES1_KPKS1_KPS1_Ev13rocblas_fill_17rocblas_diagonal_iiT1_lPT2_llSB_llPT3_lli.num_agpr, 0
	.set _ZL23rocblas_trmm_rNx_kernelILi16E19rocblas_complex_numIdES1_KPKS1_KPS1_Ev13rocblas_fill_17rocblas_diagonal_iiT1_lPT2_llSB_llPT3_lli.numbered_sgpr, 40
	.set _ZL23rocblas_trmm_rNx_kernelILi16E19rocblas_complex_numIdES1_KPKS1_KPS1_Ev13rocblas_fill_17rocblas_diagonal_iiT1_lPT2_llSB_llPT3_lli.num_named_barrier, 0
	.set _ZL23rocblas_trmm_rNx_kernelILi16E19rocblas_complex_numIdES1_KPKS1_KPS1_Ev13rocblas_fill_17rocblas_diagonal_iiT1_lPT2_llSB_llPT3_lli.private_seg_size, 0
	.set _ZL23rocblas_trmm_rNx_kernelILi16E19rocblas_complex_numIdES1_KPKS1_KPS1_Ev13rocblas_fill_17rocblas_diagonal_iiT1_lPT2_llSB_llPT3_lli.uses_vcc, 1
	.set _ZL23rocblas_trmm_rNx_kernelILi16E19rocblas_complex_numIdES1_KPKS1_KPS1_Ev13rocblas_fill_17rocblas_diagonal_iiT1_lPT2_llSB_llPT3_lli.uses_flat_scratch, 0
	.set _ZL23rocblas_trmm_rNx_kernelILi16E19rocblas_complex_numIdES1_KPKS1_KPS1_Ev13rocblas_fill_17rocblas_diagonal_iiT1_lPT2_llSB_llPT3_lli.has_dyn_sized_stack, 0
	.set _ZL23rocblas_trmm_rNx_kernelILi16E19rocblas_complex_numIdES1_KPKS1_KPS1_Ev13rocblas_fill_17rocblas_diagonal_iiT1_lPT2_llSB_llPT3_lli.has_recursion, 0
	.set _ZL23rocblas_trmm_rNx_kernelILi16E19rocblas_complex_numIdES1_KPKS1_KPS1_Ev13rocblas_fill_17rocblas_diagonal_iiT1_lPT2_llSB_llPT3_lli.has_indirect_call, 0
	.section	.AMDGPU.csdata,"",@progbits
; Kernel info:
; codeLenInByte = 1696
; TotalNumSgprs: 42
; NumVgprs: 58
; ScratchSize: 0
; MemoryBound: 0
; FloatMode: 240
; IeeeMode: 1
; LDSByteSize: 8192 bytes/workgroup (compile time only)
; SGPRBlocks: 0
; VGPRBlocks: 3
; NumSGPRsForWavesPerEU: 42
; NumVGPRsForWavesPerEU: 58
; NamedBarCnt: 0
; Occupancy: 16
; WaveLimiterHint : 1
; COMPUTE_PGM_RSRC2:SCRATCH_EN: 0
; COMPUTE_PGM_RSRC2:USER_SGPR: 2
; COMPUTE_PGM_RSRC2:TRAP_HANDLER: 0
; COMPUTE_PGM_RSRC2:TGID_X_EN: 1
; COMPUTE_PGM_RSRC2:TGID_Y_EN: 0
; COMPUTE_PGM_RSRC2:TGID_Z_EN: 1
; COMPUTE_PGM_RSRC2:TIDIG_COMP_CNT: 1
	.section	.text._ZL23rocblas_trmm_rTx_kernelILi16ELb0E19rocblas_complex_numIdEPKS1_KS3_KPS1_Ev13rocblas_fill_17rocblas_diagonal_iiT2_lPT3_llSB_llPT4_lli,"axG",@progbits,_ZL23rocblas_trmm_rTx_kernelILi16ELb0E19rocblas_complex_numIdEPKS1_KS3_KPS1_Ev13rocblas_fill_17rocblas_diagonal_iiT2_lPT3_llSB_llPT4_lli,comdat
	.globl	_ZL23rocblas_trmm_rTx_kernelILi16ELb0E19rocblas_complex_numIdEPKS1_KS3_KPS1_Ev13rocblas_fill_17rocblas_diagonal_iiT2_lPT3_llSB_llPT4_lli ; -- Begin function _ZL23rocblas_trmm_rTx_kernelILi16ELb0E19rocblas_complex_numIdEPKS1_KS3_KPS1_Ev13rocblas_fill_17rocblas_diagonal_iiT2_lPT3_llSB_llPT4_lli
	.p2align	8
	.type	_ZL23rocblas_trmm_rTx_kernelILi16ELb0E19rocblas_complex_numIdEPKS1_KS3_KPS1_Ev13rocblas_fill_17rocblas_diagonal_iiT2_lPT3_llSB_llPT4_lli,@function
_ZL23rocblas_trmm_rTx_kernelILi16ELb0E19rocblas_complex_numIdEPKS1_KS3_KPS1_Ev13rocblas_fill_17rocblas_diagonal_iiT2_lPT3_llSB_llPT4_lli: ; @_ZL23rocblas_trmm_rTx_kernelILi16ELb0E19rocblas_complex_numIdEPKS1_KS3_KPS1_Ev13rocblas_fill_17rocblas_diagonal_iiT2_lPT3_llSB_llPT4_lli
; %bb.0:
	s_load_b32 s33, s[0:1], 0x68
	s_bfe_u32 s2, ttmp6, 0x40014
	s_lshr_b32 s3, ttmp7, 16
	s_add_co_i32 s2, s2, 1
	s_bfe_u32 s5, ttmp6, 0x40008
	s_mul_i32 s4, s3, s2
	s_getreg_b32 s2, hwreg(HW_REG_IB_STS2, 6, 4)
	s_add_co_i32 s5, s5, s4
	s_cmp_eq_u32 s2, 0
	s_mov_b32 s7, 0
	s_cselect_b32 s6, s3, s5
	s_wait_kmcnt 0x0
	s_cmp_ge_u32 s6, s33
	s_cbranch_scc1 .LBB188_19
; %bb.1:
	s_clause 0x3
	s_load_b128 s[28:31], s[0:1], 0x0
	s_load_b512 s[8:23], s[0:1], 0x10
	s_load_b128 s[24:27], s[0:1], 0x50
	s_load_b64 s[34:35], s[0:1], 0x60
	v_bfe_u32 v8, v0, 10, 10
	v_mov_b32_e32 v9, 0
	s_wait_xcnt 0x0
	s_bfe_u32 s1, ttmp6, 0x4000c
	s_and_b32 s0, ttmp6, 15
	s_add_co_i32 s1, s1, 1
	v_lshlrev_b32_e32 v18, 4, v8
	s_mul_i32 s1, ttmp9, s1
	v_and_b32_e32 v0, 0x3ff, v0
	s_add_co_i32 s1, s0, s1
	v_mov_b32_e32 v1, 0x3ff00000
	s_delay_alu instid0(VALU_DEP_2)
	v_cmp_eq_u32_e32 vcc_lo, v8, v0
	v_add_lshl_u32 v19, v18, v0, 4
	v_lshl_add_u32 v20, v0, 4, 0x1000
	s_wait_kmcnt 0x0
	s_add_co_i32 s3, s30, -1
	v_mul_u64_e32 v[10:11], s[14:15], v[8:9]
	s_ashr_i32 s4, s3, 31
	v_mul_u64_e32 v[12:13], s[20:21], v[8:9]
	v_mul_u64_e32 v[14:15], s[26:27], v[8:9]
	s_lshr_b32 s4, s4, 28
	v_add_nc_u32_e32 v21, 0x1000, v19
	s_add_co_i32 s3, s3, s4
	s_delay_alu instid0(SALU_CYCLE_1)
	s_and_b32 s0, s3, -16
	s_ashr_i32 s3, s3, 4
	s_sub_co_i32 s4, s30, s0
	s_cmp_eq_u32 s2, 0
	v_cmp_gt_i32_e64 s2, s31, v8
	s_cselect_b32 s5, ttmp9, s1
	v_cmp_lt_u32_e64 s0, v0, v8
	s_cmp_ge_i32 s5, s3
	v_cmp_gt_i32_e64 s3, s31, v0
	s_cselect_b32 s4, s4, 16
	s_lshl_b32 s20, s5, 4
	v_cmp_gt_i32_e64 s4, s4, v0
	s_ashr_i32 s21, s20, 31
	s_and_b32 s26, s2, s3
	v_cmp_gt_u32_e64 s1, v0, v8
	v_lshlrev_b32_e32 v8, 4, v0
	s_and_b32 s27, s2, s4
	s_cmp_eq_u32 s29, 0x84
	s_cselect_b32 s2, -1, 0
	s_delay_alu instid0(SALU_CYCLE_1)
	s_and_b32 s29, vcc_lo, s2
	s_cmp_lg_u32 s28, 0x79
	s_cselect_b32 s28, -1, 0
	s_lshl_b64 s[4:5], s[16:17], 4
	s_lshl_b64 s[14:15], s[22:23], 4
	;; [unrolled: 1-line block ×4, first 2 shown]
	s_branch .LBB188_4
.LBB188_2:                              ;   in Loop: Header=BB188_4 Depth=1
	s_wait_xcnt 0x0
	s_or_b32 exec_lo, exec_lo, s2
.LBB188_3:                              ;   in Loop: Header=BB188_4 Depth=1
	s_add_co_i32 s6, s6, 0x10000
	s_delay_alu instid0(SALU_CYCLE_1)
	s_cmp_lt_u32 s6, s33
	s_cbranch_scc0 .LBB188_19
.LBB188_4:                              ; =>This Inner Loop Header: Depth=1
	s_mul_u64 s[2:3], s[10:11], s[6:7]
	s_delay_alu instid0(SALU_CYCLE_1) | instskip(NEXT) | instid1(SALU_CYCLE_1)
	s_lshl_b64 s[2:3], s[2:3], 4
	s_add_nc_u64 s[2:3], s[8:9], s[2:3]
	global_load_b128 v[4:7], v9, s[2:3]
	s_wait_loadcnt 0x0
	v_cmp_neq_f64_e32 vcc_lo, 0, v[4:5]
	s_wait_xcnt 0x0
	v_cmp_neq_f64_e64 s2, 0, v[6:7]
	s_or_b32 s2, vcc_lo, s2
	s_delay_alu instid0(SALU_CYCLE_1)
	s_and_not1_b32 vcc_lo, exec_lo, s2
	s_cbranch_vccnz .LBB188_3
; %bb.5:                                ;   in Loop: Header=BB188_4 Depth=1
	s_lshl_b64 s[2:3], s[6:7], 3
	s_mov_b32 s36, s7
	s_add_nc_u64 s[22:23], s[18:19], s[2:3]
	s_add_nc_u64 s[30:31], s[24:25], s[2:3]
	s_clause 0x1
	global_load_b64 v[2:3], v9, s[22:23]
	global_load_b64 v[16:17], v9, s[30:31]
	s_mov_b32 s37, s7
	s_mov_b32 s38, s7
	;; [unrolled: 1-line block ×3, first 2 shown]
	v_mov_b64_e32 v[22:23], s[36:37]
	v_mov_b64_e32 v[24:25], s[38:39]
	ds_store_b128 v19, v[22:25]
	ds_store_b128 v21, v[22:25]
	s_wait_xcnt 0x0
	s_and_saveexec_b32 s22, s26
	s_cbranch_execnz .LBB188_10
; %bb.6:                                ;   in Loop: Header=BB188_4 Depth=1
	s_or_b32 exec_lo, exec_lo, s22
	s_and_saveexec_b32 s2, s27
	s_cbranch_execnz .LBB188_11
.LBB188_7:                              ;   in Loop: Header=BB188_4 Depth=1
	s_or_b32 exec_lo, exec_lo, s2
	s_and_saveexec_b32 s2, s29
	s_cbranch_execnz .LBB188_12
.LBB188_8:                              ;   in Loop: Header=BB188_4 Depth=1
	s_or_b32 exec_lo, exec_lo, s2
	s_delay_alu instid0(SALU_CYCLE_1)
	s_and_b32 vcc_lo, exec_lo, s28
	s_cbranch_vccz .LBB188_13
.LBB188_9:                              ;   in Loop: Header=BB188_4 Depth=1
	s_and_b32 s2, s0, exec_lo
	s_cbranch_execz .LBB188_14
	s_branch .LBB188_15
.LBB188_10:                             ;   in Loop: Header=BB188_4 Depth=1
	s_add_nc_u64 s[2:3], s[12:13], s[2:3]
	global_load_b64 v[22:23], v9, s[2:3]
	s_wait_loadcnt 0x0
	v_add_nc_u64_e32 v[22:23], s[4:5], v[22:23]
	s_delay_alu instid0(VALU_DEP_1) | instskip(NEXT) | instid1(VALU_DEP_1)
	v_lshl_add_u64 v[22:23], v[10:11], 4, v[22:23]
	v_add_nc_u64_e32 v[22:23], v[22:23], v[8:9]
	flat_load_b128 v[22:25], v[22:23]
	s_wait_loadcnt_dscnt 0x0
	ds_store_2addr_b64 v19, v[22:23], v[24:25] offset1:1
	s_wait_xcnt 0x0
	s_or_b32 exec_lo, exec_lo, s22
	s_and_saveexec_b32 s2, s27
	s_cbranch_execz .LBB188_7
.LBB188_11:                             ;   in Loop: Header=BB188_4 Depth=1
	s_wait_loadcnt 0x1
	v_add_nc_u64_e32 v[2:3], s[14:15], v[2:3]
	s_delay_alu instid0(VALU_DEP_1) | instskip(NEXT) | instid1(VALU_DEP_1)
	v_add_nc_u64_e32 v[2:3], s[16:17], v[2:3]
	v_lshl_add_u64 v[2:3], v[12:13], 4, v[2:3]
	s_delay_alu instid0(VALU_DEP_1)
	v_add_nc_u64_e32 v[2:3], v[2:3], v[8:9]
	flat_load_b128 v[22:25], v[2:3]
	s_wait_loadcnt_dscnt 0x0
	ds_store_2addr_b64 v21, v[22:23], v[24:25] offset1:1
	s_wait_xcnt 0x0
	s_or_b32 exec_lo, exec_lo, s2
	s_and_saveexec_b32 s2, s29
	s_cbranch_execz .LBB188_8
.LBB188_12:                             ;   in Loop: Header=BB188_4 Depth=1
	s_wait_loadcnt 0x1
	v_dual_mov_b32 v0, v9 :: v_dual_mov_b32 v2, v9
	v_mov_b32_e32 v3, v9
	ds_store_b128 v19, v[0:3]
	s_or_b32 exec_lo, exec_lo, s2
	s_delay_alu instid0(SALU_CYCLE_1)
	s_and_b32 vcc_lo, exec_lo, s28
	s_cbranch_vccnz .LBB188_9
.LBB188_13:                             ;   in Loop: Header=BB188_4 Depth=1
	s_mov_b32 s2, 0
.LBB188_14:                             ;   in Loop: Header=BB188_4 Depth=1
	s_delay_alu instid0(SALU_CYCLE_1) | instskip(SKIP_1) | instid1(SALU_CYCLE_1)
	s_and_not1_b32 s2, s2, exec_lo
	s_and_b32 s3, s1, exec_lo
	s_or_b32 s2, s2, s3
.LBB188_15:                             ;   in Loop: Header=BB188_4 Depth=1
	s_delay_alu instid0(SALU_CYCLE_1)
	s_and_saveexec_b32 s3, s2
; %bb.16:                               ;   in Loop: Header=BB188_4 Depth=1
	v_dual_mov_b32 v22, v9 :: v_dual_mov_b32 v23, v9
	v_dual_mov_b32 v24, v9 :: v_dual_mov_b32 v25, v9
	ds_store_b128 v19, v[22:25]
; %bb.17:                               ;   in Loop: Header=BB188_4 Depth=1
	s_or_b32 exec_lo, exec_lo, s3
	s_wait_loadcnt_dscnt 0x0
	s_barrier_signal -1
	s_barrier_wait -1
	s_and_saveexec_b32 s2, s27
	s_cbranch_execz .LBB188_2
; %bb.18:                               ;   in Loop: Header=BB188_4 Depth=1
	ds_load_b128 v[22:25], v20
	ds_load_b128 v[26:29], v18
	ds_load_b128 v[30:33], v18 offset:256
	ds_load_b128 v[34:37], v20 offset:256
	;; [unrolled: 1-line block ×6, first 2 shown]
	s_wait_dscnt 0x6
	v_mul_f64_e32 v[2:3], v[26:27], v[24:25]
	v_mul_f64_e32 v[24:25], v[28:29], v[24:25]
	s_wait_dscnt 0x4
	v_mul_f64_e32 v[54:55], v[30:31], v[36:37]
	s_wait_dscnt 0x2
	;; [unrolled: 2-line block ×3, first 2 shown]
	v_mul_f64_e32 v[58:59], v[46:47], v[52:53]
	v_mul_f64_e32 v[40:41], v[44:45], v[40:41]
	;; [unrolled: 1-line block ×3, first 2 shown]
	v_fmac_f64_e32 v[2:3], v[28:29], v[22:23]
	v_mul_f64_e32 v[28:29], v[32:33], v[36:37]
	v_fmac_f64_e32 v[54:55], v[32:33], v[34:35]
	v_fma_f64 v[22:23], v[26:27], v[22:23], -v[24:25]
	v_fmac_f64_e32 v[56:57], v[44:45], v[38:39]
	v_fmac_f64_e32 v[58:59], v[48:49], v[50:51]
	v_fma_f64 v[38:39], v[42:43], v[38:39], -v[40:41]
	v_add_f64_e32 v[2:3], 0, v[2:3]
	v_fma_f64 v[44:45], v[30:31], v[34:35], -v[28:29]
	v_add_f64_e32 v[60:61], 0, v[22:23]
	ds_load_b128 v[22:25], v20 offset:1024
	ds_load_b128 v[26:29], v18 offset:1024
	;; [unrolled: 1-line block ×4, first 2 shown]
	v_add_f64_e32 v[2:3], v[2:3], v[54:55]
	s_wait_dscnt 0x2
	v_mul_f64_e32 v[54:55], v[26:27], v[24:25]
	v_mul_f64_e32 v[24:25], v[28:29], v[24:25]
	v_add_f64_e32 v[40:41], v[60:61], v[44:45]
	s_delay_alu instid0(VALU_DEP_4)
	v_add_f64_e32 v[2:3], v[2:3], v[56:57]
	s_wait_dscnt 0x0
	v_mul_f64_e32 v[56:57], v[30:31], v[36:37]
	v_fmac_f64_e32 v[54:55], v[28:29], v[22:23]
	v_fma_f64 v[28:29], v[46:47], v[50:51], -v[52:53]
	v_add_f64_e32 v[60:61], v[40:41], v[38:39]
	ds_load_b128 v[38:41], v20 offset:1536
	ds_load_b128 v[42:45], v18 offset:1536
	ds_load_b128 v[46:49], v18 offset:1792
	ds_load_b128 v[50:53], v20 offset:1792
	v_mul_f64_e32 v[36:37], v[32:33], v[36:37]
	v_fma_f64 v[22:23], v[26:27], v[22:23], -v[24:25]
	v_add_f64_e32 v[2:3], v[2:3], v[58:59]
	s_wait_dscnt 0x2
	v_mul_f64_e32 v[58:59], v[42:43], v[40:41]
	v_fmac_f64_e32 v[56:57], v[32:33], v[34:35]
	v_mul_f64_e32 v[40:41], v[44:45], v[40:41]
	v_add_f64_e32 v[24:25], v[60:61], v[28:29]
	v_add_f64_e32 v[2:3], v[2:3], v[54:55]
	s_wait_dscnt 0x0
	v_mul_f64_e32 v[54:55], v[46:47], v[52:53]
	v_fmac_f64_e32 v[58:59], v[44:45], v[38:39]
	v_fma_f64 v[44:45], v[30:31], v[34:35], -v[36:37]
	v_add_f64_e32 v[60:61], v[24:25], v[22:23]
	ds_load_b128 v[22:25], v20 offset:2048
	ds_load_b128 v[26:29], v18 offset:2048
	ds_load_b128 v[30:33], v18 offset:2304
	ds_load_b128 v[34:37], v20 offset:2304
	v_mul_f64_e32 v[52:53], v[48:49], v[52:53]
	v_fma_f64 v[38:39], v[42:43], v[38:39], -v[40:41]
	v_add_f64_e32 v[2:3], v[2:3], v[56:57]
	s_wait_dscnt 0x2
	v_mul_f64_e32 v[56:57], v[26:27], v[24:25]
	v_fmac_f64_e32 v[54:55], v[48:49], v[50:51]
	v_mul_f64_e32 v[24:25], v[28:29], v[24:25]
	v_add_f64_e32 v[40:41], v[60:61], v[44:45]
	;; [unrolled: 18-line block ×4, first 2 shown]
	v_add_f64_e32 v[2:3], v[2:3], v[54:55]
	s_wait_dscnt 0x0
	v_mul_f64_e32 v[54:55], v[30:31], v[36:37]
	v_fmac_f64_e32 v[58:59], v[28:29], v[22:23]
	v_fma_f64 v[28:29], v[46:47], v[50:51], -v[52:53]
	v_add_f64_e32 v[60:61], v[40:41], v[38:39]
	ds_load_b128 v[38:41], v20 offset:3584
	ds_load_b128 v[42:45], v18 offset:3584
	;; [unrolled: 1-line block ×4, first 2 shown]
	v_mul_f64_e32 v[36:37], v[32:33], v[36:37]
	v_fma_f64 v[22:23], v[26:27], v[22:23], -v[24:25]
	s_wait_dscnt 0x0
	v_mul_f64_e32 v[26:27], v[46:47], v[52:53]
	v_add_f64_e32 v[2:3], v[2:3], v[56:57]
	v_mul_f64_e32 v[56:57], v[42:43], v[40:41]
	v_fmac_f64_e32 v[54:55], v[32:33], v[34:35]
	v_add_f64_e32 v[24:25], v[60:61], v[28:29]
	v_mul_f64_e32 v[28:29], v[44:45], v[40:41]
	v_fma_f64 v[30:31], v[30:31], v[34:35], -v[36:37]
	v_fmac_f64_e32 v[26:27], v[48:49], v[50:51]
	v_add_f64_e32 v[2:3], v[2:3], v[58:59]
	v_fmac_f64_e32 v[56:57], v[44:45], v[38:39]
	v_add_f64_e32 v[22:23], v[24:25], v[22:23]
	v_mul_f64_e32 v[24:25], v[48:49], v[52:53]
	v_fma_f64 v[28:29], v[42:43], v[38:39], -v[28:29]
	v_add_f64_e32 v[2:3], v[2:3], v[54:55]
	s_delay_alu instid0(VALU_DEP_4) | instskip(NEXT) | instid1(VALU_DEP_4)
	v_add_f64_e32 v[22:23], v[22:23], v[30:31]
	v_fma_f64 v[24:25], v[46:47], v[50:51], -v[24:25]
	s_delay_alu instid0(VALU_DEP_3) | instskip(NEXT) | instid1(VALU_DEP_3)
	v_add_f64_e32 v[2:3], v[2:3], v[56:57]
	v_add_f64_e32 v[22:23], v[22:23], v[28:29]
	s_delay_alu instid0(VALU_DEP_2) | instskip(NEXT) | instid1(VALU_DEP_2)
	v_add_f64_e32 v[2:3], v[2:3], v[26:27]
	v_add_f64_e32 v[22:23], v[22:23], v[24:25]
	s_delay_alu instid0(VALU_DEP_2) | instskip(SKIP_1) | instid1(VALU_DEP_2)
	v_mul_f64_e32 v[24:25], v[4:5], v[2:3]
	v_mul_f64_e32 v[2:3], v[6:7], v[2:3]
	v_fmac_f64_e32 v[24:25], v[6:7], v[22:23]
	s_delay_alu instid0(VALU_DEP_2) | instskip(SKIP_1) | instid1(VALU_DEP_1)
	v_fma_f64 v[22:23], v[4:5], v[22:23], -v[2:3]
	v_add_nc_u64_e32 v[2:3], s[20:21], v[16:17]
	v_add_nc_u64_e32 v[2:3], s[16:17], v[2:3]
	s_delay_alu instid0(VALU_DEP_1) | instskip(NEXT) | instid1(VALU_DEP_1)
	v_lshl_add_u64 v[2:3], v[14:15], 4, v[2:3]
	v_add_nc_u64_e32 v[2:3], v[2:3], v[8:9]
	flat_store_b128 v[2:3], v[22:25]
	s_branch .LBB188_2
.LBB188_19:
	s_endpgm
	.section	.rodata,"a",@progbits
	.p2align	6, 0x0
	.amdhsa_kernel _ZL23rocblas_trmm_rTx_kernelILi16ELb0E19rocblas_complex_numIdEPKS1_KS3_KPS1_Ev13rocblas_fill_17rocblas_diagonal_iiT2_lPT3_llSB_llPT4_lli
		.amdhsa_group_segment_fixed_size 8192
		.amdhsa_private_segment_fixed_size 0
		.amdhsa_kernarg_size 108
		.amdhsa_user_sgpr_count 2
		.amdhsa_user_sgpr_dispatch_ptr 0
		.amdhsa_user_sgpr_queue_ptr 0
		.amdhsa_user_sgpr_kernarg_segment_ptr 1
		.amdhsa_user_sgpr_dispatch_id 0
		.amdhsa_user_sgpr_kernarg_preload_length 0
		.amdhsa_user_sgpr_kernarg_preload_offset 0
		.amdhsa_user_sgpr_private_segment_size 0
		.amdhsa_wavefront_size32 1
		.amdhsa_uses_dynamic_stack 0
		.amdhsa_enable_private_segment 0
		.amdhsa_system_sgpr_workgroup_id_x 1
		.amdhsa_system_sgpr_workgroup_id_y 0
		.amdhsa_system_sgpr_workgroup_id_z 1
		.amdhsa_system_sgpr_workgroup_info 0
		.amdhsa_system_vgpr_workitem_id 1
		.amdhsa_next_free_vgpr 62
		.amdhsa_next_free_sgpr 40
		.amdhsa_named_barrier_count 0
		.amdhsa_reserve_vcc 1
		.amdhsa_float_round_mode_32 0
		.amdhsa_float_round_mode_16_64 0
		.amdhsa_float_denorm_mode_32 3
		.amdhsa_float_denorm_mode_16_64 3
		.amdhsa_fp16_overflow 0
		.amdhsa_memory_ordered 1
		.amdhsa_forward_progress 1
		.amdhsa_inst_pref_size 14
		.amdhsa_round_robin_scheduling 0
		.amdhsa_exception_fp_ieee_invalid_op 0
		.amdhsa_exception_fp_denorm_src 0
		.amdhsa_exception_fp_ieee_div_zero 0
		.amdhsa_exception_fp_ieee_overflow 0
		.amdhsa_exception_fp_ieee_underflow 0
		.amdhsa_exception_fp_ieee_inexact 0
		.amdhsa_exception_int_div_zero 0
	.end_amdhsa_kernel
	.section	.text._ZL23rocblas_trmm_rTx_kernelILi16ELb0E19rocblas_complex_numIdEPKS1_KS3_KPS1_Ev13rocblas_fill_17rocblas_diagonal_iiT2_lPT3_llSB_llPT4_lli,"axG",@progbits,_ZL23rocblas_trmm_rTx_kernelILi16ELb0E19rocblas_complex_numIdEPKS1_KS3_KPS1_Ev13rocblas_fill_17rocblas_diagonal_iiT2_lPT3_llSB_llPT4_lli,comdat
.Lfunc_end188:
	.size	_ZL23rocblas_trmm_rTx_kernelILi16ELb0E19rocblas_complex_numIdEPKS1_KS3_KPS1_Ev13rocblas_fill_17rocblas_diagonal_iiT2_lPT3_llSB_llPT4_lli, .Lfunc_end188-_ZL23rocblas_trmm_rTx_kernelILi16ELb0E19rocblas_complex_numIdEPKS1_KS3_KPS1_Ev13rocblas_fill_17rocblas_diagonal_iiT2_lPT3_llSB_llPT4_lli
                                        ; -- End function
	.set _ZL23rocblas_trmm_rTx_kernelILi16ELb0E19rocblas_complex_numIdEPKS1_KS3_KPS1_Ev13rocblas_fill_17rocblas_diagonal_iiT2_lPT3_llSB_llPT4_lli.num_vgpr, 62
	.set _ZL23rocblas_trmm_rTx_kernelILi16ELb0E19rocblas_complex_numIdEPKS1_KS3_KPS1_Ev13rocblas_fill_17rocblas_diagonal_iiT2_lPT3_llSB_llPT4_lli.num_agpr, 0
	.set _ZL23rocblas_trmm_rTx_kernelILi16ELb0E19rocblas_complex_numIdEPKS1_KS3_KPS1_Ev13rocblas_fill_17rocblas_diagonal_iiT2_lPT3_llSB_llPT4_lli.numbered_sgpr, 40
	.set _ZL23rocblas_trmm_rTx_kernelILi16ELb0E19rocblas_complex_numIdEPKS1_KS3_KPS1_Ev13rocblas_fill_17rocblas_diagonal_iiT2_lPT3_llSB_llPT4_lli.num_named_barrier, 0
	.set _ZL23rocblas_trmm_rTx_kernelILi16ELb0E19rocblas_complex_numIdEPKS1_KS3_KPS1_Ev13rocblas_fill_17rocblas_diagonal_iiT2_lPT3_llSB_llPT4_lli.private_seg_size, 0
	.set _ZL23rocblas_trmm_rTx_kernelILi16ELb0E19rocblas_complex_numIdEPKS1_KS3_KPS1_Ev13rocblas_fill_17rocblas_diagonal_iiT2_lPT3_llSB_llPT4_lli.uses_vcc, 1
	.set _ZL23rocblas_trmm_rTx_kernelILi16ELb0E19rocblas_complex_numIdEPKS1_KS3_KPS1_Ev13rocblas_fill_17rocblas_diagonal_iiT2_lPT3_llSB_llPT4_lli.uses_flat_scratch, 0
	.set _ZL23rocblas_trmm_rTx_kernelILi16ELb0E19rocblas_complex_numIdEPKS1_KS3_KPS1_Ev13rocblas_fill_17rocblas_diagonal_iiT2_lPT3_llSB_llPT4_lli.has_dyn_sized_stack, 0
	.set _ZL23rocblas_trmm_rTx_kernelILi16ELb0E19rocblas_complex_numIdEPKS1_KS3_KPS1_Ev13rocblas_fill_17rocblas_diagonal_iiT2_lPT3_llSB_llPT4_lli.has_recursion, 0
	.set _ZL23rocblas_trmm_rTx_kernelILi16ELb0E19rocblas_complex_numIdEPKS1_KS3_KPS1_Ev13rocblas_fill_17rocblas_diagonal_iiT2_lPT3_llSB_llPT4_lli.has_indirect_call, 0
	.section	.AMDGPU.csdata,"",@progbits
; Kernel info:
; codeLenInByte = 1736
; TotalNumSgprs: 42
; NumVgprs: 62
; ScratchSize: 0
; MemoryBound: 0
; FloatMode: 240
; IeeeMode: 1
; LDSByteSize: 8192 bytes/workgroup (compile time only)
; SGPRBlocks: 0
; VGPRBlocks: 3
; NumSGPRsForWavesPerEU: 42
; NumVGPRsForWavesPerEU: 62
; NamedBarCnt: 0
; Occupancy: 16
; WaveLimiterHint : 1
; COMPUTE_PGM_RSRC2:SCRATCH_EN: 0
; COMPUTE_PGM_RSRC2:USER_SGPR: 2
; COMPUTE_PGM_RSRC2:TRAP_HANDLER: 0
; COMPUTE_PGM_RSRC2:TGID_X_EN: 1
; COMPUTE_PGM_RSRC2:TGID_Y_EN: 0
; COMPUTE_PGM_RSRC2:TGID_Z_EN: 1
; COMPUTE_PGM_RSRC2:TIDIG_COMP_CNT: 1
	.section	.text._ZL23rocblas_trmm_rTx_kernelILi16ELb0E19rocblas_complex_numIdES1_KPKS1_KPS1_Ev13rocblas_fill_17rocblas_diagonal_iiT2_lPT3_llSB_llPT4_lli,"axG",@progbits,_ZL23rocblas_trmm_rTx_kernelILi16ELb0E19rocblas_complex_numIdES1_KPKS1_KPS1_Ev13rocblas_fill_17rocblas_diagonal_iiT2_lPT3_llSB_llPT4_lli,comdat
	.globl	_ZL23rocblas_trmm_rTx_kernelILi16ELb0E19rocblas_complex_numIdES1_KPKS1_KPS1_Ev13rocblas_fill_17rocblas_diagonal_iiT2_lPT3_llSB_llPT4_lli ; -- Begin function _ZL23rocblas_trmm_rTx_kernelILi16ELb0E19rocblas_complex_numIdES1_KPKS1_KPS1_Ev13rocblas_fill_17rocblas_diagonal_iiT2_lPT3_llSB_llPT4_lli
	.p2align	8
	.type	_ZL23rocblas_trmm_rTx_kernelILi16ELb0E19rocblas_complex_numIdES1_KPKS1_KPS1_Ev13rocblas_fill_17rocblas_diagonal_iiT2_lPT3_llSB_llPT4_lli,@function
_ZL23rocblas_trmm_rTx_kernelILi16ELb0E19rocblas_complex_numIdES1_KPKS1_KPS1_Ev13rocblas_fill_17rocblas_diagonal_iiT2_lPT3_llSB_llPT4_lli: ; @_ZL23rocblas_trmm_rTx_kernelILi16ELb0E19rocblas_complex_numIdES1_KPKS1_KPS1_Ev13rocblas_fill_17rocblas_diagonal_iiT2_lPT3_llSB_llPT4_lli
; %bb.0:
	s_load_b32 s33, s[0:1], 0x70
	s_bfe_u32 s2, ttmp6, 0x40014
	s_lshr_b32 s3, ttmp7, 16
	s_add_co_i32 s2, s2, 1
	s_bfe_u32 s5, ttmp6, 0x40008
	s_mul_i32 s4, s3, s2
	s_getreg_b32 s2, hwreg(HW_REG_IB_STS2, 6, 4)
	s_add_co_i32 s5, s5, s4
	s_cmp_eq_u32 s2, 0
	s_mov_b32 s36, 0
	s_cselect_b32 s6, s3, s5
	s_wait_kmcnt 0x0
	s_cmp_ge_u32 s6, s33
	s_cbranch_scc1 .LBB189_19
; %bb.1:
	s_clause 0x2
	s_load_b256 s[24:31], s[0:1], 0x0
	s_load_b512 s[8:23], s[0:1], 0x28
	s_load_b64 s[34:35], s[0:1], 0x68
	s_wait_xcnt 0x0
	s_bfe_u32 s0, ttmp6, 0x4000c
	v_bfe_u32 v4, v0, 10, 10
	v_mov_b32_e32 v5, 0
	s_add_co_i32 s0, s0, 1
	s_and_b32 s1, ttmp6, 15
	s_mul_i32 s5, ttmp9, s0
	v_lshlrev_b32_e32 v14, 4, v4
	s_add_co_i32 s5, s1, s5
	v_and_b32_e32 v0, 0x3ff, v0
	v_mov_b32_e32 v1, 0x3ff00000
	s_delay_alu instid0(VALU_DEP_2)
	v_cmp_eq_u32_e32 vcc_lo, v4, v0
	v_add_lshl_u32 v16, v14, v0, 4
	v_cmp_lt_u32_e64 s0, v0, v4
	v_lshl_add_u32 v15, v0, 4, 0x1000
	s_wait_kmcnt 0x0
	v_mul_u64_e32 v[6:7], s[10:11], v[4:5]
	v_cmp_neq_f64_e64 s3, s[28:29], 0
	v_cmp_neq_f64_e64 s4, s[30:31], 0
	s_add_co_i32 s7, s26, -1
	v_mul_u64_e32 v[8:9], s[16:17], v[4:5]
	s_ashr_i32 s1, s7, 31
	v_mul_u64_e32 v[10:11], s[22:23], v[4:5]
	s_lshr_b32 s1, s1, 28
	v_add_nc_u32_e32 v17, 0x1000, v16
	s_add_co_i32 s7, s7, s1
	s_delay_alu instid0(SALU_CYCLE_1)
	s_and_b32 s1, s7, -16
	s_ashr_i32 s7, s7, 4
	s_sub_co_i32 s10, s26, s1
	v_cmp_gt_u32_e64 s1, v0, v4
	s_or_b32 s16, s3, s4
	s_cmp_eq_u32 s2, 0
	v_cmp_gt_i32_e64 s2, s27, v4
	s_cselect_b32 s5, ttmp9, s5
	v_cmp_gt_i32_e64 s3, s27, v0
	s_cmp_ge_i32 s5, s7
	v_lshlrev_b32_e32 v4, 4, v0
	s_cselect_b32 s4, s10, 16
	s_lshl_b32 s10, s5, 4
	v_cmp_gt_i32_e64 s4, s4, v0
	s_and_b32 s17, s2, s3
	s_ashr_i32 s11, s10, 31
	s_and_b32 s22, s2, s4
	s_cmp_eq_u32 s25, 0x84
	s_cselect_b32 s2, -1, 0
	s_delay_alu instid0(SALU_CYCLE_1)
	s_and_b32 s23, vcc_lo, s2
	s_cmp_lg_u32 s24, 0x79
	s_cselect_b32 s24, -1, 0
	s_lshl_b64 s[2:3], s[12:13], 4
	s_lshl_b64 s[4:5], s[18:19], 4
	;; [unrolled: 1-line block ×4, first 2 shown]
	s_branch .LBB189_4
.LBB189_2:                              ;   in Loop: Header=BB189_4 Depth=1
	s_wait_xcnt 0x0
	s_or_b32 exec_lo, exec_lo, s7
.LBB189_3:                              ;   in Loop: Header=BB189_4 Depth=1
	s_add_co_i32 s6, s6, 0x10000
	s_delay_alu instid0(SALU_CYCLE_1)
	s_cmp_lt_u32 s6, s33
	s_cbranch_scc0 .LBB189_19
.LBB189_4:                              ; =>This Inner Loop Header: Depth=1
	s_and_not1_b32 vcc_lo, exec_lo, s16
	s_cbranch_vccnz .LBB189_3
; %bb.5:                                ;   in Loop: Header=BB189_4 Depth=1
	v_mov_b32_e32 v0, s6
	s_mov_b32 s37, s36
	s_mov_b32 s38, s36
	;; [unrolled: 1-line block ×3, first 2 shown]
	v_mov_b64_e32 v[18:19], s[36:37]
	s_clause 0x1
	global_load_b64 v[2:3], v0, s[14:15] scale_offset
	global_load_b64 v[12:13], v0, s[20:21] scale_offset
	v_mov_b64_e32 v[20:21], s[38:39]
	ds_store_b128 v16, v[18:21]
	ds_store_b128 v17, v[18:21]
	s_wait_xcnt 0x0
	s_and_saveexec_b32 s18, s17
	s_cbranch_execnz .LBB189_10
; %bb.6:                                ;   in Loop: Header=BB189_4 Depth=1
	s_or_b32 exec_lo, exec_lo, s18
	s_and_saveexec_b32 s7, s22
	s_cbranch_execnz .LBB189_11
.LBB189_7:                              ;   in Loop: Header=BB189_4 Depth=1
	s_or_b32 exec_lo, exec_lo, s7
	s_and_saveexec_b32 s7, s23
	s_cbranch_execnz .LBB189_12
.LBB189_8:                              ;   in Loop: Header=BB189_4 Depth=1
	s_or_b32 exec_lo, exec_lo, s7
	s_delay_alu instid0(SALU_CYCLE_1)
	s_and_b32 vcc_lo, exec_lo, s24
	s_cbranch_vccz .LBB189_13
.LBB189_9:                              ;   in Loop: Header=BB189_4 Depth=1
	s_and_b32 s7, s0, exec_lo
	s_cbranch_execz .LBB189_14
	s_branch .LBB189_15
.LBB189_10:                             ;   in Loop: Header=BB189_4 Depth=1
	s_mov_b32 s7, s36
	s_delay_alu instid0(SALU_CYCLE_1) | instskip(NEXT) | instid1(SALU_CYCLE_1)
	s_lshl_b64 s[26:27], s[6:7], 3
	s_add_nc_u64 s[26:27], s[8:9], s[26:27]
	global_load_b64 v[18:19], v5, s[26:27]
	s_wait_loadcnt 0x0
	v_add_nc_u64_e32 v[18:19], s[2:3], v[18:19]
	s_delay_alu instid0(VALU_DEP_1) | instskip(NEXT) | instid1(VALU_DEP_1)
	v_lshl_add_u64 v[18:19], v[6:7], 4, v[18:19]
	v_add_nc_u64_e32 v[18:19], v[18:19], v[4:5]
	flat_load_b128 v[18:21], v[18:19]
	s_wait_loadcnt_dscnt 0x0
	ds_store_2addr_b64 v16, v[18:19], v[20:21] offset1:1
	s_wait_xcnt 0x0
	s_or_b32 exec_lo, exec_lo, s18
	s_and_saveexec_b32 s7, s22
	s_cbranch_execz .LBB189_7
.LBB189_11:                             ;   in Loop: Header=BB189_4 Depth=1
	s_wait_loadcnt 0x1
	v_add_nc_u64_e32 v[2:3], s[4:5], v[2:3]
	s_delay_alu instid0(VALU_DEP_1) | instskip(NEXT) | instid1(VALU_DEP_1)
	v_add_nc_u64_e32 v[2:3], s[10:11], v[2:3]
	v_lshl_add_u64 v[2:3], v[8:9], 4, v[2:3]
	s_delay_alu instid0(VALU_DEP_1)
	v_add_nc_u64_e32 v[2:3], v[2:3], v[4:5]
	flat_load_b128 v[18:21], v[2:3]
	s_wait_loadcnt_dscnt 0x0
	ds_store_2addr_b64 v17, v[18:19], v[20:21] offset1:1
	s_wait_xcnt 0x0
	s_or_b32 exec_lo, exec_lo, s7
	s_and_saveexec_b32 s7, s23
	s_cbranch_execz .LBB189_8
.LBB189_12:                             ;   in Loop: Header=BB189_4 Depth=1
	s_wait_loadcnt 0x1
	v_dual_mov_b32 v0, v5 :: v_dual_mov_b32 v2, v5
	v_mov_b32_e32 v3, v5
	ds_store_b128 v16, v[0:3]
	s_or_b32 exec_lo, exec_lo, s7
	s_delay_alu instid0(SALU_CYCLE_1)
	s_and_b32 vcc_lo, exec_lo, s24
	s_cbranch_vccnz .LBB189_9
.LBB189_13:                             ;   in Loop: Header=BB189_4 Depth=1
	s_mov_b32 s7, 0
.LBB189_14:                             ;   in Loop: Header=BB189_4 Depth=1
	s_delay_alu instid0(SALU_CYCLE_1) | instskip(SKIP_1) | instid1(SALU_CYCLE_1)
	s_and_not1_b32 s7, s7, exec_lo
	s_and_b32 s18, s1, exec_lo
	s_or_b32 s7, s7, s18
.LBB189_15:                             ;   in Loop: Header=BB189_4 Depth=1
	s_delay_alu instid0(SALU_CYCLE_1)
	s_and_saveexec_b32 s18, s7
; %bb.16:                               ;   in Loop: Header=BB189_4 Depth=1
	v_dual_mov_b32 v18, v5 :: v_dual_mov_b32 v19, v5
	v_dual_mov_b32 v20, v5 :: v_dual_mov_b32 v21, v5
	ds_store_b128 v16, v[18:21]
; %bb.17:                               ;   in Loop: Header=BB189_4 Depth=1
	s_or_b32 exec_lo, exec_lo, s18
	s_wait_loadcnt_dscnt 0x0
	s_barrier_signal -1
	s_barrier_wait -1
	s_and_saveexec_b32 s7, s22
	s_cbranch_execz .LBB189_2
; %bb.18:                               ;   in Loop: Header=BB189_4 Depth=1
	ds_load_b128 v[18:21], v15
	ds_load_b128 v[22:25], v14
	ds_load_b128 v[26:29], v14 offset:256
	ds_load_b128 v[30:33], v15 offset:256
	;; [unrolled: 1-line block ×6, first 2 shown]
	s_wait_dscnt 0x6
	v_mul_f64_e32 v[2:3], v[22:23], v[20:21]
	v_mul_f64_e32 v[20:21], v[24:25], v[20:21]
	s_wait_dscnt 0x4
	v_mul_f64_e32 v[50:51], v[26:27], v[32:33]
	s_wait_dscnt 0x2
	;; [unrolled: 2-line block ×3, first 2 shown]
	v_mul_f64_e32 v[54:55], v[42:43], v[48:49]
	v_mul_f64_e32 v[36:37], v[40:41], v[36:37]
	;; [unrolled: 1-line block ×3, first 2 shown]
	v_fmac_f64_e32 v[2:3], v[24:25], v[18:19]
	v_mul_f64_e32 v[24:25], v[28:29], v[32:33]
	v_fmac_f64_e32 v[50:51], v[28:29], v[30:31]
	v_fma_f64 v[18:19], v[22:23], v[18:19], -v[20:21]
	v_fmac_f64_e32 v[52:53], v[40:41], v[34:35]
	v_fmac_f64_e32 v[54:55], v[44:45], v[46:47]
	v_fma_f64 v[34:35], v[38:39], v[34:35], -v[36:37]
	v_add_f64_e32 v[2:3], 0, v[2:3]
	v_fma_f64 v[40:41], v[26:27], v[30:31], -v[24:25]
	v_add_f64_e32 v[56:57], 0, v[18:19]
	ds_load_b128 v[18:21], v15 offset:1024
	ds_load_b128 v[22:25], v14 offset:1024
	;; [unrolled: 1-line block ×4, first 2 shown]
	v_add_f64_e32 v[2:3], v[2:3], v[50:51]
	s_wait_dscnt 0x2
	v_mul_f64_e32 v[50:51], v[22:23], v[20:21]
	v_mul_f64_e32 v[20:21], v[24:25], v[20:21]
	v_add_f64_e32 v[36:37], v[56:57], v[40:41]
	s_delay_alu instid0(VALU_DEP_4)
	v_add_f64_e32 v[2:3], v[2:3], v[52:53]
	s_wait_dscnt 0x0
	v_mul_f64_e32 v[52:53], v[26:27], v[32:33]
	v_fmac_f64_e32 v[50:51], v[24:25], v[18:19]
	v_fma_f64 v[24:25], v[42:43], v[46:47], -v[48:49]
	v_add_f64_e32 v[56:57], v[36:37], v[34:35]
	ds_load_b128 v[34:37], v15 offset:1536
	ds_load_b128 v[38:41], v14 offset:1536
	ds_load_b128 v[42:45], v14 offset:1792
	ds_load_b128 v[46:49], v15 offset:1792
	v_mul_f64_e32 v[32:33], v[28:29], v[32:33]
	v_fma_f64 v[18:19], v[22:23], v[18:19], -v[20:21]
	v_add_f64_e32 v[2:3], v[2:3], v[54:55]
	s_wait_dscnt 0x2
	v_mul_f64_e32 v[54:55], v[38:39], v[36:37]
	v_fmac_f64_e32 v[52:53], v[28:29], v[30:31]
	v_mul_f64_e32 v[36:37], v[40:41], v[36:37]
	v_add_f64_e32 v[20:21], v[56:57], v[24:25]
	v_add_f64_e32 v[2:3], v[2:3], v[50:51]
	s_wait_dscnt 0x0
	v_mul_f64_e32 v[50:51], v[42:43], v[48:49]
	v_fmac_f64_e32 v[54:55], v[40:41], v[34:35]
	v_fma_f64 v[40:41], v[26:27], v[30:31], -v[32:33]
	v_add_f64_e32 v[56:57], v[20:21], v[18:19]
	ds_load_b128 v[18:21], v15 offset:2048
	ds_load_b128 v[22:25], v14 offset:2048
	ds_load_b128 v[26:29], v14 offset:2304
	ds_load_b128 v[30:33], v15 offset:2304
	v_mul_f64_e32 v[48:49], v[44:45], v[48:49]
	v_fma_f64 v[34:35], v[38:39], v[34:35], -v[36:37]
	v_add_f64_e32 v[2:3], v[2:3], v[52:53]
	s_wait_dscnt 0x2
	v_mul_f64_e32 v[52:53], v[22:23], v[20:21]
	v_fmac_f64_e32 v[50:51], v[44:45], v[46:47]
	v_mul_f64_e32 v[20:21], v[24:25], v[20:21]
	v_add_f64_e32 v[36:37], v[56:57], v[40:41]
	;; [unrolled: 18-line block ×4, first 2 shown]
	v_add_f64_e32 v[2:3], v[2:3], v[50:51]
	s_wait_dscnt 0x0
	v_mul_f64_e32 v[50:51], v[26:27], v[32:33]
	v_fmac_f64_e32 v[54:55], v[24:25], v[18:19]
	v_fma_f64 v[24:25], v[42:43], v[46:47], -v[48:49]
	v_add_f64_e32 v[56:57], v[36:37], v[34:35]
	ds_load_b128 v[34:37], v15 offset:3584
	ds_load_b128 v[38:41], v14 offset:3584
	;; [unrolled: 1-line block ×4, first 2 shown]
	v_mul_f64_e32 v[32:33], v[28:29], v[32:33]
	v_fma_f64 v[18:19], v[22:23], v[18:19], -v[20:21]
	s_wait_dscnt 0x0
	v_mul_f64_e32 v[22:23], v[42:43], v[48:49]
	v_add_f64_e32 v[2:3], v[2:3], v[52:53]
	v_mul_f64_e32 v[52:53], v[38:39], v[36:37]
	v_fmac_f64_e32 v[50:51], v[28:29], v[30:31]
	v_add_f64_e32 v[20:21], v[56:57], v[24:25]
	v_mul_f64_e32 v[24:25], v[40:41], v[36:37]
	v_fma_f64 v[26:27], v[26:27], v[30:31], -v[32:33]
	v_fmac_f64_e32 v[22:23], v[44:45], v[46:47]
	v_add_f64_e32 v[2:3], v[2:3], v[54:55]
	v_fmac_f64_e32 v[52:53], v[40:41], v[34:35]
	v_add_f64_e32 v[18:19], v[20:21], v[18:19]
	v_mul_f64_e32 v[20:21], v[44:45], v[48:49]
	v_fma_f64 v[24:25], v[38:39], v[34:35], -v[24:25]
	v_add_f64_e32 v[2:3], v[2:3], v[50:51]
	s_delay_alu instid0(VALU_DEP_4) | instskip(NEXT) | instid1(VALU_DEP_4)
	v_add_f64_e32 v[18:19], v[18:19], v[26:27]
	v_fma_f64 v[20:21], v[42:43], v[46:47], -v[20:21]
	s_delay_alu instid0(VALU_DEP_3) | instskip(NEXT) | instid1(VALU_DEP_3)
	v_add_f64_e32 v[2:3], v[2:3], v[52:53]
	v_add_f64_e32 v[18:19], v[18:19], v[24:25]
	s_delay_alu instid0(VALU_DEP_2) | instskip(NEXT) | instid1(VALU_DEP_2)
	v_add_f64_e32 v[2:3], v[2:3], v[22:23]
	v_add_f64_e32 v[18:19], v[18:19], v[20:21]
	s_delay_alu instid0(VALU_DEP_2) | instskip(SKIP_1) | instid1(VALU_DEP_2)
	v_mul_f64_e32 v[20:21], s[28:29], v[2:3]
	v_mul_f64_e32 v[2:3], s[30:31], v[2:3]
	v_fmac_f64_e32 v[20:21], s[30:31], v[18:19]
	s_delay_alu instid0(VALU_DEP_2) | instskip(SKIP_1) | instid1(VALU_DEP_1)
	v_fma_f64 v[18:19], s[28:29], v[18:19], -v[2:3]
	v_add_nc_u64_e32 v[2:3], s[12:13], v[12:13]
	v_add_nc_u64_e32 v[2:3], s[10:11], v[2:3]
	s_delay_alu instid0(VALU_DEP_1) | instskip(NEXT) | instid1(VALU_DEP_1)
	v_lshl_add_u64 v[2:3], v[10:11], 4, v[2:3]
	v_add_nc_u64_e32 v[2:3], v[2:3], v[4:5]
	flat_store_b128 v[2:3], v[18:21]
	s_branch .LBB189_2
.LBB189_19:
	s_endpgm
	.section	.rodata,"a",@progbits
	.p2align	6, 0x0
	.amdhsa_kernel _ZL23rocblas_trmm_rTx_kernelILi16ELb0E19rocblas_complex_numIdES1_KPKS1_KPS1_Ev13rocblas_fill_17rocblas_diagonal_iiT2_lPT3_llSB_llPT4_lli
		.amdhsa_group_segment_fixed_size 8192
		.amdhsa_private_segment_fixed_size 0
		.amdhsa_kernarg_size 116
		.amdhsa_user_sgpr_count 2
		.amdhsa_user_sgpr_dispatch_ptr 0
		.amdhsa_user_sgpr_queue_ptr 0
		.amdhsa_user_sgpr_kernarg_segment_ptr 1
		.amdhsa_user_sgpr_dispatch_id 0
		.amdhsa_user_sgpr_kernarg_preload_length 0
		.amdhsa_user_sgpr_kernarg_preload_offset 0
		.amdhsa_user_sgpr_private_segment_size 0
		.amdhsa_wavefront_size32 1
		.amdhsa_uses_dynamic_stack 0
		.amdhsa_enable_private_segment 0
		.amdhsa_system_sgpr_workgroup_id_x 1
		.amdhsa_system_sgpr_workgroup_id_y 0
		.amdhsa_system_sgpr_workgroup_id_z 1
		.amdhsa_system_sgpr_workgroup_info 0
		.amdhsa_system_vgpr_workitem_id 1
		.amdhsa_next_free_vgpr 58
		.amdhsa_next_free_sgpr 40
		.amdhsa_named_barrier_count 0
		.amdhsa_reserve_vcc 1
		.amdhsa_float_round_mode_32 0
		.amdhsa_float_round_mode_16_64 0
		.amdhsa_float_denorm_mode_32 3
		.amdhsa_float_denorm_mode_16_64 3
		.amdhsa_fp16_overflow 0
		.amdhsa_memory_ordered 1
		.amdhsa_forward_progress 1
		.amdhsa_inst_pref_size 14
		.amdhsa_round_robin_scheduling 0
		.amdhsa_exception_fp_ieee_invalid_op 0
		.amdhsa_exception_fp_denorm_src 0
		.amdhsa_exception_fp_ieee_div_zero 0
		.amdhsa_exception_fp_ieee_overflow 0
		.amdhsa_exception_fp_ieee_underflow 0
		.amdhsa_exception_fp_ieee_inexact 0
		.amdhsa_exception_int_div_zero 0
	.end_amdhsa_kernel
	.section	.text._ZL23rocblas_trmm_rTx_kernelILi16ELb0E19rocblas_complex_numIdES1_KPKS1_KPS1_Ev13rocblas_fill_17rocblas_diagonal_iiT2_lPT3_llSB_llPT4_lli,"axG",@progbits,_ZL23rocblas_trmm_rTx_kernelILi16ELb0E19rocblas_complex_numIdES1_KPKS1_KPS1_Ev13rocblas_fill_17rocblas_diagonal_iiT2_lPT3_llSB_llPT4_lli,comdat
.Lfunc_end189:
	.size	_ZL23rocblas_trmm_rTx_kernelILi16ELb0E19rocblas_complex_numIdES1_KPKS1_KPS1_Ev13rocblas_fill_17rocblas_diagonal_iiT2_lPT3_llSB_llPT4_lli, .Lfunc_end189-_ZL23rocblas_trmm_rTx_kernelILi16ELb0E19rocblas_complex_numIdES1_KPKS1_KPS1_Ev13rocblas_fill_17rocblas_diagonal_iiT2_lPT3_llSB_llPT4_lli
                                        ; -- End function
	.set _ZL23rocblas_trmm_rTx_kernelILi16ELb0E19rocblas_complex_numIdES1_KPKS1_KPS1_Ev13rocblas_fill_17rocblas_diagonal_iiT2_lPT3_llSB_llPT4_lli.num_vgpr, 58
	.set _ZL23rocblas_trmm_rTx_kernelILi16ELb0E19rocblas_complex_numIdES1_KPKS1_KPS1_Ev13rocblas_fill_17rocblas_diagonal_iiT2_lPT3_llSB_llPT4_lli.num_agpr, 0
	.set _ZL23rocblas_trmm_rTx_kernelILi16ELb0E19rocblas_complex_numIdES1_KPKS1_KPS1_Ev13rocblas_fill_17rocblas_diagonal_iiT2_lPT3_llSB_llPT4_lli.numbered_sgpr, 40
	.set _ZL23rocblas_trmm_rTx_kernelILi16ELb0E19rocblas_complex_numIdES1_KPKS1_KPS1_Ev13rocblas_fill_17rocblas_diagonal_iiT2_lPT3_llSB_llPT4_lli.num_named_barrier, 0
	.set _ZL23rocblas_trmm_rTx_kernelILi16ELb0E19rocblas_complex_numIdES1_KPKS1_KPS1_Ev13rocblas_fill_17rocblas_diagonal_iiT2_lPT3_llSB_llPT4_lli.private_seg_size, 0
	.set _ZL23rocblas_trmm_rTx_kernelILi16ELb0E19rocblas_complex_numIdES1_KPKS1_KPS1_Ev13rocblas_fill_17rocblas_diagonal_iiT2_lPT3_llSB_llPT4_lli.uses_vcc, 1
	.set _ZL23rocblas_trmm_rTx_kernelILi16ELb0E19rocblas_complex_numIdES1_KPKS1_KPS1_Ev13rocblas_fill_17rocblas_diagonal_iiT2_lPT3_llSB_llPT4_lli.uses_flat_scratch, 0
	.set _ZL23rocblas_trmm_rTx_kernelILi16ELb0E19rocblas_complex_numIdES1_KPKS1_KPS1_Ev13rocblas_fill_17rocblas_diagonal_iiT2_lPT3_llSB_llPT4_lli.has_dyn_sized_stack, 0
	.set _ZL23rocblas_trmm_rTx_kernelILi16ELb0E19rocblas_complex_numIdES1_KPKS1_KPS1_Ev13rocblas_fill_17rocblas_diagonal_iiT2_lPT3_llSB_llPT4_lli.has_recursion, 0
	.set _ZL23rocblas_trmm_rTx_kernelILi16ELb0E19rocblas_complex_numIdES1_KPKS1_KPS1_Ev13rocblas_fill_17rocblas_diagonal_iiT2_lPT3_llSB_llPT4_lli.has_indirect_call, 0
	.section	.AMDGPU.csdata,"",@progbits
; Kernel info:
; codeLenInByte = 1692
; TotalNumSgprs: 42
; NumVgprs: 58
; ScratchSize: 0
; MemoryBound: 0
; FloatMode: 240
; IeeeMode: 1
; LDSByteSize: 8192 bytes/workgroup (compile time only)
; SGPRBlocks: 0
; VGPRBlocks: 3
; NumSGPRsForWavesPerEU: 42
; NumVGPRsForWavesPerEU: 58
; NamedBarCnt: 0
; Occupancy: 16
; WaveLimiterHint : 1
; COMPUTE_PGM_RSRC2:SCRATCH_EN: 0
; COMPUTE_PGM_RSRC2:USER_SGPR: 2
; COMPUTE_PGM_RSRC2:TRAP_HANDLER: 0
; COMPUTE_PGM_RSRC2:TGID_X_EN: 1
; COMPUTE_PGM_RSRC2:TGID_Y_EN: 0
; COMPUTE_PGM_RSRC2:TGID_Z_EN: 1
; COMPUTE_PGM_RSRC2:TIDIG_COMP_CNT: 1
	.section	.text._ZL23rocblas_trmm_rTx_kernelILi16ELb1E19rocblas_complex_numIdEPKS1_KS3_KPS1_Ev13rocblas_fill_17rocblas_diagonal_iiT2_lPT3_llSB_llPT4_lli,"axG",@progbits,_ZL23rocblas_trmm_rTx_kernelILi16ELb1E19rocblas_complex_numIdEPKS1_KS3_KPS1_Ev13rocblas_fill_17rocblas_diagonal_iiT2_lPT3_llSB_llPT4_lli,comdat
	.globl	_ZL23rocblas_trmm_rTx_kernelILi16ELb1E19rocblas_complex_numIdEPKS1_KS3_KPS1_Ev13rocblas_fill_17rocblas_diagonal_iiT2_lPT3_llSB_llPT4_lli ; -- Begin function _ZL23rocblas_trmm_rTx_kernelILi16ELb1E19rocblas_complex_numIdEPKS1_KS3_KPS1_Ev13rocblas_fill_17rocblas_diagonal_iiT2_lPT3_llSB_llPT4_lli
	.p2align	8
	.type	_ZL23rocblas_trmm_rTx_kernelILi16ELb1E19rocblas_complex_numIdEPKS1_KS3_KPS1_Ev13rocblas_fill_17rocblas_diagonal_iiT2_lPT3_llSB_llPT4_lli,@function
_ZL23rocblas_trmm_rTx_kernelILi16ELb1E19rocblas_complex_numIdEPKS1_KS3_KPS1_Ev13rocblas_fill_17rocblas_diagonal_iiT2_lPT3_llSB_llPT4_lli: ; @_ZL23rocblas_trmm_rTx_kernelILi16ELb1E19rocblas_complex_numIdEPKS1_KS3_KPS1_Ev13rocblas_fill_17rocblas_diagonal_iiT2_lPT3_llSB_llPT4_lli
; %bb.0:
	s_load_b32 s33, s[0:1], 0x68
	s_bfe_u32 s2, ttmp6, 0x40014
	s_lshr_b32 s3, ttmp7, 16
	s_add_co_i32 s2, s2, 1
	s_bfe_u32 s5, ttmp6, 0x40008
	s_mul_i32 s4, s3, s2
	s_getreg_b32 s2, hwreg(HW_REG_IB_STS2, 6, 4)
	s_add_co_i32 s5, s5, s4
	s_cmp_eq_u32 s2, 0
	s_mov_b32 s7, 0
	s_cselect_b32 s6, s3, s5
	s_wait_kmcnt 0x0
	s_cmp_ge_u32 s6, s33
	s_cbranch_scc1 .LBB190_19
; %bb.1:
	s_clause 0x3
	s_load_b128 s[28:31], s[0:1], 0x0
	s_load_b512 s[8:23], s[0:1], 0x10
	s_load_b128 s[24:27], s[0:1], 0x50
	s_load_b64 s[34:35], s[0:1], 0x60
	v_bfe_u32 v8, v0, 10, 10
	v_mov_b32_e32 v9, 0
	s_wait_xcnt 0x0
	s_bfe_u32 s1, ttmp6, 0x4000c
	s_and_b32 s0, ttmp6, 15
	s_add_co_i32 s1, s1, 1
	v_lshlrev_b32_e32 v18, 4, v8
	s_mul_i32 s1, ttmp9, s1
	v_and_b32_e32 v0, 0x3ff, v0
	s_add_co_i32 s1, s0, s1
	v_mov_b32_e32 v1, 0x3ff00000
	s_delay_alu instid0(VALU_DEP_2)
	v_cmp_eq_u32_e32 vcc_lo, v8, v0
	v_add_lshl_u32 v19, v18, v0, 4
	v_lshl_add_u32 v20, v0, 4, 0x1000
	s_wait_kmcnt 0x0
	s_add_co_i32 s3, s30, -1
	v_mul_u64_e32 v[10:11], s[14:15], v[8:9]
	s_ashr_i32 s4, s3, 31
	v_mul_u64_e32 v[12:13], s[20:21], v[8:9]
	v_mul_u64_e32 v[14:15], s[26:27], v[8:9]
	s_lshr_b32 s4, s4, 28
	v_add_nc_u32_e32 v21, 0x1000, v19
	s_add_co_i32 s3, s3, s4
	s_delay_alu instid0(SALU_CYCLE_1)
	s_and_b32 s0, s3, -16
	s_ashr_i32 s3, s3, 4
	s_sub_co_i32 s4, s30, s0
	s_cmp_eq_u32 s2, 0
	v_cmp_gt_i32_e64 s2, s31, v8
	s_cselect_b32 s5, ttmp9, s1
	v_cmp_lt_u32_e64 s0, v0, v8
	s_cmp_ge_i32 s5, s3
	v_cmp_gt_i32_e64 s3, s31, v0
	s_cselect_b32 s4, s4, 16
	s_lshl_b32 s20, s5, 4
	v_cmp_gt_i32_e64 s4, s4, v0
	s_ashr_i32 s21, s20, 31
	s_and_b32 s26, s2, s3
	v_cmp_gt_u32_e64 s1, v0, v8
	v_lshlrev_b32_e32 v8, 4, v0
	s_and_b32 s27, s2, s4
	s_cmp_eq_u32 s29, 0x84
	s_cselect_b32 s2, -1, 0
	s_delay_alu instid0(SALU_CYCLE_1)
	s_and_b32 s29, vcc_lo, s2
	s_cmp_lg_u32 s28, 0x79
	s_cselect_b32 s28, -1, 0
	s_lshl_b64 s[4:5], s[16:17], 4
	s_lshl_b64 s[14:15], s[22:23], 4
	;; [unrolled: 1-line block ×4, first 2 shown]
	s_branch .LBB190_4
.LBB190_2:                              ;   in Loop: Header=BB190_4 Depth=1
	s_wait_xcnt 0x0
	s_or_b32 exec_lo, exec_lo, s2
.LBB190_3:                              ;   in Loop: Header=BB190_4 Depth=1
	s_add_co_i32 s6, s6, 0x10000
	s_delay_alu instid0(SALU_CYCLE_1)
	s_cmp_lt_u32 s6, s33
	s_cbranch_scc0 .LBB190_19
.LBB190_4:                              ; =>This Inner Loop Header: Depth=1
	s_mul_u64 s[2:3], s[10:11], s[6:7]
	s_delay_alu instid0(SALU_CYCLE_1) | instskip(NEXT) | instid1(SALU_CYCLE_1)
	s_lshl_b64 s[2:3], s[2:3], 4
	s_add_nc_u64 s[2:3], s[8:9], s[2:3]
	global_load_b128 v[4:7], v9, s[2:3]
	s_wait_loadcnt 0x0
	v_cmp_neq_f64_e32 vcc_lo, 0, v[4:5]
	s_wait_xcnt 0x0
	v_cmp_neq_f64_e64 s2, 0, v[6:7]
	s_or_b32 s2, vcc_lo, s2
	s_delay_alu instid0(SALU_CYCLE_1)
	s_and_not1_b32 vcc_lo, exec_lo, s2
	s_cbranch_vccnz .LBB190_3
; %bb.5:                                ;   in Loop: Header=BB190_4 Depth=1
	s_lshl_b64 s[2:3], s[6:7], 3
	s_mov_b32 s36, s7
	s_add_nc_u64 s[22:23], s[18:19], s[2:3]
	s_add_nc_u64 s[30:31], s[24:25], s[2:3]
	s_clause 0x1
	global_load_b64 v[2:3], v9, s[22:23]
	global_load_b64 v[16:17], v9, s[30:31]
	s_mov_b32 s37, s7
	s_mov_b32 s38, s7
	;; [unrolled: 1-line block ×3, first 2 shown]
	v_mov_b64_e32 v[22:23], s[36:37]
	v_mov_b64_e32 v[24:25], s[38:39]
	ds_store_b128 v19, v[22:25]
	ds_store_b128 v21, v[22:25]
	s_wait_xcnt 0x0
	s_and_saveexec_b32 s22, s26
	s_cbranch_execnz .LBB190_10
; %bb.6:                                ;   in Loop: Header=BB190_4 Depth=1
	s_or_b32 exec_lo, exec_lo, s22
	s_and_saveexec_b32 s2, s27
	s_cbranch_execnz .LBB190_11
.LBB190_7:                              ;   in Loop: Header=BB190_4 Depth=1
	s_or_b32 exec_lo, exec_lo, s2
	s_and_saveexec_b32 s2, s29
	s_cbranch_execnz .LBB190_12
.LBB190_8:                              ;   in Loop: Header=BB190_4 Depth=1
	s_or_b32 exec_lo, exec_lo, s2
	s_delay_alu instid0(SALU_CYCLE_1)
	s_and_b32 vcc_lo, exec_lo, s28
	s_cbranch_vccz .LBB190_13
.LBB190_9:                              ;   in Loop: Header=BB190_4 Depth=1
	s_and_b32 s2, s0, exec_lo
	s_cbranch_execz .LBB190_14
	s_branch .LBB190_15
.LBB190_10:                             ;   in Loop: Header=BB190_4 Depth=1
	s_add_nc_u64 s[2:3], s[12:13], s[2:3]
	global_load_b64 v[22:23], v9, s[2:3]
	s_wait_loadcnt 0x0
	v_add_nc_u64_e32 v[22:23], s[4:5], v[22:23]
	s_delay_alu instid0(VALU_DEP_1) | instskip(NEXT) | instid1(VALU_DEP_1)
	v_lshl_add_u64 v[22:23], v[10:11], 4, v[22:23]
	v_add_nc_u64_e32 v[22:23], v[22:23], v[8:9]
	flat_load_b128 v[22:25], v[22:23]
	s_wait_loadcnt_dscnt 0x0
	v_xor_b32_e32 v25, 0x80000000, v25
	ds_store_b128 v19, v[22:25]
	s_wait_xcnt 0x0
	s_or_b32 exec_lo, exec_lo, s22
	s_and_saveexec_b32 s2, s27
	s_cbranch_execz .LBB190_7
.LBB190_11:                             ;   in Loop: Header=BB190_4 Depth=1
	s_wait_loadcnt 0x1
	v_add_nc_u64_e32 v[2:3], s[14:15], v[2:3]
	s_delay_alu instid0(VALU_DEP_1) | instskip(NEXT) | instid1(VALU_DEP_1)
	v_add_nc_u64_e32 v[2:3], s[16:17], v[2:3]
	v_lshl_add_u64 v[2:3], v[12:13], 4, v[2:3]
	s_delay_alu instid0(VALU_DEP_1)
	v_add_nc_u64_e32 v[2:3], v[2:3], v[8:9]
	flat_load_b128 v[22:25], v[2:3]
	s_wait_loadcnt_dscnt 0x0
	ds_store_2addr_b64 v21, v[22:23], v[24:25] offset1:1
	s_wait_xcnt 0x0
	s_or_b32 exec_lo, exec_lo, s2
	s_and_saveexec_b32 s2, s29
	s_cbranch_execz .LBB190_8
.LBB190_12:                             ;   in Loop: Header=BB190_4 Depth=1
	s_wait_loadcnt 0x1
	v_dual_mov_b32 v0, v9 :: v_dual_mov_b32 v2, v9
	v_mov_b32_e32 v3, v9
	ds_store_b128 v19, v[0:3]
	s_or_b32 exec_lo, exec_lo, s2
	s_delay_alu instid0(SALU_CYCLE_1)
	s_and_b32 vcc_lo, exec_lo, s28
	s_cbranch_vccnz .LBB190_9
.LBB190_13:                             ;   in Loop: Header=BB190_4 Depth=1
	s_mov_b32 s2, 0
.LBB190_14:                             ;   in Loop: Header=BB190_4 Depth=1
	s_delay_alu instid0(SALU_CYCLE_1) | instskip(SKIP_1) | instid1(SALU_CYCLE_1)
	s_and_not1_b32 s2, s2, exec_lo
	s_and_b32 s3, s1, exec_lo
	s_or_b32 s2, s2, s3
.LBB190_15:                             ;   in Loop: Header=BB190_4 Depth=1
	s_delay_alu instid0(SALU_CYCLE_1)
	s_and_saveexec_b32 s3, s2
; %bb.16:                               ;   in Loop: Header=BB190_4 Depth=1
	v_dual_mov_b32 v22, v9 :: v_dual_mov_b32 v23, v9
	v_dual_mov_b32 v24, v9 :: v_dual_mov_b32 v25, v9
	ds_store_b128 v19, v[22:25]
; %bb.17:                               ;   in Loop: Header=BB190_4 Depth=1
	s_or_b32 exec_lo, exec_lo, s3
	s_wait_loadcnt_dscnt 0x0
	s_barrier_signal -1
	s_barrier_wait -1
	s_and_saveexec_b32 s2, s27
	s_cbranch_execz .LBB190_2
; %bb.18:                               ;   in Loop: Header=BB190_4 Depth=1
	ds_load_b128 v[22:25], v20
	ds_load_b128 v[26:29], v18
	ds_load_b128 v[30:33], v18 offset:256
	ds_load_b128 v[34:37], v20 offset:256
	;; [unrolled: 1-line block ×6, first 2 shown]
	s_wait_dscnt 0x6
	v_mul_f64_e32 v[2:3], v[26:27], v[24:25]
	v_mul_f64_e32 v[24:25], v[28:29], v[24:25]
	s_wait_dscnt 0x4
	v_mul_f64_e32 v[54:55], v[30:31], v[36:37]
	s_wait_dscnt 0x2
	;; [unrolled: 2-line block ×3, first 2 shown]
	v_mul_f64_e32 v[58:59], v[46:47], v[52:53]
	v_mul_f64_e32 v[40:41], v[44:45], v[40:41]
	;; [unrolled: 1-line block ×3, first 2 shown]
	v_fmac_f64_e32 v[2:3], v[28:29], v[22:23]
	v_mul_f64_e32 v[28:29], v[32:33], v[36:37]
	v_fmac_f64_e32 v[54:55], v[32:33], v[34:35]
	v_fma_f64 v[22:23], v[26:27], v[22:23], -v[24:25]
	v_fmac_f64_e32 v[56:57], v[44:45], v[38:39]
	v_fmac_f64_e32 v[58:59], v[48:49], v[50:51]
	v_fma_f64 v[38:39], v[42:43], v[38:39], -v[40:41]
	v_add_f64_e32 v[2:3], 0, v[2:3]
	v_fma_f64 v[44:45], v[30:31], v[34:35], -v[28:29]
	v_add_f64_e32 v[60:61], 0, v[22:23]
	ds_load_b128 v[22:25], v20 offset:1024
	ds_load_b128 v[26:29], v18 offset:1024
	;; [unrolled: 1-line block ×4, first 2 shown]
	v_add_f64_e32 v[2:3], v[2:3], v[54:55]
	s_wait_dscnt 0x2
	v_mul_f64_e32 v[54:55], v[26:27], v[24:25]
	v_mul_f64_e32 v[24:25], v[28:29], v[24:25]
	v_add_f64_e32 v[40:41], v[60:61], v[44:45]
	s_delay_alu instid0(VALU_DEP_4)
	v_add_f64_e32 v[2:3], v[2:3], v[56:57]
	s_wait_dscnt 0x0
	v_mul_f64_e32 v[56:57], v[30:31], v[36:37]
	v_fmac_f64_e32 v[54:55], v[28:29], v[22:23]
	v_fma_f64 v[28:29], v[46:47], v[50:51], -v[52:53]
	v_add_f64_e32 v[60:61], v[40:41], v[38:39]
	ds_load_b128 v[38:41], v20 offset:1536
	ds_load_b128 v[42:45], v18 offset:1536
	ds_load_b128 v[46:49], v18 offset:1792
	ds_load_b128 v[50:53], v20 offset:1792
	v_mul_f64_e32 v[36:37], v[32:33], v[36:37]
	v_fma_f64 v[22:23], v[26:27], v[22:23], -v[24:25]
	v_add_f64_e32 v[2:3], v[2:3], v[58:59]
	s_wait_dscnt 0x2
	v_mul_f64_e32 v[58:59], v[42:43], v[40:41]
	v_fmac_f64_e32 v[56:57], v[32:33], v[34:35]
	v_mul_f64_e32 v[40:41], v[44:45], v[40:41]
	v_add_f64_e32 v[24:25], v[60:61], v[28:29]
	v_add_f64_e32 v[2:3], v[2:3], v[54:55]
	s_wait_dscnt 0x0
	v_mul_f64_e32 v[54:55], v[46:47], v[52:53]
	v_fmac_f64_e32 v[58:59], v[44:45], v[38:39]
	v_fma_f64 v[44:45], v[30:31], v[34:35], -v[36:37]
	v_add_f64_e32 v[60:61], v[24:25], v[22:23]
	ds_load_b128 v[22:25], v20 offset:2048
	ds_load_b128 v[26:29], v18 offset:2048
	ds_load_b128 v[30:33], v18 offset:2304
	ds_load_b128 v[34:37], v20 offset:2304
	v_mul_f64_e32 v[52:53], v[48:49], v[52:53]
	v_fma_f64 v[38:39], v[42:43], v[38:39], -v[40:41]
	v_add_f64_e32 v[2:3], v[2:3], v[56:57]
	s_wait_dscnt 0x2
	v_mul_f64_e32 v[56:57], v[26:27], v[24:25]
	v_fmac_f64_e32 v[54:55], v[48:49], v[50:51]
	v_mul_f64_e32 v[24:25], v[28:29], v[24:25]
	v_add_f64_e32 v[40:41], v[60:61], v[44:45]
	v_add_f64_e32 v[2:3], v[2:3], v[58:59]
	s_wait_dscnt 0x0
	v_mul_f64_e32 v[58:59], v[30:31], v[36:37]
	v_fmac_f64_e32 v[56:57], v[28:29], v[22:23]
	v_fma_f64 v[28:29], v[46:47], v[50:51], -v[52:53]
	v_add_f64_e32 v[60:61], v[40:41], v[38:39]
	ds_load_b128 v[38:41], v20 offset:2560
	ds_load_b128 v[42:45], v18 offset:2560
	ds_load_b128 v[46:49], v18 offset:2816
	ds_load_b128 v[50:53], v20 offset:2816
	v_mul_f64_e32 v[36:37], v[32:33], v[36:37]
	v_fma_f64 v[22:23], v[26:27], v[22:23], -v[24:25]
	v_add_f64_e32 v[2:3], v[2:3], v[54:55]
	s_wait_dscnt 0x2
	v_mul_f64_e32 v[54:55], v[42:43], v[40:41]
	v_fmac_f64_e32 v[58:59], v[32:33], v[34:35]
	v_mul_f64_e32 v[40:41], v[44:45], v[40:41]
	v_add_f64_e32 v[24:25], v[60:61], v[28:29]
	v_add_f64_e32 v[2:3], v[2:3], v[56:57]
	s_wait_dscnt 0x0
	v_mul_f64_e32 v[56:57], v[46:47], v[52:53]
	v_fmac_f64_e32 v[54:55], v[44:45], v[38:39]
	v_fma_f64 v[44:45], v[30:31], v[34:35], -v[36:37]
	v_add_f64_e32 v[60:61], v[24:25], v[22:23]
	ds_load_b128 v[22:25], v20 offset:3072
	ds_load_b128 v[26:29], v18 offset:3072
	ds_load_b128 v[30:33], v18 offset:3328
	ds_load_b128 v[34:37], v20 offset:3328
	v_mul_f64_e32 v[52:53], v[48:49], v[52:53]
	v_fma_f64 v[38:39], v[42:43], v[38:39], -v[40:41]
	v_add_f64_e32 v[2:3], v[2:3], v[58:59]
	s_wait_dscnt 0x2
	v_mul_f64_e32 v[58:59], v[26:27], v[24:25]
	v_fmac_f64_e32 v[56:57], v[48:49], v[50:51]
	v_mul_f64_e32 v[24:25], v[28:29], v[24:25]
	v_add_f64_e32 v[40:41], v[60:61], v[44:45]
	v_add_f64_e32 v[2:3], v[2:3], v[54:55]
	s_wait_dscnt 0x0
	v_mul_f64_e32 v[54:55], v[30:31], v[36:37]
	v_fmac_f64_e32 v[58:59], v[28:29], v[22:23]
	v_fma_f64 v[28:29], v[46:47], v[50:51], -v[52:53]
	v_add_f64_e32 v[60:61], v[40:41], v[38:39]
	ds_load_b128 v[38:41], v20 offset:3584
	ds_load_b128 v[42:45], v18 offset:3584
	;; [unrolled: 1-line block ×4, first 2 shown]
	v_mul_f64_e32 v[36:37], v[32:33], v[36:37]
	v_fma_f64 v[22:23], v[26:27], v[22:23], -v[24:25]
	s_wait_dscnt 0x0
	v_mul_f64_e32 v[26:27], v[46:47], v[52:53]
	v_add_f64_e32 v[2:3], v[2:3], v[56:57]
	v_mul_f64_e32 v[56:57], v[42:43], v[40:41]
	v_fmac_f64_e32 v[54:55], v[32:33], v[34:35]
	v_add_f64_e32 v[24:25], v[60:61], v[28:29]
	v_mul_f64_e32 v[28:29], v[44:45], v[40:41]
	v_fma_f64 v[30:31], v[30:31], v[34:35], -v[36:37]
	v_fmac_f64_e32 v[26:27], v[48:49], v[50:51]
	v_add_f64_e32 v[2:3], v[2:3], v[58:59]
	v_fmac_f64_e32 v[56:57], v[44:45], v[38:39]
	v_add_f64_e32 v[22:23], v[24:25], v[22:23]
	v_mul_f64_e32 v[24:25], v[48:49], v[52:53]
	v_fma_f64 v[28:29], v[42:43], v[38:39], -v[28:29]
	v_add_f64_e32 v[2:3], v[2:3], v[54:55]
	s_delay_alu instid0(VALU_DEP_4) | instskip(NEXT) | instid1(VALU_DEP_4)
	v_add_f64_e32 v[22:23], v[22:23], v[30:31]
	v_fma_f64 v[24:25], v[46:47], v[50:51], -v[24:25]
	s_delay_alu instid0(VALU_DEP_3) | instskip(NEXT) | instid1(VALU_DEP_3)
	v_add_f64_e32 v[2:3], v[2:3], v[56:57]
	v_add_f64_e32 v[22:23], v[22:23], v[28:29]
	s_delay_alu instid0(VALU_DEP_2) | instskip(NEXT) | instid1(VALU_DEP_2)
	v_add_f64_e32 v[2:3], v[2:3], v[26:27]
	v_add_f64_e32 v[22:23], v[22:23], v[24:25]
	s_delay_alu instid0(VALU_DEP_2) | instskip(SKIP_1) | instid1(VALU_DEP_2)
	v_mul_f64_e32 v[24:25], v[4:5], v[2:3]
	v_mul_f64_e32 v[2:3], v[6:7], v[2:3]
	v_fmac_f64_e32 v[24:25], v[6:7], v[22:23]
	s_delay_alu instid0(VALU_DEP_2) | instskip(SKIP_1) | instid1(VALU_DEP_1)
	v_fma_f64 v[22:23], v[4:5], v[22:23], -v[2:3]
	v_add_nc_u64_e32 v[2:3], s[20:21], v[16:17]
	v_add_nc_u64_e32 v[2:3], s[16:17], v[2:3]
	s_delay_alu instid0(VALU_DEP_1) | instskip(NEXT) | instid1(VALU_DEP_1)
	v_lshl_add_u64 v[2:3], v[14:15], 4, v[2:3]
	v_add_nc_u64_e32 v[2:3], v[2:3], v[8:9]
	flat_store_b128 v[2:3], v[22:25]
	s_branch .LBB190_2
.LBB190_19:
	s_endpgm
	.section	.rodata,"a",@progbits
	.p2align	6, 0x0
	.amdhsa_kernel _ZL23rocblas_trmm_rTx_kernelILi16ELb1E19rocblas_complex_numIdEPKS1_KS3_KPS1_Ev13rocblas_fill_17rocblas_diagonal_iiT2_lPT3_llSB_llPT4_lli
		.amdhsa_group_segment_fixed_size 8192
		.amdhsa_private_segment_fixed_size 0
		.amdhsa_kernarg_size 108
		.amdhsa_user_sgpr_count 2
		.amdhsa_user_sgpr_dispatch_ptr 0
		.amdhsa_user_sgpr_queue_ptr 0
		.amdhsa_user_sgpr_kernarg_segment_ptr 1
		.amdhsa_user_sgpr_dispatch_id 0
		.amdhsa_user_sgpr_kernarg_preload_length 0
		.amdhsa_user_sgpr_kernarg_preload_offset 0
		.amdhsa_user_sgpr_private_segment_size 0
		.amdhsa_wavefront_size32 1
		.amdhsa_uses_dynamic_stack 0
		.amdhsa_enable_private_segment 0
		.amdhsa_system_sgpr_workgroup_id_x 1
		.amdhsa_system_sgpr_workgroup_id_y 0
		.amdhsa_system_sgpr_workgroup_id_z 1
		.amdhsa_system_sgpr_workgroup_info 0
		.amdhsa_system_vgpr_workitem_id 1
		.amdhsa_next_free_vgpr 62
		.amdhsa_next_free_sgpr 40
		.amdhsa_named_barrier_count 0
		.amdhsa_reserve_vcc 1
		.amdhsa_float_round_mode_32 0
		.amdhsa_float_round_mode_16_64 0
		.amdhsa_float_denorm_mode_32 3
		.amdhsa_float_denorm_mode_16_64 3
		.amdhsa_fp16_overflow 0
		.amdhsa_memory_ordered 1
		.amdhsa_forward_progress 1
		.amdhsa_inst_pref_size 14
		.amdhsa_round_robin_scheduling 0
		.amdhsa_exception_fp_ieee_invalid_op 0
		.amdhsa_exception_fp_denorm_src 0
		.amdhsa_exception_fp_ieee_div_zero 0
		.amdhsa_exception_fp_ieee_overflow 0
		.amdhsa_exception_fp_ieee_underflow 0
		.amdhsa_exception_fp_ieee_inexact 0
		.amdhsa_exception_int_div_zero 0
	.end_amdhsa_kernel
	.section	.text._ZL23rocblas_trmm_rTx_kernelILi16ELb1E19rocblas_complex_numIdEPKS1_KS3_KPS1_Ev13rocblas_fill_17rocblas_diagonal_iiT2_lPT3_llSB_llPT4_lli,"axG",@progbits,_ZL23rocblas_trmm_rTx_kernelILi16ELb1E19rocblas_complex_numIdEPKS1_KS3_KPS1_Ev13rocblas_fill_17rocblas_diagonal_iiT2_lPT3_llSB_llPT4_lli,comdat
.Lfunc_end190:
	.size	_ZL23rocblas_trmm_rTx_kernelILi16ELb1E19rocblas_complex_numIdEPKS1_KS3_KPS1_Ev13rocblas_fill_17rocblas_diagonal_iiT2_lPT3_llSB_llPT4_lli, .Lfunc_end190-_ZL23rocblas_trmm_rTx_kernelILi16ELb1E19rocblas_complex_numIdEPKS1_KS3_KPS1_Ev13rocblas_fill_17rocblas_diagonal_iiT2_lPT3_llSB_llPT4_lli
                                        ; -- End function
	.set _ZL23rocblas_trmm_rTx_kernelILi16ELb1E19rocblas_complex_numIdEPKS1_KS3_KPS1_Ev13rocblas_fill_17rocblas_diagonal_iiT2_lPT3_llSB_llPT4_lli.num_vgpr, 62
	.set _ZL23rocblas_trmm_rTx_kernelILi16ELb1E19rocblas_complex_numIdEPKS1_KS3_KPS1_Ev13rocblas_fill_17rocblas_diagonal_iiT2_lPT3_llSB_llPT4_lli.num_agpr, 0
	.set _ZL23rocblas_trmm_rTx_kernelILi16ELb1E19rocblas_complex_numIdEPKS1_KS3_KPS1_Ev13rocblas_fill_17rocblas_diagonal_iiT2_lPT3_llSB_llPT4_lli.numbered_sgpr, 40
	.set _ZL23rocblas_trmm_rTx_kernelILi16ELb1E19rocblas_complex_numIdEPKS1_KS3_KPS1_Ev13rocblas_fill_17rocblas_diagonal_iiT2_lPT3_llSB_llPT4_lli.num_named_barrier, 0
	.set _ZL23rocblas_trmm_rTx_kernelILi16ELb1E19rocblas_complex_numIdEPKS1_KS3_KPS1_Ev13rocblas_fill_17rocblas_diagonal_iiT2_lPT3_llSB_llPT4_lli.private_seg_size, 0
	.set _ZL23rocblas_trmm_rTx_kernelILi16ELb1E19rocblas_complex_numIdEPKS1_KS3_KPS1_Ev13rocblas_fill_17rocblas_diagonal_iiT2_lPT3_llSB_llPT4_lli.uses_vcc, 1
	.set _ZL23rocblas_trmm_rTx_kernelILi16ELb1E19rocblas_complex_numIdEPKS1_KS3_KPS1_Ev13rocblas_fill_17rocblas_diagonal_iiT2_lPT3_llSB_llPT4_lli.uses_flat_scratch, 0
	.set _ZL23rocblas_trmm_rTx_kernelILi16ELb1E19rocblas_complex_numIdEPKS1_KS3_KPS1_Ev13rocblas_fill_17rocblas_diagonal_iiT2_lPT3_llSB_llPT4_lli.has_dyn_sized_stack, 0
	.set _ZL23rocblas_trmm_rTx_kernelILi16ELb1E19rocblas_complex_numIdEPKS1_KS3_KPS1_Ev13rocblas_fill_17rocblas_diagonal_iiT2_lPT3_llSB_llPT4_lli.has_recursion, 0
	.set _ZL23rocblas_trmm_rTx_kernelILi16ELb1E19rocblas_complex_numIdEPKS1_KS3_KPS1_Ev13rocblas_fill_17rocblas_diagonal_iiT2_lPT3_llSB_llPT4_lli.has_indirect_call, 0
	.section	.AMDGPU.csdata,"",@progbits
; Kernel info:
; codeLenInByte = 1744
; TotalNumSgprs: 42
; NumVgprs: 62
; ScratchSize: 0
; MemoryBound: 0
; FloatMode: 240
; IeeeMode: 1
; LDSByteSize: 8192 bytes/workgroup (compile time only)
; SGPRBlocks: 0
; VGPRBlocks: 3
; NumSGPRsForWavesPerEU: 42
; NumVGPRsForWavesPerEU: 62
; NamedBarCnt: 0
; Occupancy: 16
; WaveLimiterHint : 1
; COMPUTE_PGM_RSRC2:SCRATCH_EN: 0
; COMPUTE_PGM_RSRC2:USER_SGPR: 2
; COMPUTE_PGM_RSRC2:TRAP_HANDLER: 0
; COMPUTE_PGM_RSRC2:TGID_X_EN: 1
; COMPUTE_PGM_RSRC2:TGID_Y_EN: 0
; COMPUTE_PGM_RSRC2:TGID_Z_EN: 1
; COMPUTE_PGM_RSRC2:TIDIG_COMP_CNT: 1
	.section	.text._ZL23rocblas_trmm_rTx_kernelILi16ELb1E19rocblas_complex_numIdES1_KPKS1_KPS1_Ev13rocblas_fill_17rocblas_diagonal_iiT2_lPT3_llSB_llPT4_lli,"axG",@progbits,_ZL23rocblas_trmm_rTx_kernelILi16ELb1E19rocblas_complex_numIdES1_KPKS1_KPS1_Ev13rocblas_fill_17rocblas_diagonal_iiT2_lPT3_llSB_llPT4_lli,comdat
	.globl	_ZL23rocblas_trmm_rTx_kernelILi16ELb1E19rocblas_complex_numIdES1_KPKS1_KPS1_Ev13rocblas_fill_17rocblas_diagonal_iiT2_lPT3_llSB_llPT4_lli ; -- Begin function _ZL23rocblas_trmm_rTx_kernelILi16ELb1E19rocblas_complex_numIdES1_KPKS1_KPS1_Ev13rocblas_fill_17rocblas_diagonal_iiT2_lPT3_llSB_llPT4_lli
	.p2align	8
	.type	_ZL23rocblas_trmm_rTx_kernelILi16ELb1E19rocblas_complex_numIdES1_KPKS1_KPS1_Ev13rocblas_fill_17rocblas_diagonal_iiT2_lPT3_llSB_llPT4_lli,@function
_ZL23rocblas_trmm_rTx_kernelILi16ELb1E19rocblas_complex_numIdES1_KPKS1_KPS1_Ev13rocblas_fill_17rocblas_diagonal_iiT2_lPT3_llSB_llPT4_lli: ; @_ZL23rocblas_trmm_rTx_kernelILi16ELb1E19rocblas_complex_numIdES1_KPKS1_KPS1_Ev13rocblas_fill_17rocblas_diagonal_iiT2_lPT3_llSB_llPT4_lli
; %bb.0:
	s_load_b32 s33, s[0:1], 0x70
	s_bfe_u32 s2, ttmp6, 0x40014
	s_lshr_b32 s3, ttmp7, 16
	s_add_co_i32 s2, s2, 1
	s_bfe_u32 s5, ttmp6, 0x40008
	s_mul_i32 s4, s3, s2
	s_getreg_b32 s2, hwreg(HW_REG_IB_STS2, 6, 4)
	s_add_co_i32 s5, s5, s4
	s_cmp_eq_u32 s2, 0
	s_mov_b32 s36, 0
	s_cselect_b32 s6, s3, s5
	s_wait_kmcnt 0x0
	s_cmp_ge_u32 s6, s33
	s_cbranch_scc1 .LBB191_19
; %bb.1:
	s_clause 0x2
	s_load_b256 s[24:31], s[0:1], 0x0
	s_load_b512 s[8:23], s[0:1], 0x28
	s_load_b64 s[34:35], s[0:1], 0x68
	s_wait_xcnt 0x0
	s_bfe_u32 s0, ttmp6, 0x4000c
	v_bfe_u32 v4, v0, 10, 10
	v_mov_b32_e32 v5, 0
	s_add_co_i32 s0, s0, 1
	s_and_b32 s1, ttmp6, 15
	s_mul_i32 s5, ttmp9, s0
	v_lshlrev_b32_e32 v14, 4, v4
	s_add_co_i32 s5, s1, s5
	v_and_b32_e32 v0, 0x3ff, v0
	v_mov_b32_e32 v1, 0x3ff00000
	s_delay_alu instid0(VALU_DEP_2)
	v_cmp_eq_u32_e32 vcc_lo, v4, v0
	v_add_lshl_u32 v16, v14, v0, 4
	v_cmp_lt_u32_e64 s0, v0, v4
	v_lshl_add_u32 v15, v0, 4, 0x1000
	s_wait_kmcnt 0x0
	v_mul_u64_e32 v[6:7], s[10:11], v[4:5]
	v_cmp_neq_f64_e64 s3, s[28:29], 0
	v_cmp_neq_f64_e64 s4, s[30:31], 0
	s_add_co_i32 s7, s26, -1
	v_mul_u64_e32 v[8:9], s[16:17], v[4:5]
	s_ashr_i32 s1, s7, 31
	v_mul_u64_e32 v[10:11], s[22:23], v[4:5]
	s_lshr_b32 s1, s1, 28
	v_add_nc_u32_e32 v17, 0x1000, v16
	s_add_co_i32 s7, s7, s1
	s_delay_alu instid0(SALU_CYCLE_1)
	s_and_b32 s1, s7, -16
	s_ashr_i32 s7, s7, 4
	s_sub_co_i32 s10, s26, s1
	v_cmp_gt_u32_e64 s1, v0, v4
	s_or_b32 s16, s3, s4
	s_cmp_eq_u32 s2, 0
	v_cmp_gt_i32_e64 s2, s27, v4
	s_cselect_b32 s5, ttmp9, s5
	v_cmp_gt_i32_e64 s3, s27, v0
	s_cmp_ge_i32 s5, s7
	v_lshlrev_b32_e32 v4, 4, v0
	s_cselect_b32 s4, s10, 16
	s_lshl_b32 s10, s5, 4
	v_cmp_gt_i32_e64 s4, s4, v0
	s_and_b32 s17, s2, s3
	s_ashr_i32 s11, s10, 31
	s_and_b32 s22, s2, s4
	s_cmp_eq_u32 s25, 0x84
	s_cselect_b32 s2, -1, 0
	s_delay_alu instid0(SALU_CYCLE_1)
	s_and_b32 s23, vcc_lo, s2
	s_cmp_lg_u32 s24, 0x79
	s_cselect_b32 s24, -1, 0
	s_lshl_b64 s[2:3], s[12:13], 4
	s_lshl_b64 s[4:5], s[18:19], 4
	;; [unrolled: 1-line block ×4, first 2 shown]
	s_branch .LBB191_4
.LBB191_2:                              ;   in Loop: Header=BB191_4 Depth=1
	s_wait_xcnt 0x0
	s_or_b32 exec_lo, exec_lo, s7
.LBB191_3:                              ;   in Loop: Header=BB191_4 Depth=1
	s_add_co_i32 s6, s6, 0x10000
	s_delay_alu instid0(SALU_CYCLE_1)
	s_cmp_lt_u32 s6, s33
	s_cbranch_scc0 .LBB191_19
.LBB191_4:                              ; =>This Inner Loop Header: Depth=1
	s_and_not1_b32 vcc_lo, exec_lo, s16
	s_cbranch_vccnz .LBB191_3
; %bb.5:                                ;   in Loop: Header=BB191_4 Depth=1
	v_mov_b32_e32 v0, s6
	s_mov_b32 s37, s36
	s_mov_b32 s38, s36
	;; [unrolled: 1-line block ×3, first 2 shown]
	v_mov_b64_e32 v[18:19], s[36:37]
	s_clause 0x1
	global_load_b64 v[2:3], v0, s[14:15] scale_offset
	global_load_b64 v[12:13], v0, s[20:21] scale_offset
	v_mov_b64_e32 v[20:21], s[38:39]
	ds_store_b128 v16, v[18:21]
	ds_store_b128 v17, v[18:21]
	s_wait_xcnt 0x0
	s_and_saveexec_b32 s18, s17
	s_cbranch_execnz .LBB191_10
; %bb.6:                                ;   in Loop: Header=BB191_4 Depth=1
	s_or_b32 exec_lo, exec_lo, s18
	s_and_saveexec_b32 s7, s22
	s_cbranch_execnz .LBB191_11
.LBB191_7:                              ;   in Loop: Header=BB191_4 Depth=1
	s_or_b32 exec_lo, exec_lo, s7
	s_and_saveexec_b32 s7, s23
	s_cbranch_execnz .LBB191_12
.LBB191_8:                              ;   in Loop: Header=BB191_4 Depth=1
	s_or_b32 exec_lo, exec_lo, s7
	s_delay_alu instid0(SALU_CYCLE_1)
	s_and_b32 vcc_lo, exec_lo, s24
	s_cbranch_vccz .LBB191_13
.LBB191_9:                              ;   in Loop: Header=BB191_4 Depth=1
	s_and_b32 s7, s0, exec_lo
	s_cbranch_execz .LBB191_14
	s_branch .LBB191_15
.LBB191_10:                             ;   in Loop: Header=BB191_4 Depth=1
	s_mov_b32 s7, s36
	s_delay_alu instid0(SALU_CYCLE_1) | instskip(NEXT) | instid1(SALU_CYCLE_1)
	s_lshl_b64 s[26:27], s[6:7], 3
	s_add_nc_u64 s[26:27], s[8:9], s[26:27]
	global_load_b64 v[18:19], v5, s[26:27]
	s_wait_loadcnt 0x0
	v_add_nc_u64_e32 v[18:19], s[2:3], v[18:19]
	s_delay_alu instid0(VALU_DEP_1) | instskip(NEXT) | instid1(VALU_DEP_1)
	v_lshl_add_u64 v[18:19], v[6:7], 4, v[18:19]
	v_add_nc_u64_e32 v[18:19], v[18:19], v[4:5]
	flat_load_b128 v[18:21], v[18:19]
	s_wait_loadcnt_dscnt 0x0
	v_xor_b32_e32 v21, 0x80000000, v21
	ds_store_b128 v16, v[18:21]
	s_wait_xcnt 0x0
	s_or_b32 exec_lo, exec_lo, s18
	s_and_saveexec_b32 s7, s22
	s_cbranch_execz .LBB191_7
.LBB191_11:                             ;   in Loop: Header=BB191_4 Depth=1
	s_wait_loadcnt 0x1
	v_add_nc_u64_e32 v[2:3], s[4:5], v[2:3]
	s_delay_alu instid0(VALU_DEP_1) | instskip(NEXT) | instid1(VALU_DEP_1)
	v_add_nc_u64_e32 v[2:3], s[10:11], v[2:3]
	v_lshl_add_u64 v[2:3], v[8:9], 4, v[2:3]
	s_delay_alu instid0(VALU_DEP_1)
	v_add_nc_u64_e32 v[2:3], v[2:3], v[4:5]
	flat_load_b128 v[18:21], v[2:3]
	s_wait_loadcnt_dscnt 0x0
	ds_store_2addr_b64 v17, v[18:19], v[20:21] offset1:1
	s_wait_xcnt 0x0
	s_or_b32 exec_lo, exec_lo, s7
	s_and_saveexec_b32 s7, s23
	s_cbranch_execz .LBB191_8
.LBB191_12:                             ;   in Loop: Header=BB191_4 Depth=1
	s_wait_loadcnt 0x1
	v_dual_mov_b32 v0, v5 :: v_dual_mov_b32 v2, v5
	v_mov_b32_e32 v3, v5
	ds_store_b128 v16, v[0:3]
	s_or_b32 exec_lo, exec_lo, s7
	s_delay_alu instid0(SALU_CYCLE_1)
	s_and_b32 vcc_lo, exec_lo, s24
	s_cbranch_vccnz .LBB191_9
.LBB191_13:                             ;   in Loop: Header=BB191_4 Depth=1
	s_mov_b32 s7, 0
.LBB191_14:                             ;   in Loop: Header=BB191_4 Depth=1
	s_delay_alu instid0(SALU_CYCLE_1) | instskip(SKIP_1) | instid1(SALU_CYCLE_1)
	s_and_not1_b32 s7, s7, exec_lo
	s_and_b32 s18, s1, exec_lo
	s_or_b32 s7, s7, s18
.LBB191_15:                             ;   in Loop: Header=BB191_4 Depth=1
	s_delay_alu instid0(SALU_CYCLE_1)
	s_and_saveexec_b32 s18, s7
; %bb.16:                               ;   in Loop: Header=BB191_4 Depth=1
	v_dual_mov_b32 v18, v5 :: v_dual_mov_b32 v19, v5
	v_dual_mov_b32 v20, v5 :: v_dual_mov_b32 v21, v5
	ds_store_b128 v16, v[18:21]
; %bb.17:                               ;   in Loop: Header=BB191_4 Depth=1
	s_or_b32 exec_lo, exec_lo, s18
	s_wait_loadcnt_dscnt 0x0
	s_barrier_signal -1
	s_barrier_wait -1
	s_and_saveexec_b32 s7, s22
	s_cbranch_execz .LBB191_2
; %bb.18:                               ;   in Loop: Header=BB191_4 Depth=1
	ds_load_b128 v[18:21], v15
	ds_load_b128 v[22:25], v14
	ds_load_b128 v[26:29], v14 offset:256
	ds_load_b128 v[30:33], v15 offset:256
	;; [unrolled: 1-line block ×6, first 2 shown]
	s_wait_dscnt 0x6
	v_mul_f64_e32 v[2:3], v[22:23], v[20:21]
	v_mul_f64_e32 v[20:21], v[24:25], v[20:21]
	s_wait_dscnt 0x4
	v_mul_f64_e32 v[50:51], v[26:27], v[32:33]
	s_wait_dscnt 0x2
	;; [unrolled: 2-line block ×3, first 2 shown]
	v_mul_f64_e32 v[54:55], v[42:43], v[48:49]
	v_mul_f64_e32 v[36:37], v[40:41], v[36:37]
	;; [unrolled: 1-line block ×3, first 2 shown]
	v_fmac_f64_e32 v[2:3], v[24:25], v[18:19]
	v_mul_f64_e32 v[24:25], v[28:29], v[32:33]
	v_fmac_f64_e32 v[50:51], v[28:29], v[30:31]
	v_fma_f64 v[18:19], v[22:23], v[18:19], -v[20:21]
	v_fmac_f64_e32 v[52:53], v[40:41], v[34:35]
	v_fmac_f64_e32 v[54:55], v[44:45], v[46:47]
	v_fma_f64 v[34:35], v[38:39], v[34:35], -v[36:37]
	v_add_f64_e32 v[2:3], 0, v[2:3]
	v_fma_f64 v[40:41], v[26:27], v[30:31], -v[24:25]
	v_add_f64_e32 v[56:57], 0, v[18:19]
	ds_load_b128 v[18:21], v15 offset:1024
	ds_load_b128 v[22:25], v14 offset:1024
	;; [unrolled: 1-line block ×4, first 2 shown]
	v_add_f64_e32 v[2:3], v[2:3], v[50:51]
	s_wait_dscnt 0x2
	v_mul_f64_e32 v[50:51], v[22:23], v[20:21]
	v_mul_f64_e32 v[20:21], v[24:25], v[20:21]
	v_add_f64_e32 v[36:37], v[56:57], v[40:41]
	s_delay_alu instid0(VALU_DEP_4)
	v_add_f64_e32 v[2:3], v[2:3], v[52:53]
	s_wait_dscnt 0x0
	v_mul_f64_e32 v[52:53], v[26:27], v[32:33]
	v_fmac_f64_e32 v[50:51], v[24:25], v[18:19]
	v_fma_f64 v[24:25], v[42:43], v[46:47], -v[48:49]
	v_add_f64_e32 v[56:57], v[36:37], v[34:35]
	ds_load_b128 v[34:37], v15 offset:1536
	ds_load_b128 v[38:41], v14 offset:1536
	ds_load_b128 v[42:45], v14 offset:1792
	ds_load_b128 v[46:49], v15 offset:1792
	v_mul_f64_e32 v[32:33], v[28:29], v[32:33]
	v_fma_f64 v[18:19], v[22:23], v[18:19], -v[20:21]
	v_add_f64_e32 v[2:3], v[2:3], v[54:55]
	s_wait_dscnt 0x2
	v_mul_f64_e32 v[54:55], v[38:39], v[36:37]
	v_fmac_f64_e32 v[52:53], v[28:29], v[30:31]
	v_mul_f64_e32 v[36:37], v[40:41], v[36:37]
	v_add_f64_e32 v[20:21], v[56:57], v[24:25]
	v_add_f64_e32 v[2:3], v[2:3], v[50:51]
	s_wait_dscnt 0x0
	v_mul_f64_e32 v[50:51], v[42:43], v[48:49]
	v_fmac_f64_e32 v[54:55], v[40:41], v[34:35]
	v_fma_f64 v[40:41], v[26:27], v[30:31], -v[32:33]
	v_add_f64_e32 v[56:57], v[20:21], v[18:19]
	ds_load_b128 v[18:21], v15 offset:2048
	ds_load_b128 v[22:25], v14 offset:2048
	ds_load_b128 v[26:29], v14 offset:2304
	ds_load_b128 v[30:33], v15 offset:2304
	v_mul_f64_e32 v[48:49], v[44:45], v[48:49]
	v_fma_f64 v[34:35], v[38:39], v[34:35], -v[36:37]
	v_add_f64_e32 v[2:3], v[2:3], v[52:53]
	s_wait_dscnt 0x2
	v_mul_f64_e32 v[52:53], v[22:23], v[20:21]
	v_fmac_f64_e32 v[50:51], v[44:45], v[46:47]
	v_mul_f64_e32 v[20:21], v[24:25], v[20:21]
	v_add_f64_e32 v[36:37], v[56:57], v[40:41]
	v_add_f64_e32 v[2:3], v[2:3], v[54:55]
	s_wait_dscnt 0x0
	v_mul_f64_e32 v[54:55], v[26:27], v[32:33]
	v_fmac_f64_e32 v[52:53], v[24:25], v[18:19]
	v_fma_f64 v[24:25], v[42:43], v[46:47], -v[48:49]
	v_add_f64_e32 v[56:57], v[36:37], v[34:35]
	ds_load_b128 v[34:37], v15 offset:2560
	ds_load_b128 v[38:41], v14 offset:2560
	ds_load_b128 v[42:45], v14 offset:2816
	ds_load_b128 v[46:49], v15 offset:2816
	v_mul_f64_e32 v[32:33], v[28:29], v[32:33]
	v_fma_f64 v[18:19], v[22:23], v[18:19], -v[20:21]
	v_add_f64_e32 v[2:3], v[2:3], v[50:51]
	s_wait_dscnt 0x2
	v_mul_f64_e32 v[50:51], v[38:39], v[36:37]
	v_fmac_f64_e32 v[54:55], v[28:29], v[30:31]
	v_mul_f64_e32 v[36:37], v[40:41], v[36:37]
	v_add_f64_e32 v[20:21], v[56:57], v[24:25]
	v_add_f64_e32 v[2:3], v[2:3], v[52:53]
	s_wait_dscnt 0x0
	v_mul_f64_e32 v[52:53], v[42:43], v[48:49]
	v_fmac_f64_e32 v[50:51], v[40:41], v[34:35]
	v_fma_f64 v[40:41], v[26:27], v[30:31], -v[32:33]
	v_add_f64_e32 v[56:57], v[20:21], v[18:19]
	ds_load_b128 v[18:21], v15 offset:3072
	ds_load_b128 v[22:25], v14 offset:3072
	ds_load_b128 v[26:29], v14 offset:3328
	ds_load_b128 v[30:33], v15 offset:3328
	v_mul_f64_e32 v[48:49], v[44:45], v[48:49]
	v_fma_f64 v[34:35], v[38:39], v[34:35], -v[36:37]
	v_add_f64_e32 v[2:3], v[2:3], v[54:55]
	s_wait_dscnt 0x2
	v_mul_f64_e32 v[54:55], v[22:23], v[20:21]
	v_fmac_f64_e32 v[52:53], v[44:45], v[46:47]
	v_mul_f64_e32 v[20:21], v[24:25], v[20:21]
	v_add_f64_e32 v[36:37], v[56:57], v[40:41]
	v_add_f64_e32 v[2:3], v[2:3], v[50:51]
	s_wait_dscnt 0x0
	v_mul_f64_e32 v[50:51], v[26:27], v[32:33]
	v_fmac_f64_e32 v[54:55], v[24:25], v[18:19]
	v_fma_f64 v[24:25], v[42:43], v[46:47], -v[48:49]
	v_add_f64_e32 v[56:57], v[36:37], v[34:35]
	ds_load_b128 v[34:37], v15 offset:3584
	ds_load_b128 v[38:41], v14 offset:3584
	;; [unrolled: 1-line block ×4, first 2 shown]
	v_mul_f64_e32 v[32:33], v[28:29], v[32:33]
	v_fma_f64 v[18:19], v[22:23], v[18:19], -v[20:21]
	s_wait_dscnt 0x0
	v_mul_f64_e32 v[22:23], v[42:43], v[48:49]
	v_add_f64_e32 v[2:3], v[2:3], v[52:53]
	v_mul_f64_e32 v[52:53], v[38:39], v[36:37]
	v_fmac_f64_e32 v[50:51], v[28:29], v[30:31]
	v_add_f64_e32 v[20:21], v[56:57], v[24:25]
	v_mul_f64_e32 v[24:25], v[40:41], v[36:37]
	v_fma_f64 v[26:27], v[26:27], v[30:31], -v[32:33]
	v_fmac_f64_e32 v[22:23], v[44:45], v[46:47]
	v_add_f64_e32 v[2:3], v[2:3], v[54:55]
	v_fmac_f64_e32 v[52:53], v[40:41], v[34:35]
	v_add_f64_e32 v[18:19], v[20:21], v[18:19]
	v_mul_f64_e32 v[20:21], v[44:45], v[48:49]
	v_fma_f64 v[24:25], v[38:39], v[34:35], -v[24:25]
	v_add_f64_e32 v[2:3], v[2:3], v[50:51]
	s_delay_alu instid0(VALU_DEP_4) | instskip(NEXT) | instid1(VALU_DEP_4)
	v_add_f64_e32 v[18:19], v[18:19], v[26:27]
	v_fma_f64 v[20:21], v[42:43], v[46:47], -v[20:21]
	s_delay_alu instid0(VALU_DEP_3) | instskip(NEXT) | instid1(VALU_DEP_3)
	v_add_f64_e32 v[2:3], v[2:3], v[52:53]
	v_add_f64_e32 v[18:19], v[18:19], v[24:25]
	s_delay_alu instid0(VALU_DEP_2) | instskip(NEXT) | instid1(VALU_DEP_2)
	v_add_f64_e32 v[2:3], v[2:3], v[22:23]
	v_add_f64_e32 v[18:19], v[18:19], v[20:21]
	s_delay_alu instid0(VALU_DEP_2) | instskip(SKIP_1) | instid1(VALU_DEP_2)
	v_mul_f64_e32 v[20:21], s[28:29], v[2:3]
	v_mul_f64_e32 v[2:3], s[30:31], v[2:3]
	v_fmac_f64_e32 v[20:21], s[30:31], v[18:19]
	s_delay_alu instid0(VALU_DEP_2) | instskip(SKIP_1) | instid1(VALU_DEP_1)
	v_fma_f64 v[18:19], s[28:29], v[18:19], -v[2:3]
	v_add_nc_u64_e32 v[2:3], s[12:13], v[12:13]
	v_add_nc_u64_e32 v[2:3], s[10:11], v[2:3]
	s_delay_alu instid0(VALU_DEP_1) | instskip(NEXT) | instid1(VALU_DEP_1)
	v_lshl_add_u64 v[2:3], v[10:11], 4, v[2:3]
	v_add_nc_u64_e32 v[2:3], v[2:3], v[4:5]
	flat_store_b128 v[2:3], v[18:21]
	s_branch .LBB191_2
.LBB191_19:
	s_endpgm
	.section	.rodata,"a",@progbits
	.p2align	6, 0x0
	.amdhsa_kernel _ZL23rocblas_trmm_rTx_kernelILi16ELb1E19rocblas_complex_numIdES1_KPKS1_KPS1_Ev13rocblas_fill_17rocblas_diagonal_iiT2_lPT3_llSB_llPT4_lli
		.amdhsa_group_segment_fixed_size 8192
		.amdhsa_private_segment_fixed_size 0
		.amdhsa_kernarg_size 116
		.amdhsa_user_sgpr_count 2
		.amdhsa_user_sgpr_dispatch_ptr 0
		.amdhsa_user_sgpr_queue_ptr 0
		.amdhsa_user_sgpr_kernarg_segment_ptr 1
		.amdhsa_user_sgpr_dispatch_id 0
		.amdhsa_user_sgpr_kernarg_preload_length 0
		.amdhsa_user_sgpr_kernarg_preload_offset 0
		.amdhsa_user_sgpr_private_segment_size 0
		.amdhsa_wavefront_size32 1
		.amdhsa_uses_dynamic_stack 0
		.amdhsa_enable_private_segment 0
		.amdhsa_system_sgpr_workgroup_id_x 1
		.amdhsa_system_sgpr_workgroup_id_y 0
		.amdhsa_system_sgpr_workgroup_id_z 1
		.amdhsa_system_sgpr_workgroup_info 0
		.amdhsa_system_vgpr_workitem_id 1
		.amdhsa_next_free_vgpr 58
		.amdhsa_next_free_sgpr 40
		.amdhsa_named_barrier_count 0
		.amdhsa_reserve_vcc 1
		.amdhsa_float_round_mode_32 0
		.amdhsa_float_round_mode_16_64 0
		.amdhsa_float_denorm_mode_32 3
		.amdhsa_float_denorm_mode_16_64 3
		.amdhsa_fp16_overflow 0
		.amdhsa_memory_ordered 1
		.amdhsa_forward_progress 1
		.amdhsa_inst_pref_size 14
		.amdhsa_round_robin_scheduling 0
		.amdhsa_exception_fp_ieee_invalid_op 0
		.amdhsa_exception_fp_denorm_src 0
		.amdhsa_exception_fp_ieee_div_zero 0
		.amdhsa_exception_fp_ieee_overflow 0
		.amdhsa_exception_fp_ieee_underflow 0
		.amdhsa_exception_fp_ieee_inexact 0
		.amdhsa_exception_int_div_zero 0
	.end_amdhsa_kernel
	.section	.text._ZL23rocblas_trmm_rTx_kernelILi16ELb1E19rocblas_complex_numIdES1_KPKS1_KPS1_Ev13rocblas_fill_17rocblas_diagonal_iiT2_lPT3_llSB_llPT4_lli,"axG",@progbits,_ZL23rocblas_trmm_rTx_kernelILi16ELb1E19rocblas_complex_numIdES1_KPKS1_KPS1_Ev13rocblas_fill_17rocblas_diagonal_iiT2_lPT3_llSB_llPT4_lli,comdat
.Lfunc_end191:
	.size	_ZL23rocblas_trmm_rTx_kernelILi16ELb1E19rocblas_complex_numIdES1_KPKS1_KPS1_Ev13rocblas_fill_17rocblas_diagonal_iiT2_lPT3_llSB_llPT4_lli, .Lfunc_end191-_ZL23rocblas_trmm_rTx_kernelILi16ELb1E19rocblas_complex_numIdES1_KPKS1_KPS1_Ev13rocblas_fill_17rocblas_diagonal_iiT2_lPT3_llSB_llPT4_lli
                                        ; -- End function
	.set _ZL23rocblas_trmm_rTx_kernelILi16ELb1E19rocblas_complex_numIdES1_KPKS1_KPS1_Ev13rocblas_fill_17rocblas_diagonal_iiT2_lPT3_llSB_llPT4_lli.num_vgpr, 58
	.set _ZL23rocblas_trmm_rTx_kernelILi16ELb1E19rocblas_complex_numIdES1_KPKS1_KPS1_Ev13rocblas_fill_17rocblas_diagonal_iiT2_lPT3_llSB_llPT4_lli.num_agpr, 0
	.set _ZL23rocblas_trmm_rTx_kernelILi16ELb1E19rocblas_complex_numIdES1_KPKS1_KPS1_Ev13rocblas_fill_17rocblas_diagonal_iiT2_lPT3_llSB_llPT4_lli.numbered_sgpr, 40
	.set _ZL23rocblas_trmm_rTx_kernelILi16ELb1E19rocblas_complex_numIdES1_KPKS1_KPS1_Ev13rocblas_fill_17rocblas_diagonal_iiT2_lPT3_llSB_llPT4_lli.num_named_barrier, 0
	.set _ZL23rocblas_trmm_rTx_kernelILi16ELb1E19rocblas_complex_numIdES1_KPKS1_KPS1_Ev13rocblas_fill_17rocblas_diagonal_iiT2_lPT3_llSB_llPT4_lli.private_seg_size, 0
	.set _ZL23rocblas_trmm_rTx_kernelILi16ELb1E19rocblas_complex_numIdES1_KPKS1_KPS1_Ev13rocblas_fill_17rocblas_diagonal_iiT2_lPT3_llSB_llPT4_lli.uses_vcc, 1
	.set _ZL23rocblas_trmm_rTx_kernelILi16ELb1E19rocblas_complex_numIdES1_KPKS1_KPS1_Ev13rocblas_fill_17rocblas_diagonal_iiT2_lPT3_llSB_llPT4_lli.uses_flat_scratch, 0
	.set _ZL23rocblas_trmm_rTx_kernelILi16ELb1E19rocblas_complex_numIdES1_KPKS1_KPS1_Ev13rocblas_fill_17rocblas_diagonal_iiT2_lPT3_llSB_llPT4_lli.has_dyn_sized_stack, 0
	.set _ZL23rocblas_trmm_rTx_kernelILi16ELb1E19rocblas_complex_numIdES1_KPKS1_KPS1_Ev13rocblas_fill_17rocblas_diagonal_iiT2_lPT3_llSB_llPT4_lli.has_recursion, 0
	.set _ZL23rocblas_trmm_rTx_kernelILi16ELb1E19rocblas_complex_numIdES1_KPKS1_KPS1_Ev13rocblas_fill_17rocblas_diagonal_iiT2_lPT3_llSB_llPT4_lli.has_indirect_call, 0
	.section	.AMDGPU.csdata,"",@progbits
; Kernel info:
; codeLenInByte = 1700
; TotalNumSgprs: 42
; NumVgprs: 58
; ScratchSize: 0
; MemoryBound: 0
; FloatMode: 240
; IeeeMode: 1
; LDSByteSize: 8192 bytes/workgroup (compile time only)
; SGPRBlocks: 0
; VGPRBlocks: 3
; NumSGPRsForWavesPerEU: 42
; NumVGPRsForWavesPerEU: 58
; NamedBarCnt: 0
; Occupancy: 16
; WaveLimiterHint : 1
; COMPUTE_PGM_RSRC2:SCRATCH_EN: 0
; COMPUTE_PGM_RSRC2:USER_SGPR: 2
; COMPUTE_PGM_RSRC2:TRAP_HANDLER: 0
; COMPUTE_PGM_RSRC2:TGID_X_EN: 1
; COMPUTE_PGM_RSRC2:TGID_Y_EN: 0
; COMPUTE_PGM_RSRC2:TGID_Z_EN: 1
; COMPUTE_PGM_RSRC2:TIDIG_COMP_CNT: 1
	.section	.text._ZL44rocblas_set_matrix_zero_if_alpha_zero_kernelILi16ELi16EPKfPKPfEviiT1_lT2_lli,"axG",@progbits,_ZL44rocblas_set_matrix_zero_if_alpha_zero_kernelILi16ELi16EPKfPKPfEviiT1_lT2_lli,comdat
	.globl	_ZL44rocblas_set_matrix_zero_if_alpha_zero_kernelILi16ELi16EPKfPKPfEviiT1_lT2_lli ; -- Begin function _ZL44rocblas_set_matrix_zero_if_alpha_zero_kernelILi16ELi16EPKfPKPfEviiT1_lT2_lli
	.p2align	8
	.type	_ZL44rocblas_set_matrix_zero_if_alpha_zero_kernelILi16ELi16EPKfPKPfEviiT1_lT2_lli,@function
_ZL44rocblas_set_matrix_zero_if_alpha_zero_kernelILi16ELi16EPKfPKPfEviiT1_lT2_lli: ; @_ZL44rocblas_set_matrix_zero_if_alpha_zero_kernelILi16ELi16EPKfPKPfEviiT1_lT2_lli
; %bb.0:
	s_load_b32 s30, s[0:1], 0x30
	s_bfe_u32 s2, ttmp6, 0x40014
	s_lshr_b32 s3, ttmp7, 16
	s_add_co_i32 s2, s2, 1
	s_bfe_u32 s5, ttmp6, 0x40008
	s_mul_i32 s4, s3, s2
	s_getreg_b32 s2, hwreg(HW_REG_IB_STS2, 6, 4)
	s_add_co_i32 s5, s5, s4
	s_cmp_eq_u32 s2, 0
	s_mov_b32 s13, 0
	s_cselect_b32 s12, s3, s5
	s_wait_kmcnt 0x0
	s_cmp_ge_u32 s12, s30
	s_cbranch_scc1 .LBB192_15
; %bb.1:
	s_bfe_u32 s3, ttmp6, 0x40010
	s_bfe_u32 s15, ttmp6, 0x4000c
	s_and_b32 s14, ttmp7, 0xffff
	s_add_co_i32 s3, s3, 1
	s_add_co_i32 s15, s15, 1
	s_load_b64 s[16:17], s[0:1], 0x0
	s_mul_i32 s3, s14, s3
	s_bfe_u32 s18, ttmp6, 0x40004
	s_and_b32 s19, ttmp6, 15
	s_mul_i32 s15, ttmp9, s15
	s_add_co_i32 s18, s18, s3
	s_add_co_i32 s19, s19, s15
	v_and_b32_e32 v1, 0x3ff, v0
	s_cmp_eq_u32 s2, 0
	v_bfe_u32 v0, v0, 10, 10
	s_cselect_b32 s2, ttmp9, s19
	s_load_b64 s[22:23], s[0:1], 0x28
	v_lshl_add_u32 v4, s2, 4, v1
	s_cselect_b32 s2, s14, s18
	s_load_b256 s[4:11], s[0:1], 0x8
	v_lshl_add_u32 v6, s2, 4, v0
	v_mov_b32_e32 v3, 0
	s_mov_b64 s[20:21], 0xffffffff
	s_mov_b32 s33, 0x4f800000
	s_delay_alu instid0(VALU_DEP_1)
	v_dual_mov_b32 v0, v6 :: v_dual_mov_b32 v5, v3
	v_mov_b32_e32 v7, v3
	s_wait_kmcnt 0x0
	s_ashr_i32 s3, s16, 31
	s_mov_b32 s2, s16
	s_ashr_i32 s15, s17, 31
	v_lshlrev_b64_e32 v[10:11], 2, v[4:5]
	s_mov_b32 s14, s17
	v_cmp_gt_i64_e32 vcc_lo, s[2:3], v[4:5]
	v_cmp_gt_i64_e64 s2, s[14:15], v[6:7]
	v_dual_mov_b32 v1, v3 :: v_dual_mov_b32 v8, v6
	v_mov_b32_e32 v9, v3
	v_lshl_add_u64 v[10:11], s[22:23], 2, v[10:11]
	s_add_nc_u64 s[16:17], s[0:1], 56
	s_mov_b32 s3, s11
	s_and_b32 s31, s2, vcc_lo
	s_mov_b32 s2, s10
	s_mov_b32 s18, s10
	;; [unrolled: 1-line block ×3, first 2 shown]
	s_lshl_b64 s[10:11], s[10:11], 2
	s_lshl_b64 s[22:23], s[22:23], 2
	s_branch .LBB192_3
.LBB192_2:                              ;   in Loop: Header=BB192_3 Depth=1
	s_or_b32 exec_lo, exec_lo, s34
	s_add_co_i32 s12, s12, 0x10000
	s_delay_alu instid0(SALU_CYCLE_1)
	s_cmp_lt_u32 s12, s30
	s_cbranch_scc0 .LBB192_15
.LBB192_3:                              ; =>This Loop Header: Depth=1
                                        ;     Child Loop BB192_10 Depth 2
                                        ;     Child Loop BB192_14 Depth 2
	s_mul_u64 s[0:1], s[6:7], s[12:13]
	s_delay_alu instid0(SALU_CYCLE_1) | instskip(NEXT) | instid1(SALU_CYCLE_1)
	s_lshl_b64 s[0:1], s[0:1], 2
	s_add_nc_u64 s[0:1], s[4:5], s[0:1]
	global_load_b32 v2, v3, s[0:1]
	s_wait_loadcnt 0x0
	s_wait_xcnt 0x0
	v_readfirstlane_b32 s0, v2
	s_cmp_eq_f32 s0, 0
	s_cselect_b32 s0, -1, 0
	s_delay_alu instid0(SALU_CYCLE_1) | instskip(NEXT) | instid1(SALU_CYCLE_1)
	s_and_b32 s0, s0, s31
	s_and_saveexec_b32 s34, s0
	s_cbranch_execz .LBB192_2
; %bb.4:                                ;   in Loop: Header=BB192_3 Depth=1
	s_load_b32 s0, s[16:17], 0x4
	s_mov_b32 s25, s13
	v_mov_b32_e32 v17, s13
	s_wait_kmcnt 0x0
	s_lshl_b32 s24, s0, 4
	s_delay_alu instid0(SALU_CYCLE_1) | instskip(NEXT) | instid1(VALU_DEP_1)
	v_add_nc_u64_e32 v[12:13], s[24:25], v[6:7]
	v_max_i64 v[14:15], v[12:13], s[14:15]
	v_cmp_gt_i64_e64 s0, s[14:15], v[12:13]
	s_delay_alu instid0(VALU_DEP_1) | instskip(NEXT) | instid1(VALU_DEP_1)
	v_cndmask_b32_e64 v16, 0, 1, s0
	v_sub_nc_u64_e32 v[14:15], v[14:15], v[16:17]
	s_delay_alu instid0(VALU_DEP_1) | instskip(NEXT) | instid1(VALU_DEP_1)
	v_sub_nc_u64_e32 v[12:13], v[14:15], v[12:13]
	v_dual_mov_b32 v14, v3 :: v_dual_mov_b32 v15, v13
	s_delay_alu instid0(VALU_DEP_1) | instskip(SKIP_1) | instid1(SALU_CYCLE_1)
	v_cmp_ne_u64_e32 vcc_lo, 0, v[14:15]
                                        ; implicit-def: $vgpr14_vgpr15
	s_and_saveexec_b32 s1, vcc_lo
	s_xor_b32 s26, exec_lo, s1
	s_cbranch_execz .LBB192_6
; %bb.5:                                ;   in Loop: Header=BB192_3 Depth=1
	s_cvt_f32_u32 s1, s24
	s_sub_nc_u64 s[36:37], 0, s[24:25]
	s_mov_b32 s39, s13
	s_mov_b32 s43, s13
	s_fmamk_f32 s1, s33, 0x0, s1
	v_mov_b32_e32 v2, v12
	s_delay_alu instid0(SALU_CYCLE_2) | instskip(NEXT) | instid1(TRANS32_DEP_1)
	v_s_rcp_f32 s1, s1
	s_mul_f32 s1, s1, 0x5f7ffffc
	s_delay_alu instid0(SALU_CYCLE_3) | instskip(NEXT) | instid1(SALU_CYCLE_3)
	s_mul_f32 s27, s1, 0x2f800000
	s_trunc_f32 s27, s27
	s_delay_alu instid0(SALU_CYCLE_3) | instskip(SKIP_1) | instid1(SALU_CYCLE_2)
	s_fmamk_f32 s1, s27, 0xcf800000, s1
	s_cvt_u32_f32 s29, s27
	s_cvt_u32_f32 s28, s1
	s_delay_alu instid0(SALU_CYCLE_3) | instskip(NEXT) | instid1(SALU_CYCLE_1)
	s_mul_u64 s[40:41], s[36:37], s[28:29]
	s_mul_hi_u32 s45, s28, s41
	s_mul_i32 s44, s28, s41
	s_mul_hi_u32 s38, s28, s40
	s_mul_i32 s27, s29, s40
	s_add_nc_u64 s[38:39], s[38:39], s[44:45]
	s_mul_hi_u32 s1, s29, s40
	s_mul_hi_u32 s35, s29, s41
	s_add_co_u32 s27, s38, s27
	s_add_co_ci_u32 s42, s39, s1
	s_mul_i32 s40, s29, s41
	s_add_co_ci_u32 s41, s35, 0
	s_delay_alu instid0(SALU_CYCLE_1) | instskip(SKIP_3) | instid1(SALU_CYCLE_1)
	s_add_nc_u64 s[38:39], s[42:43], s[40:41]
	s_mov_b32 s41, s13
	s_add_co_u32 s28, s28, s38
	s_cselect_b32 s1, -1, 0
	s_cmp_lg_u32 s1, 0
	s_add_co_ci_u32 s29, s29, s39
	s_mov_b32 s39, s13
	s_mul_u64 s[36:37], s[36:37], s[28:29]
	s_delay_alu instid0(SALU_CYCLE_1)
	s_mul_hi_u32 s43, s28, s37
	s_mul_i32 s42, s28, s37
	s_mul_hi_u32 s38, s28, s36
	s_mul_i32 s27, s29, s36
	s_add_nc_u64 s[38:39], s[38:39], s[42:43]
	s_mul_hi_u32 s1, s29, s36
	s_mul_hi_u32 s35, s29, s37
	s_add_co_u32 s27, s38, s27
	s_add_co_ci_u32 s40, s39, s1
	s_mul_i32 s36, s29, s37
	s_add_co_ci_u32 s37, s35, 0
	s_mov_b32 s39, s13
	s_add_nc_u64 s[36:37], s[40:41], s[36:37]
	s_delay_alu instid0(SALU_CYCLE_1) | instskip(SKIP_1) | instid1(SALU_CYCLE_1)
	s_add_co_u32 s28, s28, s36
	s_cselect_b32 s1, -1, 0
	s_cmp_lg_u32 s1, 0
	s_add_co_ci_u32 s38, s29, s37
	s_delay_alu instid0(SALU_CYCLE_1) | instskip(SKIP_2) | instid1(VALU_DEP_1)
	v_mul_u64_e32 v[14:15], s[38:39], v[2:3]
	v_mul_hi_u32 v2, v12, s28
	s_and_b64 s[28:29], s[28:29], s[20:21]
	v_add_nc_u64_e32 v[14:15], v[2:3], v[14:15]
	v_mov_b32_e32 v2, v13
	s_delay_alu instid0(VALU_DEP_1) | instskip(SKIP_1) | instid1(VALU_DEP_2)
	v_mul_u64_e32 v[16:17], s[28:29], v[2:3]
	v_mul_u64_e32 v[18:19], s[38:39], v[2:3]
	v_add_co_u32 v2, vcc_lo, v14, v16
	s_delay_alu instid0(VALU_DEP_3) | instskip(NEXT) | instid1(VALU_DEP_3)
	v_add_co_ci_u32_e32 v2, vcc_lo, v15, v17, vcc_lo
	v_add_co_ci_u32_e32 v19, vcc_lo, 0, v19, vcc_lo
	s_delay_alu instid0(VALU_DEP_1) | instskip(NEXT) | instid1(VALU_DEP_1)
	v_add_nc_u64_e32 v[14:15], v[2:3], v[18:19]
	v_mul_u64_e32 v[16:17], s[24:25], v[14:15]
	s_delay_alu instid0(VALU_DEP_1) | instskip(NEXT) | instid1(VALU_DEP_1)
	v_sub_co_u32 v2, vcc_lo, v12, v16
	v_sub_co_ci_u32_e64 v18, null, v13, v17, vcc_lo
	s_delay_alu instid0(VALU_DEP_2) | instskip(NEXT) | instid1(VALU_DEP_1)
	v_sub_co_u32 v12, vcc_lo, v2, s24
	v_subrev_co_ci_u32_e64 v16, null, 0, v18, vcc_lo
	v_cmp_eq_u32_e64 s1, 0, v18
	s_delay_alu instid0(VALU_DEP_3) | instskip(SKIP_3) | instid1(VALU_DEP_2)
	v_cmp_le_u32_e32 vcc_lo, s24, v12
	v_add_nc_u64_e32 v[12:13], 2, v[14:15]
	v_cndmask_b32_e64 v17, 0, -1, vcc_lo
	v_cmp_eq_u32_e32 vcc_lo, 0, v16
	v_cndmask_b32_e32 v19, -1, v17, vcc_lo
	v_cmp_le_u32_e32 vcc_lo, s24, v2
	v_add_nc_u64_e32 v[16:17], 1, v[14:15]
	v_cndmask_b32_e64 v2, 0, -1, vcc_lo
	s_delay_alu instid0(VALU_DEP_4) | instskip(NEXT) | instid1(VALU_DEP_2)
	v_cmp_ne_u32_e32 vcc_lo, 0, v19
	v_dual_cndmask_b32 v2, -1, v2, s1 :: v_dual_cndmask_b32 v13, v17, v13, vcc_lo
	s_delay_alu instid0(VALU_DEP_4) | instskip(NEXT) | instid1(VALU_DEP_2)
	v_cndmask_b32_e32 v12, v16, v12, vcc_lo
	v_cmp_ne_u32_e32 vcc_lo, 0, v2
	s_delay_alu instid0(VALU_DEP_2)
	v_dual_cndmask_b32 v15, v15, v13 :: v_dual_cndmask_b32 v14, v14, v12
                                        ; implicit-def: $vgpr12_vgpr13
.LBB192_6:                              ;   in Loop: Header=BB192_3 Depth=1
	s_or_saveexec_b32 s1, s26
	s_lshl_b64 s[26:27], s[12:13], 3
	s_delay_alu instid0(SALU_CYCLE_1)
	s_add_nc_u64 s[26:27], s[8:9], s[26:27]
	s_load_b64 s[26:27], s[26:27], 0x0
	s_xor_b32 exec_lo, exec_lo, s1
	s_cbranch_execz .LBB192_8
; %bb.7:                                ;   in Loop: Header=BB192_3 Depth=1
	v_cvt_f32_u32_e32 v2, s24
	s_sub_co_i32 s28, 0, s24
	s_delay_alu instid0(VALU_DEP_1) | instskip(SKIP_1) | instid1(TRANS32_DEP_1)
	v_rcp_iflag_f32_e32 v2, v2
	v_nop
	v_mul_f32_e32 v2, 0x4f7ffffe, v2
	s_delay_alu instid0(VALU_DEP_1) | instskip(NEXT) | instid1(VALU_DEP_1)
	v_cvt_u32_f32_e32 v2, v2
	v_mul_lo_u32 v13, s28, v2
	s_delay_alu instid0(VALU_DEP_1) | instskip(NEXT) | instid1(VALU_DEP_1)
	v_mul_hi_u32 v13, v2, v13
	v_add_nc_u32_e32 v2, v2, v13
	s_delay_alu instid0(VALU_DEP_1) | instskip(NEXT) | instid1(VALU_DEP_1)
	v_mul_hi_u32 v2, v12, v2
	v_mul_lo_u32 v13, v2, s24
	s_delay_alu instid0(VALU_DEP_1) | instskip(NEXT) | instid1(VALU_DEP_1)
	v_dual_sub_nc_u32 v12, v12, v13 :: v_dual_add_nc_u32 v13, 1, v2
	v_subrev_nc_u32_e32 v14, s24, v12
	v_cmp_le_u32_e32 vcc_lo, s24, v12
	s_delay_alu instid0(VALU_DEP_2) | instskip(NEXT) | instid1(VALU_DEP_1)
	v_dual_cndmask_b32 v12, v12, v14, vcc_lo :: v_dual_cndmask_b32 v2, v2, v13, vcc_lo
	v_cmp_le_u32_e32 vcc_lo, s24, v12
	s_delay_alu instid0(VALU_DEP_2) | instskip(NEXT) | instid1(VALU_DEP_1)
	v_add_nc_u32_e32 v13, 1, v2
	v_cndmask_b32_e32 v2, v2, v13, vcc_lo
	s_delay_alu instid0(VALU_DEP_1)
	v_mov_b64_e32 v[14:15], v[2:3]
.LBB192_8:                              ;   in Loop: Header=BB192_3 Depth=1
	s_or_b32 exec_lo, exec_lo, s1
	v_cndmask_b32_e64 v2, 1, 2, s0
	v_mov_b64_e32 v[16:17], v[6:7]
	s_mov_b32 s0, -1
	s_mov_b32 s35, exec_lo
	s_delay_alu instid0(VALU_DEP_2) | instskip(NEXT) | instid1(VALU_DEP_1)
	v_add_nc_u64_e32 v[12:13], v[2:3], v[14:15]
	v_cmpx_lt_u64_e32 1, v[12:13]
	s_cbranch_execz .LBB192_12
; %bb.9:                                ;   in Loop: Header=BB192_3 Depth=1
	v_dual_mov_b32 v15, v13 :: v_dual_bitop2_b32 v14, -2, v12 bitop3:0x40
	s_wait_kmcnt 0x0
	s_add_nc_u64 s[0:1], s[26:27], s[22:23]
	v_add_nc_u64_e32 v[18:19], s[24:25], v[8:9]
	v_lshl_add_u64 v[16:17], v[4:5], 2, s[0:1]
	v_dual_mov_b32 v20, v0 :: v_dual_mov_b32 v21, v1
	v_mov_b64_e32 v[22:23], v[14:15]
	s_lshl_b64 s[0:1], s[24:25], 1
	s_mov_b32 s36, 0
	s_mov_b32 s28, s0
	;; [unrolled: 1-line block ×3, first 2 shown]
.LBB192_10:                             ;   Parent Loop BB192_3 Depth=1
                                        ; =>  This Inner Loop Header: Depth=2
	v_mul_u64_e32 v[24:25], s[2:3], v[20:21]
	v_mul_u64_e32 v[26:27], s[18:19], v[18:19]
	v_add_nc_u64_e32 v[22:23], -2, v[22:23]
	v_add_nc_u64_e32 v[18:19], s[28:29], v[18:19]
	v_add_nc_u64_e32 v[20:21], s[0:1], v[20:21]
	s_delay_alu instid0(VALU_DEP_3)
	v_cmp_eq_u64_e32 vcc_lo, 0, v[22:23]
	s_or_b32 s36, vcc_lo, s36
	v_lshl_add_u64 v[24:25], v[24:25], 2, v[16:17]
	v_lshl_add_u64 v[26:27], v[26:27], 2, v[16:17]
	s_clause 0x1
	flat_store_b32 v[24:25], v3
	flat_store_b32 v[26:27], v3
	s_wait_xcnt 0x0
	s_and_not1_b32 exec_lo, exec_lo, s36
	s_cbranch_execnz .LBB192_10
; %bb.11:                               ;   in Loop: Header=BB192_3 Depth=1
	s_or_b32 exec_lo, exec_lo, s36
	v_mad_nc_u64_u32 v[16:17], v14, s24, v[6:7]
	v_cmp_ne_u64_e32 vcc_lo, v[12:13], v[14:15]
	s_or_not1_b32 s0, vcc_lo, exec_lo
	s_delay_alu instid0(VALU_DEP_2)
	v_mad_u32 v17, v15, s24, v17
.LBB192_12:                             ;   in Loop: Header=BB192_3 Depth=1
	s_or_b32 exec_lo, exec_lo, s35
	s_delay_alu instid0(SALU_CYCLE_1)
	s_and_b32 exec_lo, exec_lo, s0
	s_cbranch_execz .LBB192_2
; %bb.13:                               ;   in Loop: Header=BB192_3 Depth=1
	s_wait_kmcnt 0x0
	v_add_nc_u64_e32 v[12:13], s[26:27], v[10:11]
	s_mul_u64 s[0:1], s[10:11], s[24:25]
	s_wait_xcnt 0x0
	s_mov_b32 s26, 0
	s_delay_alu instid0(VALU_DEP_1) | instskip(NEXT) | instid1(VALU_DEP_1)
	v_mad_nc_u64_u32 v[12:13], s10, v16, v[12:13]
	v_mad_u32 v2, s11, v16, v13
	s_delay_alu instid0(VALU_DEP_1)
	v_mad_u32 v13, s10, v17, v2
.LBB192_14:                             ;   Parent Loop BB192_3 Depth=1
                                        ; =>  This Inner Loop Header: Depth=2
	v_add_nc_u64_e32 v[16:17], s[24:25], v[16:17]
	flat_store_b32 v[12:13], v3
	s_wait_xcnt 0x0
	v_add_nc_u64_e32 v[12:13], s[0:1], v[12:13]
	v_cmp_le_i64_e32 vcc_lo, s[14:15], v[16:17]
	s_or_b32 s26, vcc_lo, s26
	s_delay_alu instid0(SALU_CYCLE_1)
	s_and_not1_b32 exec_lo, exec_lo, s26
	s_cbranch_execnz .LBB192_14
	s_branch .LBB192_2
.LBB192_15:
	s_endpgm
	.section	.rodata,"a",@progbits
	.p2align	6, 0x0
	.amdhsa_kernel _ZL44rocblas_set_matrix_zero_if_alpha_zero_kernelILi16ELi16EPKfPKPfEviiT1_lT2_lli
		.amdhsa_group_segment_fixed_size 0
		.amdhsa_private_segment_fixed_size 0
		.amdhsa_kernarg_size 312
		.amdhsa_user_sgpr_count 2
		.amdhsa_user_sgpr_dispatch_ptr 0
		.amdhsa_user_sgpr_queue_ptr 0
		.amdhsa_user_sgpr_kernarg_segment_ptr 1
		.amdhsa_user_sgpr_dispatch_id 0
		.amdhsa_user_sgpr_kernarg_preload_length 0
		.amdhsa_user_sgpr_kernarg_preload_offset 0
		.amdhsa_user_sgpr_private_segment_size 0
		.amdhsa_wavefront_size32 1
		.amdhsa_uses_dynamic_stack 0
		.amdhsa_enable_private_segment 0
		.amdhsa_system_sgpr_workgroup_id_x 1
		.amdhsa_system_sgpr_workgroup_id_y 1
		.amdhsa_system_sgpr_workgroup_id_z 1
		.amdhsa_system_sgpr_workgroup_info 0
		.amdhsa_system_vgpr_workitem_id 1
		.amdhsa_next_free_vgpr 28
		.amdhsa_next_free_sgpr 46
		.amdhsa_named_barrier_count 0
		.amdhsa_reserve_vcc 1
		.amdhsa_float_round_mode_32 0
		.amdhsa_float_round_mode_16_64 0
		.amdhsa_float_denorm_mode_32 3
		.amdhsa_float_denorm_mode_16_64 3
		.amdhsa_fp16_overflow 0
		.amdhsa_memory_ordered 1
		.amdhsa_forward_progress 1
		.amdhsa_inst_pref_size 12
		.amdhsa_round_robin_scheduling 0
		.amdhsa_exception_fp_ieee_invalid_op 0
		.amdhsa_exception_fp_denorm_src 0
		.amdhsa_exception_fp_ieee_div_zero 0
		.amdhsa_exception_fp_ieee_overflow 0
		.amdhsa_exception_fp_ieee_underflow 0
		.amdhsa_exception_fp_ieee_inexact 0
		.amdhsa_exception_int_div_zero 0
	.end_amdhsa_kernel
	.section	.text._ZL44rocblas_set_matrix_zero_if_alpha_zero_kernelILi16ELi16EPKfPKPfEviiT1_lT2_lli,"axG",@progbits,_ZL44rocblas_set_matrix_zero_if_alpha_zero_kernelILi16ELi16EPKfPKPfEviiT1_lT2_lli,comdat
.Lfunc_end192:
	.size	_ZL44rocblas_set_matrix_zero_if_alpha_zero_kernelILi16ELi16EPKfPKPfEviiT1_lT2_lli, .Lfunc_end192-_ZL44rocblas_set_matrix_zero_if_alpha_zero_kernelILi16ELi16EPKfPKPfEviiT1_lT2_lli
                                        ; -- End function
	.set _ZL44rocblas_set_matrix_zero_if_alpha_zero_kernelILi16ELi16EPKfPKPfEviiT1_lT2_lli.num_vgpr, 28
	.set _ZL44rocblas_set_matrix_zero_if_alpha_zero_kernelILi16ELi16EPKfPKPfEviiT1_lT2_lli.num_agpr, 0
	.set _ZL44rocblas_set_matrix_zero_if_alpha_zero_kernelILi16ELi16EPKfPKPfEviiT1_lT2_lli.numbered_sgpr, 46
	.set _ZL44rocblas_set_matrix_zero_if_alpha_zero_kernelILi16ELi16EPKfPKPfEviiT1_lT2_lli.num_named_barrier, 0
	.set _ZL44rocblas_set_matrix_zero_if_alpha_zero_kernelILi16ELi16EPKfPKPfEviiT1_lT2_lli.private_seg_size, 0
	.set _ZL44rocblas_set_matrix_zero_if_alpha_zero_kernelILi16ELi16EPKfPKPfEviiT1_lT2_lli.uses_vcc, 1
	.set _ZL44rocblas_set_matrix_zero_if_alpha_zero_kernelILi16ELi16EPKfPKPfEviiT1_lT2_lli.uses_flat_scratch, 1
	.set _ZL44rocblas_set_matrix_zero_if_alpha_zero_kernelILi16ELi16EPKfPKPfEviiT1_lT2_lli.has_dyn_sized_stack, 0
	.set _ZL44rocblas_set_matrix_zero_if_alpha_zero_kernelILi16ELi16EPKfPKPfEviiT1_lT2_lli.has_recursion, 0
	.set _ZL44rocblas_set_matrix_zero_if_alpha_zero_kernelILi16ELi16EPKfPKPfEviiT1_lT2_lli.has_indirect_call, 0
	.section	.AMDGPU.csdata,"",@progbits
; Kernel info:
; codeLenInByte = 1484
; TotalNumSgprs: 48
; NumVgprs: 28
; ScratchSize: 0
; MemoryBound: 0
; FloatMode: 240
; IeeeMode: 1
; LDSByteSize: 0 bytes/workgroup (compile time only)
; SGPRBlocks: 0
; VGPRBlocks: 1
; NumSGPRsForWavesPerEU: 48
; NumVGPRsForWavesPerEU: 28
; NamedBarCnt: 0
; Occupancy: 16
; WaveLimiterHint : 1
; COMPUTE_PGM_RSRC2:SCRATCH_EN: 0
; COMPUTE_PGM_RSRC2:USER_SGPR: 2
; COMPUTE_PGM_RSRC2:TRAP_HANDLER: 0
; COMPUTE_PGM_RSRC2:TGID_X_EN: 1
; COMPUTE_PGM_RSRC2:TGID_Y_EN: 1
; COMPUTE_PGM_RSRC2:TGID_Z_EN: 1
; COMPUTE_PGM_RSRC2:TIDIG_COMP_CNT: 1
	.section	.text._ZL44rocblas_set_matrix_zero_if_alpha_zero_kernelILi16ELi16EfPKPfEviiT1_lT2_lli,"axG",@progbits,_ZL44rocblas_set_matrix_zero_if_alpha_zero_kernelILi16ELi16EfPKPfEviiT1_lT2_lli,comdat
	.globl	_ZL44rocblas_set_matrix_zero_if_alpha_zero_kernelILi16ELi16EfPKPfEviiT1_lT2_lli ; -- Begin function _ZL44rocblas_set_matrix_zero_if_alpha_zero_kernelILi16ELi16EfPKPfEviiT1_lT2_lli
	.p2align	8
	.type	_ZL44rocblas_set_matrix_zero_if_alpha_zero_kernelILi16ELi16EfPKPfEviiT1_lT2_lli,@function
_ZL44rocblas_set_matrix_zero_if_alpha_zero_kernelILi16ELi16EfPKPfEviiT1_lT2_lli: ; @_ZL44rocblas_set_matrix_zero_if_alpha_zero_kernelILi16ELi16EfPKPfEviiT1_lT2_lli
; %bb.0:
	s_load_b32 s24, s[0:1], 0x30
	s_bfe_u32 s2, ttmp6, 0x40014
	s_lshr_b32 s3, ttmp7, 16
	s_add_co_i32 s2, s2, 1
	s_bfe_u32 s5, ttmp6, 0x40008
	s_mul_i32 s4, s3, s2
	s_getreg_b32 s2, hwreg(HW_REG_IB_STS2, 6, 4)
	s_add_co_i32 s5, s5, s4
	s_cmp_eq_u32 s2, 0
	s_cselect_b32 s25, s3, s5
	s_mov_b32 s3, 0
	s_wait_kmcnt 0x0
	s_cmp_ge_u32 s25, s24
	s_cbranch_scc1 .LBB193_15
; %bb.1:
	s_clause 0x2
	s_load_b96 s[8:10], s[0:1], 0x0
	s_load_b128 s[4:7], s[0:1], 0x18
	s_load_b64 s[18:19], s[0:1], 0x28
	s_add_nc_u64 s[12:13], s[0:1], 56
	v_and_b32_e32 v2, 0x3ff, v0
	v_bfe_u32 v0, v0, 10, 10
	s_mov_b64 s[14:15], 0xffffffff
	s_mov_b32 s27, 0x4f800000
	s_wait_kmcnt 0x0
	s_cmp_eq_f32 s10, 0
	s_mov_b32 s0, s8
	s_mov_b32 s10, s9
	s_cselect_b32 s20, -1, 0
	s_bfe_u32 s11, ttmp6, 0x40010
	s_bfe_u32 s21, ttmp6, 0x4000c
	s_and_b32 s1, ttmp7, 0xffff
	s_add_co_i32 s11, s11, 1
	s_add_co_i32 s21, s21, 1
	s_bfe_u32 s16, ttmp6, 0x40004
	s_and_b32 s17, ttmp6, 15
	s_mul_i32 s11, s1, s11
	s_mul_i32 s21, ttmp9, s21
	s_add_co_i32 s11, s16, s11
	s_add_co_i32 s17, s17, s21
	s_cmp_eq_u32 s2, 0
	s_mov_b32 s16, s6
	s_cselect_b32 s1, s1, s11
	s_cselect_b32 s2, ttmp9, s17
	v_lshl_add_u32 v6, s1, 4, v0
	v_mov_b32_e32 v3, 0
	v_lshl_add_u32 v4, s2, 4, v2
	s_ashr_i32 s1, s8, 31
	s_ashr_i32 s11, s9, 31
	s_delay_alu instid0(VALU_DEP_2) | instskip(SKIP_2) | instid1(VALU_DEP_3)
	v_dual_mov_b32 v0, v6 :: v_dual_mov_b32 v5, v3
	v_dual_mov_b32 v7, v3 :: v_dual_mov_b32 v1, v3
	;; [unrolled: 1-line block ×3, first 2 shown]
	v_lshlrev_b64_e32 v[10:11], 2, v[4:5]
	v_cmp_gt_i64_e32 vcc_lo, s[0:1], v[4:5]
	s_delay_alu instid0(VALU_DEP_4)
	v_cmp_gt_i64_e64 s0, s[10:11], v[6:7]
	s_mov_b32 s17, s7
	s_mov_b32 s8, s6
	;; [unrolled: 1-line block ×3, first 2 shown]
	s_lshl_b64 s[6:7], s[6:7], 2
	v_lshl_add_u64 v[10:11], s[18:19], 2, v[10:11]
	s_lshl_b64 s[18:19], s[18:19], 2
	s_and_b32 s0, s0, vcc_lo
	s_delay_alu instid0(SALU_CYCLE_1)
	s_and_b32 s26, s0, s20
	s_branch .LBB193_3
.LBB193_2:                              ;   in Loop: Header=BB193_3 Depth=1
	s_or_b32 exec_lo, exec_lo, s28
	s_wait_xcnt 0x0
	s_add_co_i32 s25, s25, 0x10000
	s_delay_alu instid0(SALU_CYCLE_1)
	s_cmp_lt_u32 s25, s24
	s_cbranch_scc0 .LBB193_15
.LBB193_3:                              ; =>This Loop Header: Depth=1
                                        ;     Child Loop BB193_10 Depth 2
                                        ;     Child Loop BB193_14 Depth 2
	s_and_saveexec_b32 s28, s26
	s_cbranch_execz .LBB193_2
; %bb.4:                                ;   in Loop: Header=BB193_3 Depth=1
	s_load_b32 s0, s[12:13], 0x4
	v_mov_b32_e32 v17, s3
	s_wait_kmcnt 0x0
	s_lshl_b32 s2, s0, 4
	s_delay_alu instid0(SALU_CYCLE_1) | instskip(NEXT) | instid1(VALU_DEP_1)
	v_add_nc_u64_e32 v[12:13], s[2:3], v[6:7]
	v_max_i64 v[14:15], v[12:13], s[10:11]
	v_cmp_gt_i64_e64 s0, s[10:11], v[12:13]
	s_delay_alu instid0(VALU_DEP_1) | instskip(NEXT) | instid1(VALU_DEP_1)
	v_cndmask_b32_e64 v16, 0, 1, s0
	v_sub_nc_u64_e32 v[14:15], v[14:15], v[16:17]
	s_delay_alu instid0(VALU_DEP_1) | instskip(NEXT) | instid1(VALU_DEP_1)
	v_sub_nc_u64_e32 v[12:13], v[14:15], v[12:13]
	v_dual_mov_b32 v14, v3 :: v_dual_mov_b32 v15, v13
	s_delay_alu instid0(VALU_DEP_1) | instskip(SKIP_1) | instid1(SALU_CYCLE_1)
	v_cmp_ne_u64_e32 vcc_lo, 0, v[14:15]
                                        ; implicit-def: $vgpr14_vgpr15
	s_and_saveexec_b32 s1, vcc_lo
	s_xor_b32 s20, exec_lo, s1
	s_cbranch_execz .LBB193_6
; %bb.5:                                ;   in Loop: Header=BB193_3 Depth=1
	s_cvt_f32_u32 s1, s2
	s_sub_nc_u64 s[30:31], 0, s[2:3]
	s_mov_b32 s35, s3
	s_mov_b32 s39, s3
	s_fmamk_f32 s1, s27, 0x0, s1
	v_mov_b32_e32 v2, v12
	s_delay_alu instid0(SALU_CYCLE_2) | instskip(NEXT) | instid1(TRANS32_DEP_1)
	v_s_rcp_f32 s1, s1
	s_mul_f32 s1, s1, 0x5f7ffffc
	s_delay_alu instid0(SALU_CYCLE_3) | instskip(NEXT) | instid1(SALU_CYCLE_3)
	s_mul_f32 s21, s1, 0x2f800000
	s_trunc_f32 s21, s21
	s_delay_alu instid0(SALU_CYCLE_3) | instskip(SKIP_1) | instid1(SALU_CYCLE_2)
	s_fmamk_f32 s1, s21, 0xcf800000, s1
	s_cvt_u32_f32 s23, s21
	s_cvt_u32_f32 s22, s1
	s_delay_alu instid0(SALU_CYCLE_3) | instskip(NEXT) | instid1(SALU_CYCLE_1)
	s_mul_u64 s[36:37], s[30:31], s[22:23]
	s_mul_hi_u32 s41, s22, s37
	s_mul_i32 s40, s22, s37
	s_mul_hi_u32 s34, s22, s36
	s_mul_i32 s21, s23, s36
	s_add_nc_u64 s[34:35], s[34:35], s[40:41]
	s_mul_hi_u32 s1, s23, s36
	s_mul_hi_u32 s29, s23, s37
	s_add_co_u32 s21, s34, s21
	s_add_co_ci_u32 s38, s35, s1
	s_mul_i32 s36, s23, s37
	s_add_co_ci_u32 s37, s29, 0
	s_delay_alu instid0(SALU_CYCLE_1) | instskip(SKIP_3) | instid1(SALU_CYCLE_1)
	s_add_nc_u64 s[34:35], s[38:39], s[36:37]
	s_mov_b32 s37, s3
	s_add_co_u32 s22, s22, s34
	s_cselect_b32 s1, -1, 0
	s_cmp_lg_u32 s1, 0
	s_add_co_ci_u32 s23, s23, s35
	s_mov_b32 s35, s3
	s_mul_u64 s[30:31], s[30:31], s[22:23]
	s_delay_alu instid0(SALU_CYCLE_1)
	s_mul_hi_u32 s39, s22, s31
	s_mul_i32 s38, s22, s31
	s_mul_hi_u32 s34, s22, s30
	s_mul_i32 s21, s23, s30
	s_add_nc_u64 s[34:35], s[34:35], s[38:39]
	s_mul_hi_u32 s1, s23, s30
	s_mul_hi_u32 s29, s23, s31
	s_add_co_u32 s21, s34, s21
	s_add_co_ci_u32 s36, s35, s1
	s_mul_i32 s30, s23, s31
	s_add_co_ci_u32 s31, s29, 0
	s_mov_b32 s35, s3
	s_add_nc_u64 s[30:31], s[36:37], s[30:31]
	s_delay_alu instid0(SALU_CYCLE_1) | instskip(SKIP_1) | instid1(SALU_CYCLE_1)
	s_add_co_u32 s22, s22, s30
	s_cselect_b32 s1, -1, 0
	s_cmp_lg_u32 s1, 0
	s_add_co_ci_u32 s34, s23, s31
	s_delay_alu instid0(SALU_CYCLE_1) | instskip(SKIP_2) | instid1(VALU_DEP_1)
	v_mul_u64_e32 v[14:15], s[34:35], v[2:3]
	v_mul_hi_u32 v2, v12, s22
	s_and_b64 s[22:23], s[22:23], s[14:15]
	v_add_nc_u64_e32 v[14:15], v[2:3], v[14:15]
	v_mov_b32_e32 v2, v13
	s_delay_alu instid0(VALU_DEP_1) | instskip(SKIP_1) | instid1(VALU_DEP_2)
	v_mul_u64_e32 v[16:17], s[22:23], v[2:3]
	v_mul_u64_e32 v[18:19], s[34:35], v[2:3]
	v_add_co_u32 v2, vcc_lo, v14, v16
	s_delay_alu instid0(VALU_DEP_3) | instskip(NEXT) | instid1(VALU_DEP_3)
	v_add_co_ci_u32_e32 v2, vcc_lo, v15, v17, vcc_lo
	v_add_co_ci_u32_e32 v19, vcc_lo, 0, v19, vcc_lo
	s_delay_alu instid0(VALU_DEP_1) | instskip(NEXT) | instid1(VALU_DEP_1)
	v_add_nc_u64_e32 v[14:15], v[2:3], v[18:19]
	v_mul_u64_e32 v[16:17], s[2:3], v[14:15]
	s_delay_alu instid0(VALU_DEP_1) | instskip(NEXT) | instid1(VALU_DEP_1)
	v_sub_co_u32 v2, vcc_lo, v12, v16
	v_sub_co_ci_u32_e64 v18, null, v13, v17, vcc_lo
	s_delay_alu instid0(VALU_DEP_2) | instskip(NEXT) | instid1(VALU_DEP_1)
	v_sub_co_u32 v12, vcc_lo, v2, s2
	v_subrev_co_ci_u32_e64 v16, null, 0, v18, vcc_lo
	v_cmp_eq_u32_e64 s1, 0, v18
	s_delay_alu instid0(VALU_DEP_3) | instskip(SKIP_3) | instid1(VALU_DEP_2)
	v_cmp_le_u32_e32 vcc_lo, s2, v12
	v_add_nc_u64_e32 v[12:13], 2, v[14:15]
	v_cndmask_b32_e64 v17, 0, -1, vcc_lo
	v_cmp_eq_u32_e32 vcc_lo, 0, v16
	v_cndmask_b32_e32 v19, -1, v17, vcc_lo
	v_cmp_le_u32_e32 vcc_lo, s2, v2
	v_add_nc_u64_e32 v[16:17], 1, v[14:15]
	v_cndmask_b32_e64 v2, 0, -1, vcc_lo
	s_delay_alu instid0(VALU_DEP_4) | instskip(NEXT) | instid1(VALU_DEP_2)
	v_cmp_ne_u32_e32 vcc_lo, 0, v19
	v_dual_cndmask_b32 v2, -1, v2, s1 :: v_dual_cndmask_b32 v13, v17, v13, vcc_lo
	s_delay_alu instid0(VALU_DEP_4) | instskip(NEXT) | instid1(VALU_DEP_2)
	v_cndmask_b32_e32 v12, v16, v12, vcc_lo
	v_cmp_ne_u32_e32 vcc_lo, 0, v2
	s_delay_alu instid0(VALU_DEP_2)
	v_dual_cndmask_b32 v15, v15, v13 :: v_dual_cndmask_b32 v14, v14, v12
                                        ; implicit-def: $vgpr12_vgpr13
.LBB193_6:                              ;   in Loop: Header=BB193_3 Depth=1
	s_or_saveexec_b32 s1, s20
	s_load_b64 s[20:21], s[4:5], s25 offset:0x0 scale_offset
	s_xor_b32 exec_lo, exec_lo, s1
	s_cbranch_execz .LBB193_8
; %bb.7:                                ;   in Loop: Header=BB193_3 Depth=1
	v_cvt_f32_u32_e32 v2, s2
	s_sub_co_i32 s22, 0, s2
	s_delay_alu instid0(VALU_DEP_1) | instskip(SKIP_1) | instid1(TRANS32_DEP_1)
	v_rcp_iflag_f32_e32 v2, v2
	v_nop
	v_mul_f32_e32 v2, 0x4f7ffffe, v2
	s_delay_alu instid0(VALU_DEP_1) | instskip(NEXT) | instid1(VALU_DEP_1)
	v_cvt_u32_f32_e32 v2, v2
	v_mul_lo_u32 v13, s22, v2
	s_delay_alu instid0(VALU_DEP_1) | instskip(NEXT) | instid1(VALU_DEP_1)
	v_mul_hi_u32 v13, v2, v13
	v_add_nc_u32_e32 v2, v2, v13
	s_delay_alu instid0(VALU_DEP_1) | instskip(NEXT) | instid1(VALU_DEP_1)
	v_mul_hi_u32 v2, v12, v2
	v_mul_lo_u32 v13, v2, s2
	s_delay_alu instid0(VALU_DEP_1) | instskip(NEXT) | instid1(VALU_DEP_1)
	v_dual_sub_nc_u32 v12, v12, v13 :: v_dual_add_nc_u32 v13, 1, v2
	v_subrev_nc_u32_e32 v14, s2, v12
	v_cmp_le_u32_e32 vcc_lo, s2, v12
	s_delay_alu instid0(VALU_DEP_2) | instskip(NEXT) | instid1(VALU_DEP_1)
	v_dual_cndmask_b32 v12, v12, v14, vcc_lo :: v_dual_cndmask_b32 v2, v2, v13, vcc_lo
	v_cmp_le_u32_e32 vcc_lo, s2, v12
	s_delay_alu instid0(VALU_DEP_2) | instskip(NEXT) | instid1(VALU_DEP_1)
	v_add_nc_u32_e32 v13, 1, v2
	v_cndmask_b32_e32 v2, v2, v13, vcc_lo
	s_delay_alu instid0(VALU_DEP_1)
	v_mov_b64_e32 v[14:15], v[2:3]
.LBB193_8:                              ;   in Loop: Header=BB193_3 Depth=1
	s_or_b32 exec_lo, exec_lo, s1
	v_cndmask_b32_e64 v2, 1, 2, s0
	v_mov_b64_e32 v[16:17], v[6:7]
	s_mov_b32 s0, -1
	s_mov_b32 s29, exec_lo
	s_delay_alu instid0(VALU_DEP_2) | instskip(NEXT) | instid1(VALU_DEP_1)
	v_add_nc_u64_e32 v[12:13], v[2:3], v[14:15]
	v_cmpx_lt_u64_e32 1, v[12:13]
	s_cbranch_execz .LBB193_12
; %bb.9:                                ;   in Loop: Header=BB193_3 Depth=1
	v_dual_mov_b32 v15, v13 :: v_dual_bitop2_b32 v14, -2, v12 bitop3:0x40
	s_wait_kmcnt 0x0
	s_add_nc_u64 s[0:1], s[20:21], s[18:19]
	v_add_nc_u64_e32 v[18:19], s[2:3], v[8:9]
	v_lshl_add_u64 v[16:17], v[4:5], 2, s[0:1]
	v_dual_mov_b32 v20, v0 :: v_dual_mov_b32 v21, v1
	v_mov_b64_e32 v[22:23], v[14:15]
	s_lshl_b64 s[0:1], s[2:3], 1
	s_mov_b32 s30, 0
	s_mov_b32 s22, s0
	;; [unrolled: 1-line block ×3, first 2 shown]
.LBB193_10:                             ;   Parent Loop BB193_3 Depth=1
                                        ; =>  This Inner Loop Header: Depth=2
	v_mul_u64_e32 v[24:25], s[16:17], v[20:21]
	v_mul_u64_e32 v[26:27], s[8:9], v[18:19]
	v_add_nc_u64_e32 v[22:23], -2, v[22:23]
	v_add_nc_u64_e32 v[18:19], s[22:23], v[18:19]
	v_add_nc_u64_e32 v[20:21], s[0:1], v[20:21]
	s_delay_alu instid0(VALU_DEP_3)
	v_cmp_eq_u64_e32 vcc_lo, 0, v[22:23]
	s_or_b32 s30, vcc_lo, s30
	v_lshl_add_u64 v[24:25], v[24:25], 2, v[16:17]
	v_lshl_add_u64 v[26:27], v[26:27], 2, v[16:17]
	s_clause 0x1
	flat_store_b32 v[24:25], v3
	flat_store_b32 v[26:27], v3
	s_wait_xcnt 0x0
	s_and_not1_b32 exec_lo, exec_lo, s30
	s_cbranch_execnz .LBB193_10
; %bb.11:                               ;   in Loop: Header=BB193_3 Depth=1
	s_or_b32 exec_lo, exec_lo, s30
	v_mad_nc_u64_u32 v[16:17], v14, s2, v[6:7]
	v_cmp_ne_u64_e32 vcc_lo, v[12:13], v[14:15]
	s_or_not1_b32 s0, vcc_lo, exec_lo
	s_delay_alu instid0(VALU_DEP_2)
	v_mad_u32 v17, v15, s2, v17
.LBB193_12:                             ;   in Loop: Header=BB193_3 Depth=1
	s_or_b32 exec_lo, exec_lo, s29
	s_delay_alu instid0(SALU_CYCLE_1)
	s_and_b32 exec_lo, exec_lo, s0
	s_cbranch_execz .LBB193_2
; %bb.13:                               ;   in Loop: Header=BB193_3 Depth=1
	s_wait_kmcnt 0x0
	v_add_nc_u64_e32 v[12:13], s[20:21], v[10:11]
	s_mul_u64 s[0:1], s[6:7], s[2:3]
	s_mov_b32 s20, 0
	s_delay_alu instid0(VALU_DEP_1) | instskip(NEXT) | instid1(VALU_DEP_1)
	v_mad_nc_u64_u32 v[12:13], s6, v16, v[12:13]
	v_mad_u32 v2, s7, v16, v13
	s_delay_alu instid0(VALU_DEP_1)
	v_mad_u32 v13, s6, v17, v2
.LBB193_14:                             ;   Parent Loop BB193_3 Depth=1
                                        ; =>  This Inner Loop Header: Depth=2
	v_add_nc_u64_e32 v[16:17], s[2:3], v[16:17]
	flat_store_b32 v[12:13], v3
	s_wait_xcnt 0x0
	v_add_nc_u64_e32 v[12:13], s[0:1], v[12:13]
	v_cmp_le_i64_e32 vcc_lo, s[10:11], v[16:17]
	s_or_b32 s20, vcc_lo, s20
	s_delay_alu instid0(SALU_CYCLE_1)
	s_and_not1_b32 exec_lo, exec_lo, s20
	s_cbranch_execnz .LBB193_14
	s_branch .LBB193_2
.LBB193_15:
	s_endpgm
	.section	.rodata,"a",@progbits
	.p2align	6, 0x0
	.amdhsa_kernel _ZL44rocblas_set_matrix_zero_if_alpha_zero_kernelILi16ELi16EfPKPfEviiT1_lT2_lli
		.amdhsa_group_segment_fixed_size 0
		.amdhsa_private_segment_fixed_size 0
		.amdhsa_kernarg_size 312
		.amdhsa_user_sgpr_count 2
		.amdhsa_user_sgpr_dispatch_ptr 0
		.amdhsa_user_sgpr_queue_ptr 0
		.amdhsa_user_sgpr_kernarg_segment_ptr 1
		.amdhsa_user_sgpr_dispatch_id 0
		.amdhsa_user_sgpr_kernarg_preload_length 0
		.amdhsa_user_sgpr_kernarg_preload_offset 0
		.amdhsa_user_sgpr_private_segment_size 0
		.amdhsa_wavefront_size32 1
		.amdhsa_uses_dynamic_stack 0
		.amdhsa_enable_private_segment 0
		.amdhsa_system_sgpr_workgroup_id_x 1
		.amdhsa_system_sgpr_workgroup_id_y 1
		.amdhsa_system_sgpr_workgroup_id_z 1
		.amdhsa_system_sgpr_workgroup_info 0
		.amdhsa_system_vgpr_workitem_id 1
		.amdhsa_next_free_vgpr 28
		.amdhsa_next_free_sgpr 42
		.amdhsa_named_barrier_count 0
		.amdhsa_reserve_vcc 1
		.amdhsa_float_round_mode_32 0
		.amdhsa_float_round_mode_16_64 0
		.amdhsa_float_denorm_mode_32 3
		.amdhsa_float_denorm_mode_16_64 3
		.amdhsa_fp16_overflow 0
		.amdhsa_memory_ordered 1
		.amdhsa_forward_progress 1
		.amdhsa_inst_pref_size 12
		.amdhsa_round_robin_scheduling 0
		.amdhsa_exception_fp_ieee_invalid_op 0
		.amdhsa_exception_fp_denorm_src 0
		.amdhsa_exception_fp_ieee_div_zero 0
		.amdhsa_exception_fp_ieee_overflow 0
		.amdhsa_exception_fp_ieee_underflow 0
		.amdhsa_exception_fp_ieee_inexact 0
		.amdhsa_exception_int_div_zero 0
	.end_amdhsa_kernel
	.section	.text._ZL44rocblas_set_matrix_zero_if_alpha_zero_kernelILi16ELi16EfPKPfEviiT1_lT2_lli,"axG",@progbits,_ZL44rocblas_set_matrix_zero_if_alpha_zero_kernelILi16ELi16EfPKPfEviiT1_lT2_lli,comdat
.Lfunc_end193:
	.size	_ZL44rocblas_set_matrix_zero_if_alpha_zero_kernelILi16ELi16EfPKPfEviiT1_lT2_lli, .Lfunc_end193-_ZL44rocblas_set_matrix_zero_if_alpha_zero_kernelILi16ELi16EfPKPfEviiT1_lT2_lli
                                        ; -- End function
	.set _ZL44rocblas_set_matrix_zero_if_alpha_zero_kernelILi16ELi16EfPKPfEviiT1_lT2_lli.num_vgpr, 28
	.set _ZL44rocblas_set_matrix_zero_if_alpha_zero_kernelILi16ELi16EfPKPfEviiT1_lT2_lli.num_agpr, 0
	.set _ZL44rocblas_set_matrix_zero_if_alpha_zero_kernelILi16ELi16EfPKPfEviiT1_lT2_lli.numbered_sgpr, 42
	.set _ZL44rocblas_set_matrix_zero_if_alpha_zero_kernelILi16ELi16EfPKPfEviiT1_lT2_lli.num_named_barrier, 0
	.set _ZL44rocblas_set_matrix_zero_if_alpha_zero_kernelILi16ELi16EfPKPfEviiT1_lT2_lli.private_seg_size, 0
	.set _ZL44rocblas_set_matrix_zero_if_alpha_zero_kernelILi16ELi16EfPKPfEviiT1_lT2_lli.uses_vcc, 1
	.set _ZL44rocblas_set_matrix_zero_if_alpha_zero_kernelILi16ELi16EfPKPfEviiT1_lT2_lli.uses_flat_scratch, 1
	.set _ZL44rocblas_set_matrix_zero_if_alpha_zero_kernelILi16ELi16EfPKPfEviiT1_lT2_lli.has_dyn_sized_stack, 0
	.set _ZL44rocblas_set_matrix_zero_if_alpha_zero_kernelILi16ELi16EfPKPfEviiT1_lT2_lli.has_recursion, 0
	.set _ZL44rocblas_set_matrix_zero_if_alpha_zero_kernelILi16ELi16EfPKPfEviiT1_lT2_lli.has_indirect_call, 0
	.section	.AMDGPU.csdata,"",@progbits
; Kernel info:
; codeLenInByte = 1440
; TotalNumSgprs: 44
; NumVgprs: 28
; ScratchSize: 0
; MemoryBound: 0
; FloatMode: 240
; IeeeMode: 1
; LDSByteSize: 0 bytes/workgroup (compile time only)
; SGPRBlocks: 0
; VGPRBlocks: 1
; NumSGPRsForWavesPerEU: 44
; NumVGPRsForWavesPerEU: 28
; NamedBarCnt: 0
; Occupancy: 16
; WaveLimiterHint : 1
; COMPUTE_PGM_RSRC2:SCRATCH_EN: 0
; COMPUTE_PGM_RSRC2:USER_SGPR: 2
; COMPUTE_PGM_RSRC2:TRAP_HANDLER: 0
; COMPUTE_PGM_RSRC2:TGID_X_EN: 1
; COMPUTE_PGM_RSRC2:TGID_Y_EN: 1
; COMPUTE_PGM_RSRC2:TGID_Z_EN: 1
; COMPUTE_PGM_RSRC2:TIDIG_COMP_CNT: 1
	.section	.text._ZL44rocblas_set_matrix_zero_if_alpha_zero_kernelILi16ELi16EPKfPfEviiT1_lT2_lli,"axG",@progbits,_ZL44rocblas_set_matrix_zero_if_alpha_zero_kernelILi16ELi16EPKfPfEviiT1_lT2_lli,comdat
	.globl	_ZL44rocblas_set_matrix_zero_if_alpha_zero_kernelILi16ELi16EPKfPfEviiT1_lT2_lli ; -- Begin function _ZL44rocblas_set_matrix_zero_if_alpha_zero_kernelILi16ELi16EPKfPfEviiT1_lT2_lli
	.p2align	8
	.type	_ZL44rocblas_set_matrix_zero_if_alpha_zero_kernelILi16ELi16EPKfPfEviiT1_lT2_lli,@function
_ZL44rocblas_set_matrix_zero_if_alpha_zero_kernelILi16ELi16EPKfPfEviiT1_lT2_lli: ; @_ZL44rocblas_set_matrix_zero_if_alpha_zero_kernelILi16ELi16EPKfPfEviiT1_lT2_lli
; %bb.0:
	s_load_b32 s28, s[0:1], 0x30
	s_bfe_u32 s2, ttmp6, 0x40014
	s_lshr_b32 s3, ttmp7, 16
	s_add_co_i32 s2, s2, 1
	s_bfe_u32 s5, ttmp6, 0x40008
	s_mul_i32 s4, s3, s2
	s_getreg_b32 s2, hwreg(HW_REG_IB_STS2, 6, 4)
	s_add_co_i32 s5, s5, s4
	s_cmp_eq_u32 s2, 0
	s_mov_b32 s13, 0
	s_cselect_b32 s12, s3, s5
	s_wait_kmcnt 0x0
	s_cmp_ge_u32 s12, s28
	s_cbranch_scc1 .LBB194_15
; %bb.1:
	s_clause 0x1
	s_load_b64 s[18:19], s[0:1], 0x0
	s_load_b256 s[4:11], s[0:1], 0x8
	s_bfe_u32 s3, ttmp6, 0x40010
	s_bfe_u32 s17, ttmp6, 0x4000c
	s_and_b32 s16, ttmp7, 0xffff
	s_add_co_i32 s3, s3, 1
	s_add_co_i32 s17, s17, 1
	s_mul_i32 s3, s16, s3
	s_bfe_u32 s20, ttmp6, 0x40004
	s_and_b32 s21, ttmp6, 15
	s_mul_i32 s17, ttmp9, s17
	s_add_co_i32 s20, s20, s3
	s_add_co_i32 s21, s21, s17
	v_and_b32_e32 v1, 0x3ff, v0
	v_bfe_u32 v0, v0, 10, 10
	s_cmp_eq_u32 s2, 0
	s_load_b64 s[14:15], s[0:1], 0x28
	s_cselect_b32 s3, s16, s20
	s_cselect_b32 s2, ttmp9, s21
	v_lshl_add_u32 v4, s3, 4, v0
	v_mov_b32_e32 v3, 0
	v_lshl_add_u32 v2, s2, 4, v1
	s_wait_kmcnt 0x0
	s_ashr_i32 s3, s18, 31
	s_mov_b32 s2, s18
	v_dual_mov_b32 v0, v4 :: v_dual_mov_b32 v5, v3
	v_mov_b32_e32 v1, v3
	s_ashr_i32 s17, s19, 31
	s_mov_b32 s16, s19
	v_cmp_gt_i64_e32 vcc_lo, s[2:3], v[2:3]
	v_cmp_gt_i64_e64 s2, s[16:17], v[4:5]
	v_lshl_add_u64 v[6:7], v[2:3], 2, s[8:9]
	v_dual_mov_b32 v8, v4 :: v_dual_mov_b32 v9, v3
	s_add_nc_u64 s[8:9], s[0:1], 56
	s_mov_b32 s3, s11
	s_mov_b64 s[18:19], 0xffffffff
	s_and_b32 s29, s2, vcc_lo
	s_mov_b32 s2, s10
	s_lshl_b64 s[20:21], s[10:11], 2
	s_lshl_b64 s[22:23], s[14:15], 2
	s_mov_b32 s30, 0x4f800000
	s_branch .LBB194_3
.LBB194_2:                              ;   in Loop: Header=BB194_3 Depth=1
	s_or_b32 exec_lo, exec_lo, s31
	s_add_co_i32 s12, s12, 0x10000
	s_delay_alu instid0(SALU_CYCLE_1)
	s_cmp_lt_u32 s12, s28
	s_cbranch_scc0 .LBB194_15
.LBB194_3:                              ; =>This Loop Header: Depth=1
                                        ;     Child Loop BB194_10 Depth 2
                                        ;     Child Loop BB194_14 Depth 2
	s_mul_u64 s[0:1], s[6:7], s[12:13]
	s_delay_alu instid0(SALU_CYCLE_1) | instskip(NEXT) | instid1(SALU_CYCLE_1)
	s_lshl_b64 s[0:1], s[0:1], 2
	s_add_nc_u64 s[0:1], s[4:5], s[0:1]
	global_load_b32 v2, v3, s[0:1]
	s_wait_loadcnt 0x0
	s_wait_xcnt 0x0
	v_readfirstlane_b32 s0, v2
	s_cmp_eq_f32 s0, 0
	s_cselect_b32 s0, -1, 0
	s_delay_alu instid0(SALU_CYCLE_1) | instskip(NEXT) | instid1(SALU_CYCLE_1)
	s_and_b32 s0, s0, s29
	s_and_saveexec_b32 s31, s0
	s_cbranch_execz .LBB194_2
; %bb.4:                                ;   in Loop: Header=BB194_3 Depth=1
	s_load_b32 s0, s[8:9], 0x4
	s_mov_b32 s25, s13
	v_mov_b32_e32 v15, s13
	s_wait_kmcnt 0x0
	s_lshl_b32 s24, s0, 4
	s_delay_alu instid0(SALU_CYCLE_1) | instskip(NEXT) | instid1(VALU_DEP_1)
	v_add_nc_u64_e32 v[10:11], s[24:25], v[4:5]
	v_max_i64 v[12:13], v[10:11], s[16:17]
	v_cmp_gt_i64_e64 s0, s[16:17], v[10:11]
	s_delay_alu instid0(VALU_DEP_1) | instskip(NEXT) | instid1(VALU_DEP_1)
	v_cndmask_b32_e64 v14, 0, 1, s0
	v_sub_nc_u64_e32 v[12:13], v[12:13], v[14:15]
	s_delay_alu instid0(VALU_DEP_1) | instskip(NEXT) | instid1(VALU_DEP_1)
	v_sub_nc_u64_e32 v[10:11], v[12:13], v[10:11]
	v_dual_mov_b32 v12, v3 :: v_dual_mov_b32 v13, v11
	s_delay_alu instid0(VALU_DEP_1) | instskip(SKIP_1) | instid1(SALU_CYCLE_1)
	v_cmp_ne_u64_e32 vcc_lo, 0, v[12:13]
                                        ; implicit-def: $vgpr12_vgpr13
	s_and_saveexec_b32 s1, vcc_lo
	s_xor_b32 s26, exec_lo, s1
	s_cbranch_execz .LBB194_6
; %bb.5:                                ;   in Loop: Header=BB194_3 Depth=1
	s_cvt_f32_u32 s1, s24
	s_sub_nc_u64 s[36:37], 0, s[24:25]
	s_mov_b32 s39, s13
	s_mov_b32 s43, s13
	s_fmamk_f32 s1, s30, 0x0, s1
	v_mov_b32_e32 v2, v10
	s_delay_alu instid0(SALU_CYCLE_2) | instskip(NEXT) | instid1(TRANS32_DEP_1)
	v_s_rcp_f32 s1, s1
	s_mul_f32 s1, s1, 0x5f7ffffc
	s_delay_alu instid0(SALU_CYCLE_3) | instskip(NEXT) | instid1(SALU_CYCLE_3)
	s_mul_f32 s27, s1, 0x2f800000
	s_trunc_f32 s27, s27
	s_delay_alu instid0(SALU_CYCLE_3) | instskip(SKIP_1) | instid1(SALU_CYCLE_2)
	s_fmamk_f32 s1, s27, 0xcf800000, s1
	s_cvt_u32_f32 s35, s27
	s_cvt_u32_f32 s34, s1
	s_delay_alu instid0(SALU_CYCLE_3) | instskip(NEXT) | instid1(SALU_CYCLE_1)
	s_mul_u64 s[40:41], s[36:37], s[34:35]
	s_mul_hi_u32 s45, s34, s41
	s_mul_i32 s44, s34, s41
	s_mul_hi_u32 s38, s34, s40
	s_mul_i32 s27, s35, s40
	s_add_nc_u64 s[38:39], s[38:39], s[44:45]
	s_mul_hi_u32 s1, s35, s40
	s_mul_hi_u32 s33, s35, s41
	s_add_co_u32 s27, s38, s27
	s_add_co_ci_u32 s42, s39, s1
	s_mul_i32 s40, s35, s41
	s_add_co_ci_u32 s41, s33, 0
	s_delay_alu instid0(SALU_CYCLE_1) | instskip(SKIP_3) | instid1(SALU_CYCLE_1)
	s_add_nc_u64 s[38:39], s[42:43], s[40:41]
	s_mov_b32 s41, s13
	s_add_co_u32 s34, s34, s38
	s_cselect_b32 s1, -1, 0
	s_cmp_lg_u32 s1, 0
	s_add_co_ci_u32 s35, s35, s39
	s_mov_b32 s39, s13
	s_mul_u64 s[36:37], s[36:37], s[34:35]
	s_delay_alu instid0(SALU_CYCLE_1)
	s_mul_hi_u32 s43, s34, s37
	s_mul_i32 s42, s34, s37
	s_mul_hi_u32 s38, s34, s36
	s_mul_i32 s27, s35, s36
	s_add_nc_u64 s[38:39], s[38:39], s[42:43]
	s_mul_hi_u32 s1, s35, s36
	s_mul_hi_u32 s33, s35, s37
	s_add_co_u32 s27, s38, s27
	s_add_co_ci_u32 s40, s39, s1
	s_mul_i32 s36, s35, s37
	s_add_co_ci_u32 s37, s33, 0
	s_mov_b32 s39, s13
	s_add_nc_u64 s[36:37], s[40:41], s[36:37]
	s_delay_alu instid0(SALU_CYCLE_1) | instskip(SKIP_1) | instid1(SALU_CYCLE_1)
	s_add_co_u32 s34, s34, s36
	s_cselect_b32 s1, -1, 0
	s_cmp_lg_u32 s1, 0
	s_add_co_ci_u32 s38, s35, s37
	s_delay_alu instid0(SALU_CYCLE_1) | instskip(SKIP_2) | instid1(VALU_DEP_1)
	v_mul_u64_e32 v[12:13], s[38:39], v[2:3]
	v_mul_hi_u32 v2, v10, s34
	s_and_b64 s[34:35], s[34:35], s[18:19]
	v_add_nc_u64_e32 v[12:13], v[2:3], v[12:13]
	v_mov_b32_e32 v2, v11
	s_delay_alu instid0(VALU_DEP_1) | instskip(SKIP_1) | instid1(VALU_DEP_2)
	v_mul_u64_e32 v[14:15], s[34:35], v[2:3]
	v_mul_u64_e32 v[16:17], s[38:39], v[2:3]
	v_add_co_u32 v2, vcc_lo, v12, v14
	s_delay_alu instid0(VALU_DEP_3) | instskip(NEXT) | instid1(VALU_DEP_3)
	v_add_co_ci_u32_e32 v2, vcc_lo, v13, v15, vcc_lo
	v_add_co_ci_u32_e32 v17, vcc_lo, 0, v17, vcc_lo
	s_delay_alu instid0(VALU_DEP_1) | instskip(NEXT) | instid1(VALU_DEP_1)
	v_add_nc_u64_e32 v[12:13], v[2:3], v[16:17]
	v_mul_u64_e32 v[14:15], s[24:25], v[12:13]
	s_delay_alu instid0(VALU_DEP_1) | instskip(NEXT) | instid1(VALU_DEP_1)
	v_sub_co_u32 v2, vcc_lo, v10, v14
	v_sub_co_ci_u32_e64 v16, null, v11, v15, vcc_lo
	s_delay_alu instid0(VALU_DEP_2) | instskip(NEXT) | instid1(VALU_DEP_1)
	v_sub_co_u32 v10, vcc_lo, v2, s24
	v_subrev_co_ci_u32_e64 v14, null, 0, v16, vcc_lo
	v_cmp_eq_u32_e64 s1, 0, v16
	s_delay_alu instid0(VALU_DEP_3) | instskip(SKIP_3) | instid1(VALU_DEP_2)
	v_cmp_le_u32_e32 vcc_lo, s24, v10
	v_add_nc_u64_e32 v[10:11], 2, v[12:13]
	v_cndmask_b32_e64 v15, 0, -1, vcc_lo
	v_cmp_eq_u32_e32 vcc_lo, 0, v14
	v_cndmask_b32_e32 v17, -1, v15, vcc_lo
	v_cmp_le_u32_e32 vcc_lo, s24, v2
	v_add_nc_u64_e32 v[14:15], 1, v[12:13]
	v_cndmask_b32_e64 v2, 0, -1, vcc_lo
	s_delay_alu instid0(VALU_DEP_4) | instskip(NEXT) | instid1(VALU_DEP_2)
	v_cmp_ne_u32_e32 vcc_lo, 0, v17
	v_dual_cndmask_b32 v2, -1, v2, s1 :: v_dual_cndmask_b32 v11, v15, v11, vcc_lo
	s_delay_alu instid0(VALU_DEP_4) | instskip(NEXT) | instid1(VALU_DEP_2)
	v_cndmask_b32_e32 v10, v14, v10, vcc_lo
	v_cmp_ne_u32_e32 vcc_lo, 0, v2
	s_delay_alu instid0(VALU_DEP_2)
	v_dual_cndmask_b32 v13, v13, v11 :: v_dual_cndmask_b32 v12, v12, v10
                                        ; implicit-def: $vgpr10_vgpr11
.LBB194_6:                              ;   in Loop: Header=BB194_3 Depth=1
	s_and_not1_saveexec_b32 s1, s26
	s_cbranch_execz .LBB194_8
; %bb.7:                                ;   in Loop: Header=BB194_3 Depth=1
	v_cvt_f32_u32_e32 v2, s24
	s_sub_co_i32 s26, 0, s24
	s_delay_alu instid0(VALU_DEP_1) | instskip(SKIP_1) | instid1(TRANS32_DEP_1)
	v_rcp_iflag_f32_e32 v2, v2
	v_nop
	v_mul_f32_e32 v2, 0x4f7ffffe, v2
	s_delay_alu instid0(VALU_DEP_1) | instskip(NEXT) | instid1(VALU_DEP_1)
	v_cvt_u32_f32_e32 v2, v2
	v_mul_lo_u32 v11, s26, v2
	s_delay_alu instid0(VALU_DEP_1) | instskip(NEXT) | instid1(VALU_DEP_1)
	v_mul_hi_u32 v11, v2, v11
	v_add_nc_u32_e32 v2, v2, v11
	s_delay_alu instid0(VALU_DEP_1) | instskip(NEXT) | instid1(VALU_DEP_1)
	v_mul_hi_u32 v2, v10, v2
	v_mul_lo_u32 v11, v2, s24
	s_delay_alu instid0(VALU_DEP_1) | instskip(NEXT) | instid1(VALU_DEP_1)
	v_dual_sub_nc_u32 v10, v10, v11 :: v_dual_add_nc_u32 v11, 1, v2
	v_subrev_nc_u32_e32 v12, s24, v10
	v_cmp_le_u32_e32 vcc_lo, s24, v10
	s_delay_alu instid0(VALU_DEP_3) | instskip(NEXT) | instid1(VALU_DEP_1)
	v_cndmask_b32_e32 v2, v2, v11, vcc_lo
	v_dual_cndmask_b32 v10, v10, v12 :: v_dual_add_nc_u32 v11, 1, v2
	s_delay_alu instid0(VALU_DEP_1) | instskip(NEXT) | instid1(VALU_DEP_2)
	v_cmp_le_u32_e32 vcc_lo, s24, v10
	v_cndmask_b32_e32 v2, v2, v11, vcc_lo
	s_delay_alu instid0(VALU_DEP_1)
	v_mov_b64_e32 v[12:13], v[2:3]
.LBB194_8:                              ;   in Loop: Header=BB194_3 Depth=1
	s_or_b32 exec_lo, exec_lo, s1
	v_cndmask_b32_e64 v2, 1, 2, s0
	v_mov_b64_e32 v[14:15], v[4:5]
	s_mov_b32 s0, -1
	s_mov_b32 s33, exec_lo
	s_delay_alu instid0(VALU_DEP_2) | instskip(NEXT) | instid1(VALU_DEP_1)
	v_add_nc_u64_e32 v[10:11], v[2:3], v[12:13]
	v_cmpx_lt_u64_e32 1, v[10:11]
	s_cbranch_execz .LBB194_12
; %bb.9:                                ;   in Loop: Header=BB194_3 Depth=1
	v_dual_mov_b32 v13, v11 :: v_dual_bitop2_b32 v12, -2, v10 bitop3:0x40
	s_mul_u64 s[0:1], s[14:15], s[12:13]
	v_add_nc_u64_e32 v[16:17], s[24:25], v[8:9]
	v_lshl_add_u64 v[14:15], s[0:1], 2, v[6:7]
	v_dual_mov_b32 v18, v0 :: v_dual_mov_b32 v19, v1
	v_mov_b64_e32 v[20:21], v[12:13]
	s_lshl_b64 s[0:1], s[24:25], 1
	s_mov_b32 s34, 0
	s_mov_b32 s26, s0
	;; [unrolled: 1-line block ×3, first 2 shown]
.LBB194_10:                             ;   Parent Loop BB194_3 Depth=1
                                        ; =>  This Inner Loop Header: Depth=2
	v_mul_u64_e32 v[22:23], s[2:3], v[18:19]
	v_mul_u64_e32 v[24:25], s[10:11], v[16:17]
	v_add_nc_u64_e32 v[20:21], -2, v[20:21]
	v_add_nc_u64_e32 v[16:17], s[26:27], v[16:17]
	v_add_nc_u64_e32 v[18:19], s[0:1], v[18:19]
	s_delay_alu instid0(VALU_DEP_3)
	v_cmp_eq_u64_e32 vcc_lo, 0, v[20:21]
	s_or_b32 s34, vcc_lo, s34
	v_lshl_add_u64 v[22:23], v[22:23], 2, v[14:15]
	v_lshl_add_u64 v[24:25], v[24:25], 2, v[14:15]
	s_clause 0x1
	global_store_b32 v[22:23], v3, off
	global_store_b32 v[24:25], v3, off
	s_wait_xcnt 0x0
	s_and_not1_b32 exec_lo, exec_lo, s34
	s_cbranch_execnz .LBB194_10
; %bb.11:                               ;   in Loop: Header=BB194_3 Depth=1
	s_or_b32 exec_lo, exec_lo, s34
	v_mad_nc_u64_u32 v[14:15], v12, s24, v[4:5]
	v_cmp_ne_u64_e32 vcc_lo, v[10:11], v[12:13]
	s_or_not1_b32 s0, vcc_lo, exec_lo
	s_delay_alu instid0(VALU_DEP_2)
	v_mad_u32 v15, v13, s24, v15
.LBB194_12:                             ;   in Loop: Header=BB194_3 Depth=1
	s_or_b32 exec_lo, exec_lo, s33
	s_delay_alu instid0(SALU_CYCLE_1)
	s_and_b32 exec_lo, exec_lo, s0
	s_cbranch_execz .LBB194_2
; %bb.13:                               ;   in Loop: Header=BB194_3 Depth=1
	s_mul_u64 s[0:1], s[22:23], s[12:13]
	s_mov_b32 s26, 0
	s_delay_alu instid0(VALU_DEP_3) | instskip(SKIP_1) | instid1(VALU_DEP_1)
	v_mad_nc_u64_u32 v[10:11], s20, v14, s[0:1]
	s_mul_u64 s[0:1], s[20:21], s[24:25]
	v_mad_u32 v2, s21, v14, v11
	s_delay_alu instid0(VALU_DEP_1) | instskip(NEXT) | instid1(VALU_DEP_1)
	v_mad_u32 v11, s20, v15, v2
	v_add_nc_u64_e32 v[10:11], v[6:7], v[10:11]
.LBB194_14:                             ;   Parent Loop BB194_3 Depth=1
                                        ; =>  This Inner Loop Header: Depth=2
	v_add_nc_u64_e32 v[14:15], s[24:25], v[14:15]
	global_store_b32 v[10:11], v3, off
	s_wait_xcnt 0x0
	v_add_nc_u64_e32 v[10:11], s[0:1], v[10:11]
	v_cmp_le_i64_e32 vcc_lo, s[16:17], v[14:15]
	s_or_b32 s26, vcc_lo, s26
	s_delay_alu instid0(SALU_CYCLE_1)
	s_and_not1_b32 exec_lo, exec_lo, s26
	s_cbranch_execnz .LBB194_14
	s_branch .LBB194_2
.LBB194_15:
	s_endpgm
	.section	.rodata,"a",@progbits
	.p2align	6, 0x0
	.amdhsa_kernel _ZL44rocblas_set_matrix_zero_if_alpha_zero_kernelILi16ELi16EPKfPfEviiT1_lT2_lli
		.amdhsa_group_segment_fixed_size 0
		.amdhsa_private_segment_fixed_size 0
		.amdhsa_kernarg_size 312
		.amdhsa_user_sgpr_count 2
		.amdhsa_user_sgpr_dispatch_ptr 0
		.amdhsa_user_sgpr_queue_ptr 0
		.amdhsa_user_sgpr_kernarg_segment_ptr 1
		.amdhsa_user_sgpr_dispatch_id 0
		.amdhsa_user_sgpr_kernarg_preload_length 0
		.amdhsa_user_sgpr_kernarg_preload_offset 0
		.amdhsa_user_sgpr_private_segment_size 0
		.amdhsa_wavefront_size32 1
		.amdhsa_uses_dynamic_stack 0
		.amdhsa_enable_private_segment 0
		.amdhsa_system_sgpr_workgroup_id_x 1
		.amdhsa_system_sgpr_workgroup_id_y 1
		.amdhsa_system_sgpr_workgroup_id_z 1
		.amdhsa_system_sgpr_workgroup_info 0
		.amdhsa_system_vgpr_workitem_id 1
		.amdhsa_next_free_vgpr 26
		.amdhsa_next_free_sgpr 46
		.amdhsa_named_barrier_count 0
		.amdhsa_reserve_vcc 1
		.amdhsa_float_round_mode_32 0
		.amdhsa_float_round_mode_16_64 0
		.amdhsa_float_denorm_mode_32 3
		.amdhsa_float_denorm_mode_16_64 3
		.amdhsa_fp16_overflow 0
		.amdhsa_memory_ordered 1
		.amdhsa_forward_progress 1
		.amdhsa_inst_pref_size 12
		.amdhsa_round_robin_scheduling 0
		.amdhsa_exception_fp_ieee_invalid_op 0
		.amdhsa_exception_fp_denorm_src 0
		.amdhsa_exception_fp_ieee_div_zero 0
		.amdhsa_exception_fp_ieee_overflow 0
		.amdhsa_exception_fp_ieee_underflow 0
		.amdhsa_exception_fp_ieee_inexact 0
		.amdhsa_exception_int_div_zero 0
	.end_amdhsa_kernel
	.section	.text._ZL44rocblas_set_matrix_zero_if_alpha_zero_kernelILi16ELi16EPKfPfEviiT1_lT2_lli,"axG",@progbits,_ZL44rocblas_set_matrix_zero_if_alpha_zero_kernelILi16ELi16EPKfPfEviiT1_lT2_lli,comdat
.Lfunc_end194:
	.size	_ZL44rocblas_set_matrix_zero_if_alpha_zero_kernelILi16ELi16EPKfPfEviiT1_lT2_lli, .Lfunc_end194-_ZL44rocblas_set_matrix_zero_if_alpha_zero_kernelILi16ELi16EPKfPfEviiT1_lT2_lli
                                        ; -- End function
	.set _ZL44rocblas_set_matrix_zero_if_alpha_zero_kernelILi16ELi16EPKfPfEviiT1_lT2_lli.num_vgpr, 26
	.set _ZL44rocblas_set_matrix_zero_if_alpha_zero_kernelILi16ELi16EPKfPfEviiT1_lT2_lli.num_agpr, 0
	.set _ZL44rocblas_set_matrix_zero_if_alpha_zero_kernelILi16ELi16EPKfPfEviiT1_lT2_lli.numbered_sgpr, 46
	.set _ZL44rocblas_set_matrix_zero_if_alpha_zero_kernelILi16ELi16EPKfPfEviiT1_lT2_lli.num_named_barrier, 0
	.set _ZL44rocblas_set_matrix_zero_if_alpha_zero_kernelILi16ELi16EPKfPfEviiT1_lT2_lli.private_seg_size, 0
	.set _ZL44rocblas_set_matrix_zero_if_alpha_zero_kernelILi16ELi16EPKfPfEviiT1_lT2_lli.uses_vcc, 1
	.set _ZL44rocblas_set_matrix_zero_if_alpha_zero_kernelILi16ELi16EPKfPfEviiT1_lT2_lli.uses_flat_scratch, 0
	.set _ZL44rocblas_set_matrix_zero_if_alpha_zero_kernelILi16ELi16EPKfPfEviiT1_lT2_lli.has_dyn_sized_stack, 0
	.set _ZL44rocblas_set_matrix_zero_if_alpha_zero_kernelILi16ELi16EPKfPfEviiT1_lT2_lli.has_recursion, 0
	.set _ZL44rocblas_set_matrix_zero_if_alpha_zero_kernelILi16ELi16EPKfPfEviiT1_lT2_lli.has_indirect_call, 0
	.section	.AMDGPU.csdata,"",@progbits
; Kernel info:
; codeLenInByte = 1432
; TotalNumSgprs: 48
; NumVgprs: 26
; ScratchSize: 0
; MemoryBound: 0
; FloatMode: 240
; IeeeMode: 1
; LDSByteSize: 0 bytes/workgroup (compile time only)
; SGPRBlocks: 0
; VGPRBlocks: 1
; NumSGPRsForWavesPerEU: 48
; NumVGPRsForWavesPerEU: 26
; NamedBarCnt: 0
; Occupancy: 16
; WaveLimiterHint : 0
; COMPUTE_PGM_RSRC2:SCRATCH_EN: 0
; COMPUTE_PGM_RSRC2:USER_SGPR: 2
; COMPUTE_PGM_RSRC2:TRAP_HANDLER: 0
; COMPUTE_PGM_RSRC2:TGID_X_EN: 1
; COMPUTE_PGM_RSRC2:TGID_Y_EN: 1
; COMPUTE_PGM_RSRC2:TGID_Z_EN: 1
; COMPUTE_PGM_RSRC2:TIDIG_COMP_CNT: 1
	.section	.text._ZL44rocblas_set_matrix_zero_if_alpha_zero_kernelILi16ELi16EfPfEviiT1_lT2_lli,"axG",@progbits,_ZL44rocblas_set_matrix_zero_if_alpha_zero_kernelILi16ELi16EfPfEviiT1_lT2_lli,comdat
	.globl	_ZL44rocblas_set_matrix_zero_if_alpha_zero_kernelILi16ELi16EfPfEviiT1_lT2_lli ; -- Begin function _ZL44rocblas_set_matrix_zero_if_alpha_zero_kernelILi16ELi16EfPfEviiT1_lT2_lli
	.p2align	8
	.type	_ZL44rocblas_set_matrix_zero_if_alpha_zero_kernelILi16ELi16EfPfEviiT1_lT2_lli,@function
_ZL44rocblas_set_matrix_zero_if_alpha_zero_kernelILi16ELi16EfPfEviiT1_lT2_lli: ; @_ZL44rocblas_set_matrix_zero_if_alpha_zero_kernelILi16ELi16EfPfEviiT1_lT2_lli
; %bb.0:
	s_load_b32 s24, s[0:1], 0x30
	s_bfe_u32 s2, ttmp6, 0x40014
	s_lshr_b32 s3, ttmp7, 16
	s_add_co_i32 s2, s2, 1
	s_bfe_u32 s4, ttmp6, 0x40008
	s_mul_i32 s2, s3, s2
	s_getreg_b32 s11, hwreg(HW_REG_IB_STS2, 6, 4)
	s_add_co_i32 s4, s4, s2
	s_cmp_eq_u32 s11, 0
	s_cselect_b32 s2, s3, s4
	s_mov_b32 s3, 0
	s_wait_kmcnt 0x0
	s_cmp_ge_u32 s2, s24
	s_cbranch_scc1 .LBB195_15
; %bb.1:
	s_clause 0x2
	s_load_b96 s[8:10], s[0:1], 0x0
	s_load_b128 s[4:7], s[0:1], 0x18
	s_load_b64 s[12:13], s[0:1], 0x28
	s_add_nc_u64 s[14:15], s[0:1], 56
	v_and_b32_e32 v2, 0x3ff, v0
	v_bfe_u32 v0, v0, 10, 10
	s_mov_b64 s[16:17], 0xffffffff
	s_mov_b32 s26, 0x4f800000
	s_wait_kmcnt 0x0
	s_cmp_eq_f32 s10, 0
	s_cselect_b32 s20, -1, 0
	s_bfe_u32 s0, ttmp6, 0x40010
	s_bfe_u32 s19, ttmp6, 0x4000c
	s_and_b32 s1, ttmp7, 0xffff
	s_add_co_i32 s0, s0, 1
	s_add_co_i32 s19, s19, 1
	s_bfe_u32 s10, ttmp6, 0x40004
	s_and_b32 s18, ttmp6, 15
	s_mul_i32 s0, s1, s0
	s_mul_i32 s19, ttmp9, s19
	s_add_co_i32 s10, s10, s0
	s_add_co_i32 s18, s18, s19
	s_cmp_eq_u32 s11, 0
	s_mov_b32 s0, s8
	s_cselect_b32 s1, s1, s10
	s_cselect_b32 s11, ttmp9, s18
	v_lshl_add_u32 v4, s1, 4, v0
	v_mov_b32_e32 v3, 0
	v_lshl_add_u32 v2, s11, 4, v2
	s_mov_b32 s10, s9
	s_ashr_i32 s1, s8, 31
	s_delay_alu instid0(VALU_DEP_2)
	v_dual_mov_b32 v0, v4 :: v_dual_mov_b32 v5, v3
	v_mov_b32_e32 v1, v3
	s_ashr_i32 s11, s9, 31
	v_cmp_gt_i64_e32 vcc_lo, s[0:1], v[2:3]
	v_dual_mov_b32 v7, v3 :: v_dual_mov_b32 v6, v4
	v_cmp_gt_i64_e64 s0, s[10:11], v[4:5]
	v_lshl_add_u64 v[8:9], v[2:3], 2, s[4:5]
	s_mov_b32 s8, s6
	s_mov_b32 s9, s7
	s_lshl_b64 s[18:19], s[6:7], 2
	s_lshl_b64 s[4:5], s[12:13], 2
	s_and_b32 s0, s0, vcc_lo
	s_delay_alu instid0(SALU_CYCLE_1)
	s_and_b32 s25, s0, s20
	s_branch .LBB195_3
.LBB195_2:                              ;   in Loop: Header=BB195_3 Depth=1
	s_or_b32 exec_lo, exec_lo, s27
	s_add_co_i32 s2, s2, 0x10000
	s_delay_alu instid0(SALU_CYCLE_1)
	s_cmp_lt_u32 s2, s24
	s_cbranch_scc0 .LBB195_15
.LBB195_3:                              ; =>This Loop Header: Depth=1
                                        ;     Child Loop BB195_10 Depth 2
                                        ;     Child Loop BB195_14 Depth 2
	s_and_saveexec_b32 s27, s25
	s_cbranch_execz .LBB195_2
; %bb.4:                                ;   in Loop: Header=BB195_3 Depth=1
	s_load_b32 s0, s[14:15], 0x4
	s_mov_b32 s21, s3
	v_mov_b32_e32 v15, s3
	s_wait_kmcnt 0x0
	s_lshl_b32 s20, s0, 4
	s_delay_alu instid0(SALU_CYCLE_1) | instskip(NEXT) | instid1(VALU_DEP_1)
	v_add_nc_u64_e32 v[10:11], s[20:21], v[4:5]
	v_max_i64 v[12:13], v[10:11], s[10:11]
	v_cmp_gt_i64_e64 s0, s[10:11], v[10:11]
	s_delay_alu instid0(VALU_DEP_1) | instskip(NEXT) | instid1(VALU_DEP_1)
	v_cndmask_b32_e64 v14, 0, 1, s0
	v_sub_nc_u64_e32 v[12:13], v[12:13], v[14:15]
	s_delay_alu instid0(VALU_DEP_1) | instskip(NEXT) | instid1(VALU_DEP_1)
	v_sub_nc_u64_e32 v[10:11], v[12:13], v[10:11]
	v_dual_mov_b32 v12, v3 :: v_dual_mov_b32 v13, v11
	s_delay_alu instid0(VALU_DEP_1) | instskip(SKIP_1) | instid1(SALU_CYCLE_1)
	v_cmp_ne_u64_e32 vcc_lo, 0, v[12:13]
                                        ; implicit-def: $vgpr12_vgpr13
	s_and_saveexec_b32 s1, vcc_lo
	s_xor_b32 s22, exec_lo, s1
	s_cbranch_execz .LBB195_6
; %bb.5:                                ;   in Loop: Header=BB195_3 Depth=1
	s_cvt_f32_u32 s1, s20
	s_sub_nc_u64 s[30:31], 0, s[20:21]
	s_mov_b32 s35, s3
	s_mov_b32 s39, s3
	s_fmamk_f32 s1, s26, 0x0, s1
	v_mov_b32_e32 v2, v10
	s_delay_alu instid0(SALU_CYCLE_2) | instskip(NEXT) | instid1(TRANS32_DEP_1)
	v_s_rcp_f32 s1, s1
	s_mul_f32 s1, s1, 0x5f7ffffc
	s_delay_alu instid0(SALU_CYCLE_3) | instskip(NEXT) | instid1(SALU_CYCLE_3)
	s_mul_f32 s23, s1, 0x2f800000
	s_trunc_f32 s23, s23
	s_delay_alu instid0(SALU_CYCLE_3) | instskip(SKIP_1) | instid1(SALU_CYCLE_2)
	s_fmamk_f32 s1, s23, 0xcf800000, s1
	s_cvt_u32_f32 s29, s23
	s_cvt_u32_f32 s28, s1
	s_delay_alu instid0(SALU_CYCLE_3) | instskip(NEXT) | instid1(SALU_CYCLE_1)
	s_mul_u64 s[36:37], s[30:31], s[28:29]
	s_mul_hi_u32 s41, s28, s37
	s_mul_i32 s40, s28, s37
	s_mul_hi_u32 s34, s28, s36
	s_mul_i32 s23, s29, s36
	s_add_nc_u64 s[34:35], s[34:35], s[40:41]
	s_mul_hi_u32 s1, s29, s36
	s_mul_hi_u32 s33, s29, s37
	s_add_co_u32 s23, s34, s23
	s_add_co_ci_u32 s38, s35, s1
	s_mul_i32 s36, s29, s37
	s_add_co_ci_u32 s37, s33, 0
	s_delay_alu instid0(SALU_CYCLE_1) | instskip(SKIP_3) | instid1(SALU_CYCLE_1)
	s_add_nc_u64 s[34:35], s[38:39], s[36:37]
	s_mov_b32 s37, s3
	s_add_co_u32 s28, s28, s34
	s_cselect_b32 s1, -1, 0
	s_cmp_lg_u32 s1, 0
	s_add_co_ci_u32 s29, s29, s35
	s_mov_b32 s35, s3
	s_mul_u64 s[30:31], s[30:31], s[28:29]
	s_delay_alu instid0(SALU_CYCLE_1)
	s_mul_hi_u32 s39, s28, s31
	s_mul_i32 s38, s28, s31
	s_mul_hi_u32 s34, s28, s30
	s_mul_i32 s23, s29, s30
	s_add_nc_u64 s[34:35], s[34:35], s[38:39]
	s_mul_hi_u32 s1, s29, s30
	s_mul_hi_u32 s33, s29, s31
	s_add_co_u32 s23, s34, s23
	s_add_co_ci_u32 s36, s35, s1
	s_mul_i32 s30, s29, s31
	s_add_co_ci_u32 s31, s33, 0
	s_mov_b32 s35, s3
	s_add_nc_u64 s[30:31], s[36:37], s[30:31]
	s_delay_alu instid0(SALU_CYCLE_1) | instskip(SKIP_1) | instid1(SALU_CYCLE_1)
	s_add_co_u32 s28, s28, s30
	s_cselect_b32 s1, -1, 0
	s_cmp_lg_u32 s1, 0
	s_add_co_ci_u32 s34, s29, s31
	s_delay_alu instid0(SALU_CYCLE_1) | instskip(SKIP_2) | instid1(VALU_DEP_1)
	v_mul_u64_e32 v[12:13], s[34:35], v[2:3]
	v_mul_hi_u32 v2, v10, s28
	s_and_b64 s[28:29], s[28:29], s[16:17]
	v_add_nc_u64_e32 v[12:13], v[2:3], v[12:13]
	v_mov_b32_e32 v2, v11
	s_delay_alu instid0(VALU_DEP_1) | instskip(SKIP_1) | instid1(VALU_DEP_2)
	v_mul_u64_e32 v[14:15], s[28:29], v[2:3]
	v_mul_u64_e32 v[16:17], s[34:35], v[2:3]
	v_add_co_u32 v2, vcc_lo, v12, v14
	s_delay_alu instid0(VALU_DEP_3) | instskip(NEXT) | instid1(VALU_DEP_3)
	v_add_co_ci_u32_e32 v2, vcc_lo, v13, v15, vcc_lo
	v_add_co_ci_u32_e32 v17, vcc_lo, 0, v17, vcc_lo
	s_delay_alu instid0(VALU_DEP_1) | instskip(NEXT) | instid1(VALU_DEP_1)
	v_add_nc_u64_e32 v[12:13], v[2:3], v[16:17]
	v_mul_u64_e32 v[14:15], s[20:21], v[12:13]
	s_delay_alu instid0(VALU_DEP_1) | instskip(NEXT) | instid1(VALU_DEP_1)
	v_sub_co_u32 v2, vcc_lo, v10, v14
	v_sub_co_ci_u32_e64 v16, null, v11, v15, vcc_lo
	s_delay_alu instid0(VALU_DEP_2) | instskip(NEXT) | instid1(VALU_DEP_1)
	v_sub_co_u32 v10, vcc_lo, v2, s20
	v_subrev_co_ci_u32_e64 v14, null, 0, v16, vcc_lo
	v_cmp_eq_u32_e64 s1, 0, v16
	s_delay_alu instid0(VALU_DEP_3) | instskip(SKIP_3) | instid1(VALU_DEP_2)
	v_cmp_le_u32_e32 vcc_lo, s20, v10
	v_add_nc_u64_e32 v[10:11], 2, v[12:13]
	v_cndmask_b32_e64 v15, 0, -1, vcc_lo
	v_cmp_eq_u32_e32 vcc_lo, 0, v14
	v_cndmask_b32_e32 v17, -1, v15, vcc_lo
	v_cmp_le_u32_e32 vcc_lo, s20, v2
	v_add_nc_u64_e32 v[14:15], 1, v[12:13]
	v_cndmask_b32_e64 v2, 0, -1, vcc_lo
	s_delay_alu instid0(VALU_DEP_4) | instskip(NEXT) | instid1(VALU_DEP_2)
	v_cmp_ne_u32_e32 vcc_lo, 0, v17
	v_dual_cndmask_b32 v2, -1, v2, s1 :: v_dual_cndmask_b32 v11, v15, v11, vcc_lo
	s_delay_alu instid0(VALU_DEP_4) | instskip(NEXT) | instid1(VALU_DEP_2)
	v_cndmask_b32_e32 v10, v14, v10, vcc_lo
	v_cmp_ne_u32_e32 vcc_lo, 0, v2
	s_delay_alu instid0(VALU_DEP_2)
	v_dual_cndmask_b32 v13, v13, v11 :: v_dual_cndmask_b32 v12, v12, v10
                                        ; implicit-def: $vgpr10_vgpr11
.LBB195_6:                              ;   in Loop: Header=BB195_3 Depth=1
	s_and_not1_saveexec_b32 s1, s22
	s_cbranch_execz .LBB195_8
; %bb.7:                                ;   in Loop: Header=BB195_3 Depth=1
	v_cvt_f32_u32_e32 v2, s20
	s_sub_co_i32 s22, 0, s20
	s_delay_alu instid0(VALU_DEP_1) | instskip(SKIP_1) | instid1(TRANS32_DEP_1)
	v_rcp_iflag_f32_e32 v2, v2
	v_nop
	v_mul_f32_e32 v2, 0x4f7ffffe, v2
	s_delay_alu instid0(VALU_DEP_1) | instskip(NEXT) | instid1(VALU_DEP_1)
	v_cvt_u32_f32_e32 v2, v2
	v_mul_lo_u32 v11, s22, v2
	s_delay_alu instid0(VALU_DEP_1) | instskip(NEXT) | instid1(VALU_DEP_1)
	v_mul_hi_u32 v11, v2, v11
	v_add_nc_u32_e32 v2, v2, v11
	s_delay_alu instid0(VALU_DEP_1) | instskip(NEXT) | instid1(VALU_DEP_1)
	v_mul_hi_u32 v2, v10, v2
	v_mul_lo_u32 v11, v2, s20
	s_delay_alu instid0(VALU_DEP_1) | instskip(NEXT) | instid1(VALU_DEP_1)
	v_dual_sub_nc_u32 v10, v10, v11 :: v_dual_add_nc_u32 v11, 1, v2
	v_subrev_nc_u32_e32 v12, s20, v10
	v_cmp_le_u32_e32 vcc_lo, s20, v10
	s_delay_alu instid0(VALU_DEP_3) | instskip(NEXT) | instid1(VALU_DEP_1)
	v_cndmask_b32_e32 v2, v2, v11, vcc_lo
	v_dual_cndmask_b32 v10, v10, v12 :: v_dual_add_nc_u32 v11, 1, v2
	s_delay_alu instid0(VALU_DEP_1) | instskip(NEXT) | instid1(VALU_DEP_2)
	v_cmp_le_u32_e32 vcc_lo, s20, v10
	v_cndmask_b32_e32 v2, v2, v11, vcc_lo
	s_delay_alu instid0(VALU_DEP_1)
	v_mov_b64_e32 v[12:13], v[2:3]
.LBB195_8:                              ;   in Loop: Header=BB195_3 Depth=1
	s_or_b32 exec_lo, exec_lo, s1
	v_cndmask_b32_e64 v2, 1, 2, s0
	v_mov_b64_e32 v[14:15], v[4:5]
	s_mov_b32 s0, -1
	s_mov_b32 s28, exec_lo
	s_delay_alu instid0(VALU_DEP_2) | instskip(NEXT) | instid1(VALU_DEP_1)
	v_add_nc_u64_e32 v[10:11], v[2:3], v[12:13]
	v_cmpx_lt_u64_e32 1, v[10:11]
	s_cbranch_execz .LBB195_12
; %bb.9:                                ;   in Loop: Header=BB195_3 Depth=1
	v_dual_mov_b32 v13, v11 :: v_dual_bitop2_b32 v12, -2, v10 bitop3:0x40
	s_mul_u64 s[0:1], s[12:13], s[2:3]
	v_add_nc_u64_e32 v[16:17], s[20:21], v[6:7]
	v_lshl_add_u64 v[14:15], s[0:1], 2, v[8:9]
	v_dual_mov_b32 v18, v0 :: v_dual_mov_b32 v19, v1
	v_mov_b64_e32 v[20:21], v[12:13]
	s_lshl_b64 s[0:1], s[20:21], 1
	s_mov_b32 s29, 0
	s_mov_b32 s22, s0
	;; [unrolled: 1-line block ×3, first 2 shown]
.LBB195_10:                             ;   Parent Loop BB195_3 Depth=1
                                        ; =>  This Inner Loop Header: Depth=2
	v_mul_u64_e32 v[22:23], s[8:9], v[18:19]
	v_mul_u64_e32 v[24:25], s[6:7], v[16:17]
	v_add_nc_u64_e32 v[20:21], -2, v[20:21]
	v_add_nc_u64_e32 v[16:17], s[22:23], v[16:17]
	v_add_nc_u64_e32 v[18:19], s[0:1], v[18:19]
	s_delay_alu instid0(VALU_DEP_3)
	v_cmp_eq_u64_e32 vcc_lo, 0, v[20:21]
	s_or_b32 s29, vcc_lo, s29
	v_lshl_add_u64 v[22:23], v[22:23], 2, v[14:15]
	v_lshl_add_u64 v[24:25], v[24:25], 2, v[14:15]
	s_clause 0x1
	global_store_b32 v[22:23], v3, off
	global_store_b32 v[24:25], v3, off
	s_wait_xcnt 0x0
	s_and_not1_b32 exec_lo, exec_lo, s29
	s_cbranch_execnz .LBB195_10
; %bb.11:                               ;   in Loop: Header=BB195_3 Depth=1
	s_or_b32 exec_lo, exec_lo, s29
	v_mad_nc_u64_u32 v[14:15], v12, s20, v[4:5]
	v_cmp_ne_u64_e32 vcc_lo, v[10:11], v[12:13]
	s_or_not1_b32 s0, vcc_lo, exec_lo
	s_delay_alu instid0(VALU_DEP_2)
	v_mad_u32 v15, v13, s20, v15
.LBB195_12:                             ;   in Loop: Header=BB195_3 Depth=1
	s_or_b32 exec_lo, exec_lo, s28
	s_delay_alu instid0(SALU_CYCLE_1)
	s_and_b32 exec_lo, exec_lo, s0
	s_cbranch_execz .LBB195_2
; %bb.13:                               ;   in Loop: Header=BB195_3 Depth=1
	s_mul_u64 s[0:1], s[4:5], s[2:3]
	s_mov_b32 s22, 0
	s_delay_alu instid0(VALU_DEP_3) | instskip(SKIP_1) | instid1(VALU_DEP_1)
	v_mad_nc_u64_u32 v[10:11], s18, v14, s[0:1]
	s_mul_u64 s[0:1], s[18:19], s[20:21]
	v_mad_u32 v2, s19, v14, v11
	s_delay_alu instid0(VALU_DEP_1) | instskip(NEXT) | instid1(VALU_DEP_1)
	v_mad_u32 v11, s18, v15, v2
	v_add_nc_u64_e32 v[10:11], v[8:9], v[10:11]
.LBB195_14:                             ;   Parent Loop BB195_3 Depth=1
                                        ; =>  This Inner Loop Header: Depth=2
	v_add_nc_u64_e32 v[14:15], s[20:21], v[14:15]
	global_store_b32 v[10:11], v3, off
	s_wait_xcnt 0x0
	v_add_nc_u64_e32 v[10:11], s[0:1], v[10:11]
	v_cmp_le_i64_e32 vcc_lo, s[10:11], v[14:15]
	s_or_b32 s22, vcc_lo, s22
	s_delay_alu instid0(SALU_CYCLE_1)
	s_and_not1_b32 exec_lo, exec_lo, s22
	s_cbranch_execnz .LBB195_14
	s_branch .LBB195_2
.LBB195_15:
	s_endpgm
	.section	.rodata,"a",@progbits
	.p2align	6, 0x0
	.amdhsa_kernel _ZL44rocblas_set_matrix_zero_if_alpha_zero_kernelILi16ELi16EfPfEviiT1_lT2_lli
		.amdhsa_group_segment_fixed_size 0
		.amdhsa_private_segment_fixed_size 0
		.amdhsa_kernarg_size 312
		.amdhsa_user_sgpr_count 2
		.amdhsa_user_sgpr_dispatch_ptr 0
		.amdhsa_user_sgpr_queue_ptr 0
		.amdhsa_user_sgpr_kernarg_segment_ptr 1
		.amdhsa_user_sgpr_dispatch_id 0
		.amdhsa_user_sgpr_kernarg_preload_length 0
		.amdhsa_user_sgpr_kernarg_preload_offset 0
		.amdhsa_user_sgpr_private_segment_size 0
		.amdhsa_wavefront_size32 1
		.amdhsa_uses_dynamic_stack 0
		.amdhsa_enable_private_segment 0
		.amdhsa_system_sgpr_workgroup_id_x 1
		.amdhsa_system_sgpr_workgroup_id_y 1
		.amdhsa_system_sgpr_workgroup_id_z 1
		.amdhsa_system_sgpr_workgroup_info 0
		.amdhsa_system_vgpr_workitem_id 1
		.amdhsa_next_free_vgpr 26
		.amdhsa_next_free_sgpr 42
		.amdhsa_named_barrier_count 0
		.amdhsa_reserve_vcc 1
		.amdhsa_float_round_mode_32 0
		.amdhsa_float_round_mode_16_64 0
		.amdhsa_float_denorm_mode_32 3
		.amdhsa_float_denorm_mode_16_64 3
		.amdhsa_fp16_overflow 0
		.amdhsa_memory_ordered 1
		.amdhsa_forward_progress 1
		.amdhsa_inst_pref_size 11
		.amdhsa_round_robin_scheduling 0
		.amdhsa_exception_fp_ieee_invalid_op 0
		.amdhsa_exception_fp_denorm_src 0
		.amdhsa_exception_fp_ieee_div_zero 0
		.amdhsa_exception_fp_ieee_overflow 0
		.amdhsa_exception_fp_ieee_underflow 0
		.amdhsa_exception_fp_ieee_inexact 0
		.amdhsa_exception_int_div_zero 0
	.end_amdhsa_kernel
	.section	.text._ZL44rocblas_set_matrix_zero_if_alpha_zero_kernelILi16ELi16EfPfEviiT1_lT2_lli,"axG",@progbits,_ZL44rocblas_set_matrix_zero_if_alpha_zero_kernelILi16ELi16EfPfEviiT1_lT2_lli,comdat
.Lfunc_end195:
	.size	_ZL44rocblas_set_matrix_zero_if_alpha_zero_kernelILi16ELi16EfPfEviiT1_lT2_lli, .Lfunc_end195-_ZL44rocblas_set_matrix_zero_if_alpha_zero_kernelILi16ELi16EfPfEviiT1_lT2_lli
                                        ; -- End function
	.set _ZL44rocblas_set_matrix_zero_if_alpha_zero_kernelILi16ELi16EfPfEviiT1_lT2_lli.num_vgpr, 26
	.set _ZL44rocblas_set_matrix_zero_if_alpha_zero_kernelILi16ELi16EfPfEviiT1_lT2_lli.num_agpr, 0
	.set _ZL44rocblas_set_matrix_zero_if_alpha_zero_kernelILi16ELi16EfPfEviiT1_lT2_lli.numbered_sgpr, 42
	.set _ZL44rocblas_set_matrix_zero_if_alpha_zero_kernelILi16ELi16EfPfEviiT1_lT2_lli.num_named_barrier, 0
	.set _ZL44rocblas_set_matrix_zero_if_alpha_zero_kernelILi16ELi16EfPfEviiT1_lT2_lli.private_seg_size, 0
	.set _ZL44rocblas_set_matrix_zero_if_alpha_zero_kernelILi16ELi16EfPfEviiT1_lT2_lli.uses_vcc, 1
	.set _ZL44rocblas_set_matrix_zero_if_alpha_zero_kernelILi16ELi16EfPfEviiT1_lT2_lli.uses_flat_scratch, 0
	.set _ZL44rocblas_set_matrix_zero_if_alpha_zero_kernelILi16ELi16EfPfEviiT1_lT2_lli.has_dyn_sized_stack, 0
	.set _ZL44rocblas_set_matrix_zero_if_alpha_zero_kernelILi16ELi16EfPfEviiT1_lT2_lli.has_recursion, 0
	.set _ZL44rocblas_set_matrix_zero_if_alpha_zero_kernelILi16ELi16EfPfEviiT1_lT2_lli.has_indirect_call, 0
	.section	.AMDGPU.csdata,"",@progbits
; Kernel info:
; codeLenInByte = 1396
; TotalNumSgprs: 44
; NumVgprs: 26
; ScratchSize: 0
; MemoryBound: 0
; FloatMode: 240
; IeeeMode: 1
; LDSByteSize: 0 bytes/workgroup (compile time only)
; SGPRBlocks: 0
; VGPRBlocks: 1
; NumSGPRsForWavesPerEU: 44
; NumVGPRsForWavesPerEU: 26
; NamedBarCnt: 0
; Occupancy: 16
; WaveLimiterHint : 0
; COMPUTE_PGM_RSRC2:SCRATCH_EN: 0
; COMPUTE_PGM_RSRC2:USER_SGPR: 2
; COMPUTE_PGM_RSRC2:TRAP_HANDLER: 0
; COMPUTE_PGM_RSRC2:TGID_X_EN: 1
; COMPUTE_PGM_RSRC2:TGID_Y_EN: 1
; COMPUTE_PGM_RSRC2:TGID_Z_EN: 1
; COMPUTE_PGM_RSRC2:TIDIG_COMP_CNT: 1
	.section	.text._ZL44rocblas_set_matrix_zero_if_alpha_zero_kernelILi16ELi16EPKdPdEviiT1_lT2_lli,"axG",@progbits,_ZL44rocblas_set_matrix_zero_if_alpha_zero_kernelILi16ELi16EPKdPdEviiT1_lT2_lli,comdat
	.globl	_ZL44rocblas_set_matrix_zero_if_alpha_zero_kernelILi16ELi16EPKdPdEviiT1_lT2_lli ; -- Begin function _ZL44rocblas_set_matrix_zero_if_alpha_zero_kernelILi16ELi16EPKdPdEviiT1_lT2_lli
	.p2align	8
	.type	_ZL44rocblas_set_matrix_zero_if_alpha_zero_kernelILi16ELi16EPKdPdEviiT1_lT2_lli,@function
_ZL44rocblas_set_matrix_zero_if_alpha_zero_kernelILi16ELi16EPKdPdEviiT1_lT2_lli: ; @_ZL44rocblas_set_matrix_zero_if_alpha_zero_kernelILi16ELi16EPKdPdEviiT1_lT2_lli
; %bb.0:
	s_load_b32 s18, s[0:1], 0x30
	s_bfe_u32 s2, ttmp6, 0x40014
	s_lshr_b32 s3, ttmp7, 16
	s_add_co_i32 s2, s2, 1
	s_bfe_u32 s5, ttmp6, 0x40008
	s_mul_i32 s4, s3, s2
	s_getreg_b32 s2, hwreg(HW_REG_IB_STS2, 6, 4)
	s_add_co_i32 s5, s5, s4
	s_cmp_eq_u32 s2, 0
	s_mov_b32 s13, 0
	s_cselect_b32 s12, s3, s5
	s_wait_kmcnt 0x0
	s_cmp_ge_u32 s12, s18
	s_cbranch_scc1 .LBB196_6
; %bb.1:
	s_load_b256 s[4:11], s[0:1], 0x8
	s_bfe_u32 s3, ttmp6, 0x40010
	s_bfe_u32 s15, ttmp6, 0x4000c
	s_and_b32 s14, ttmp7, 0xffff
	s_add_co_i32 s3, s3, 1
	s_add_co_i32 s15, s15, 1
	s_mul_i32 s3, s14, s3
	s_bfe_u32 s16, ttmp6, 0x40004
	s_and_b32 s17, ttmp6, 15
	s_mul_i32 s15, ttmp9, s15
	s_add_co_i32 s16, s16, s3
	s_add_co_i32 s17, s17, s15
	v_mov_b32_e32 v1, 0
	v_bfe_u32 v2, v0, 10, 10
	s_cmp_eq_u32 s2, 0
	v_and_b32_e32 v0, 0x3ff, v0
	s_cselect_b32 s2, s14, s16
	v_mov_b32_e32 v3, v1
	v_lshl_add_u32 v2, s2, 4, v2
	s_load_b64 s[2:3], s[0:1], 0x0
	s_cselect_b32 s14, ttmp9, s17
	s_load_b64 s[16:17], s[0:1], 0x28
	v_lshl_add_u32 v0, s14, 4, v0
	s_wait_kmcnt 0x0
	v_mul_u64_e32 v[4:5], s[10:11], v[2:3]
	s_add_nc_u64 s[0:1], s[0:1], 56
	s_delay_alu instid0(VALU_DEP_2)
	v_lshlrev_b64_e32 v[6:7], 3, v[0:1]
	s_ashr_i32 s21, s2, 31
	s_mov_b32 s20, s2
	s_ashr_i32 s15, s3, 31
	s_mov_b32 s14, s3
	v_cmp_gt_i64_e32 vcc_lo, s[20:21], v[0:1]
	v_cmp_gt_i64_e64 s2, s[14:15], v[2:3]
	s_and_b32 s19, s2, vcc_lo
	s_lshl_b64 s[2:3], s[16:17], 3
	v_lshl_add_u64 v[4:5], v[4:5], 3, v[6:7]
	v_mov_b64_e32 v[6:7], 0
	s_delay_alu instid0(VALU_DEP_2)
	v_add_nc_u64_e32 v[4:5], s[8:9], v[4:5]
	s_lshl_b64 s[8:9], s[10:11], 3
	s_branch .LBB196_3
.LBB196_2:                              ;   in Loop: Header=BB196_3 Depth=1
	s_or_b32 exec_lo, exec_lo, s20
	s_add_co_i32 s12, s12, 0x10000
	s_delay_alu instid0(SALU_CYCLE_1)
	s_cmp_lt_u32 s12, s18
	s_cbranch_scc0 .LBB196_6
.LBB196_3:                              ; =>This Loop Header: Depth=1
                                        ;     Child Loop BB196_5 Depth 2
	s_mul_u64 s[10:11], s[6:7], s[12:13]
	s_delay_alu instid0(SALU_CYCLE_1) | instskip(NEXT) | instid1(SALU_CYCLE_1)
	s_lshl_b64 s[10:11], s[10:11], 3
	s_add_nc_u64 s[10:11], s[4:5], s[10:11]
	global_load_b64 v[8:9], v1, s[10:11]
	s_wait_loadcnt 0x0
	v_cmp_eq_f64_e32 vcc_lo, 0, v[8:9]
	s_wait_xcnt 0x0
	s_and_b32 s10, vcc_lo, s19
	s_delay_alu instid0(SALU_CYCLE_1)
	s_and_saveexec_b32 s20, s10
	s_cbranch_execz .LBB196_2
; %bb.4:                                ;   in Loop: Header=BB196_3 Depth=1
	s_load_b32 s10, s[0:1], 0x4
	v_mad_nc_u64_u32 v[8:9], s2, s12, v[4:5]
	v_mov_b64_e32 v[10:11], v[2:3]
	s_mov_b32 s11, s13
	s_mov_b32 s21, 0
	s_delay_alu instid0(VALU_DEP_2) | instskip(SKIP_2) | instid1(SALU_CYCLE_1)
	v_mad_u32 v9, s3, s12, v9
	s_wait_kmcnt 0x0
	s_lshl_b32 s10, s10, 4
	s_mul_u64 s[16:17], s[8:9], s[10:11]
.LBB196_5:                              ;   Parent Loop BB196_3 Depth=1
                                        ; =>  This Inner Loop Header: Depth=2
	v_add_nc_u64_e32 v[10:11], s[10:11], v[10:11]
	global_store_b64 v[8:9], v[6:7], off
	s_wait_xcnt 0x0
	v_add_nc_u64_e32 v[8:9], s[16:17], v[8:9]
	v_cmp_le_i64_e32 vcc_lo, s[14:15], v[10:11]
	s_or_b32 s21, vcc_lo, s21
	s_delay_alu instid0(SALU_CYCLE_1)
	s_and_not1_b32 exec_lo, exec_lo, s21
	s_cbranch_execnz .LBB196_5
	s_branch .LBB196_2
.LBB196_6:
	s_endpgm
	.section	.rodata,"a",@progbits
	.p2align	6, 0x0
	.amdhsa_kernel _ZL44rocblas_set_matrix_zero_if_alpha_zero_kernelILi16ELi16EPKdPdEviiT1_lT2_lli
		.amdhsa_group_segment_fixed_size 0
		.amdhsa_private_segment_fixed_size 0
		.amdhsa_kernarg_size 312
		.amdhsa_user_sgpr_count 2
		.amdhsa_user_sgpr_dispatch_ptr 0
		.amdhsa_user_sgpr_queue_ptr 0
		.amdhsa_user_sgpr_kernarg_segment_ptr 1
		.amdhsa_user_sgpr_dispatch_id 0
		.amdhsa_user_sgpr_kernarg_preload_length 0
		.amdhsa_user_sgpr_kernarg_preload_offset 0
		.amdhsa_user_sgpr_private_segment_size 0
		.amdhsa_wavefront_size32 1
		.amdhsa_uses_dynamic_stack 0
		.amdhsa_enable_private_segment 0
		.amdhsa_system_sgpr_workgroup_id_x 1
		.amdhsa_system_sgpr_workgroup_id_y 1
		.amdhsa_system_sgpr_workgroup_id_z 1
		.amdhsa_system_sgpr_workgroup_info 0
		.amdhsa_system_vgpr_workitem_id 1
		.amdhsa_next_free_vgpr 12
		.amdhsa_next_free_sgpr 22
		.amdhsa_named_barrier_count 0
		.amdhsa_reserve_vcc 1
		.amdhsa_float_round_mode_32 0
		.amdhsa_float_round_mode_16_64 0
		.amdhsa_float_denorm_mode_32 3
		.amdhsa_float_denorm_mode_16_64 3
		.amdhsa_fp16_overflow 0
		.amdhsa_memory_ordered 1
		.amdhsa_forward_progress 1
		.amdhsa_inst_pref_size 4
		.amdhsa_round_robin_scheduling 0
		.amdhsa_exception_fp_ieee_invalid_op 0
		.amdhsa_exception_fp_denorm_src 0
		.amdhsa_exception_fp_ieee_div_zero 0
		.amdhsa_exception_fp_ieee_overflow 0
		.amdhsa_exception_fp_ieee_underflow 0
		.amdhsa_exception_fp_ieee_inexact 0
		.amdhsa_exception_int_div_zero 0
	.end_amdhsa_kernel
	.section	.text._ZL44rocblas_set_matrix_zero_if_alpha_zero_kernelILi16ELi16EPKdPdEviiT1_lT2_lli,"axG",@progbits,_ZL44rocblas_set_matrix_zero_if_alpha_zero_kernelILi16ELi16EPKdPdEviiT1_lT2_lli,comdat
.Lfunc_end196:
	.size	_ZL44rocblas_set_matrix_zero_if_alpha_zero_kernelILi16ELi16EPKdPdEviiT1_lT2_lli, .Lfunc_end196-_ZL44rocblas_set_matrix_zero_if_alpha_zero_kernelILi16ELi16EPKdPdEviiT1_lT2_lli
                                        ; -- End function
	.set _ZL44rocblas_set_matrix_zero_if_alpha_zero_kernelILi16ELi16EPKdPdEviiT1_lT2_lli.num_vgpr, 12
	.set _ZL44rocblas_set_matrix_zero_if_alpha_zero_kernelILi16ELi16EPKdPdEviiT1_lT2_lli.num_agpr, 0
	.set _ZL44rocblas_set_matrix_zero_if_alpha_zero_kernelILi16ELi16EPKdPdEviiT1_lT2_lli.numbered_sgpr, 22
	.set _ZL44rocblas_set_matrix_zero_if_alpha_zero_kernelILi16ELi16EPKdPdEviiT1_lT2_lli.num_named_barrier, 0
	.set _ZL44rocblas_set_matrix_zero_if_alpha_zero_kernelILi16ELi16EPKdPdEviiT1_lT2_lli.private_seg_size, 0
	.set _ZL44rocblas_set_matrix_zero_if_alpha_zero_kernelILi16ELi16EPKdPdEviiT1_lT2_lli.uses_vcc, 1
	.set _ZL44rocblas_set_matrix_zero_if_alpha_zero_kernelILi16ELi16EPKdPdEviiT1_lT2_lli.uses_flat_scratch, 0
	.set _ZL44rocblas_set_matrix_zero_if_alpha_zero_kernelILi16ELi16EPKdPdEviiT1_lT2_lli.has_dyn_sized_stack, 0
	.set _ZL44rocblas_set_matrix_zero_if_alpha_zero_kernelILi16ELi16EPKdPdEviiT1_lT2_lli.has_recursion, 0
	.set _ZL44rocblas_set_matrix_zero_if_alpha_zero_kernelILi16ELi16EPKdPdEviiT1_lT2_lli.has_indirect_call, 0
	.section	.AMDGPU.csdata,"",@progbits
; Kernel info:
; codeLenInByte = 472
; TotalNumSgprs: 24
; NumVgprs: 12
; ScratchSize: 0
; MemoryBound: 0
; FloatMode: 240
; IeeeMode: 1
; LDSByteSize: 0 bytes/workgroup (compile time only)
; SGPRBlocks: 0
; VGPRBlocks: 0
; NumSGPRsForWavesPerEU: 24
; NumVGPRsForWavesPerEU: 12
; NamedBarCnt: 0
; Occupancy: 16
; WaveLimiterHint : 0
; COMPUTE_PGM_RSRC2:SCRATCH_EN: 0
; COMPUTE_PGM_RSRC2:USER_SGPR: 2
; COMPUTE_PGM_RSRC2:TRAP_HANDLER: 0
; COMPUTE_PGM_RSRC2:TGID_X_EN: 1
; COMPUTE_PGM_RSRC2:TGID_Y_EN: 1
; COMPUTE_PGM_RSRC2:TGID_Z_EN: 1
; COMPUTE_PGM_RSRC2:TIDIG_COMP_CNT: 1
	.section	.text._ZL44rocblas_set_matrix_zero_if_alpha_zero_kernelILi16ELi16EdPdEviiT1_lT2_lli,"axG",@progbits,_ZL44rocblas_set_matrix_zero_if_alpha_zero_kernelILi16ELi16EdPdEviiT1_lT2_lli,comdat
	.globl	_ZL44rocblas_set_matrix_zero_if_alpha_zero_kernelILi16ELi16EdPdEviiT1_lT2_lli ; -- Begin function _ZL44rocblas_set_matrix_zero_if_alpha_zero_kernelILi16ELi16EdPdEviiT1_lT2_lli
	.p2align	8
	.type	_ZL44rocblas_set_matrix_zero_if_alpha_zero_kernelILi16ELi16EdPdEviiT1_lT2_lli,@function
_ZL44rocblas_set_matrix_zero_if_alpha_zero_kernelILi16ELi16EdPdEviiT1_lT2_lli: ; @_ZL44rocblas_set_matrix_zero_if_alpha_zero_kernelILi16ELi16EdPdEviiT1_lT2_lli
; %bb.0:
	s_load_b32 s12, s[0:1], 0x30
	s_bfe_u32 s2, ttmp6, 0x40014
	s_lshr_b32 s3, ttmp7, 16
	s_add_co_i32 s2, s2, 1
	s_bfe_u32 s5, ttmp6, 0x40008
	s_mul_i32 s4, s3, s2
	s_getreg_b32 s2, hwreg(HW_REG_IB_STS2, 6, 4)
	s_add_co_i32 s5, s5, s4
	s_cmp_eq_u32 s2, 0
	s_cselect_b32 s13, s3, s5
	s_mov_b32 s3, 0
	s_wait_kmcnt 0x0
	s_cmp_ge_u32 s13, s12
	s_cbranch_scc1 .LBB197_6
; %bb.1:
	s_bfe_u32 s4, ttmp6, 0x40010
	s_bfe_u32 s16, ttmp6, 0x4000c
	s_add_co_i32 s15, s4, 1
	s_clause 0x1
	s_load_b128 s[8:11], s[0:1], 0x0
	s_load_b128 s[4:7], s[0:1], 0x18
	s_and_b32 s14, ttmp7, 0xffff
	s_add_co_i32 s16, s16, 1
	s_mul_i32 s15, s14, s15
	s_bfe_u32 s17, ttmp6, 0x40004
	s_and_b32 s18, ttmp6, 15
	s_mul_i32 s16, ttmp9, s16
	s_add_co_i32 s17, s17, s15
	s_add_co_i32 s18, s18, s16
	v_mov_b32_e32 v1, 0
	v_bfe_u32 v2, v0, 10, 10
	s_cmp_eq_u32 s2, 0
	v_and_b32_e32 v0, 0x3ff, v0
	s_cselect_b32 s2, s14, s17
	v_mov_b32_e32 v3, v1
	v_lshl_add_u32 v2, s2, 4, v2
	s_cselect_b32 s2, ttmp9, s18
	s_load_b64 s[16:17], s[0:1], 0x28
	v_lshl_add_u32 v0, s2, 4, v0
	s_wait_kmcnt 0x0
	v_cmp_eq_f64_e64 s19, s[10:11], 0
	v_mul_u64_e32 v[4:5], s[6:7], v[2:3]
	s_ashr_i32 s15, s8, 31
	s_mov_b32 s14, s8
	v_lshlrev_b64_e32 v[6:7], 3, v[0:1]
	s_ashr_i32 s11, s9, 31
	s_mov_b32 s10, s9
	v_cmp_gt_i64_e32 vcc_lo, s[14:15], v[0:1]
	v_cmp_gt_i64_e64 s2, s[10:11], v[2:3]
	s_add_nc_u64 s[0:1], s[0:1], 56
	s_lshl_b64 s[6:7], s[6:7], 3
	s_and_b32 s2, s2, vcc_lo
	s_delay_alu instid0(SALU_CYCLE_1) | instskip(SKIP_2) | instid1(VALU_DEP_2)
	s_and_b32 s14, s2, s19
	v_lshl_add_u64 v[0:1], v[4:5], 3, v[6:7]
	v_mov_b64_e32 v[4:5], 0
	v_add_nc_u64_e32 v[0:1], s[4:5], v[0:1]
	s_lshl_b64 s[4:5], s[16:17], 3
	s_branch .LBB197_3
.LBB197_2:                              ;   in Loop: Header=BB197_3 Depth=1
	s_or_b32 exec_lo, exec_lo, s15
	s_add_co_i32 s13, s13, 0x10000
	s_delay_alu instid0(SALU_CYCLE_1)
	s_cmp_lt_u32 s13, s12
	s_cbranch_scc0 .LBB197_6
.LBB197_3:                              ; =>This Loop Header: Depth=1
                                        ;     Child Loop BB197_5 Depth 2
	s_and_saveexec_b32 s15, s14
	s_cbranch_execz .LBB197_2
; %bb.4:                                ;   in Loop: Header=BB197_3 Depth=1
	s_load_b32 s2, s[0:1], 0x4
	s_delay_alu instid0(VALU_DEP_1) | instskip(SKIP_2) | instid1(VALU_DEP_2)
	v_mad_nc_u64_u32 v[6:7], s4, s13, v[0:1]
	v_mov_b64_e32 v[8:9], v[2:3]
	s_mov_b32 s16, 0
	v_mad_u32 v7, s5, s13, v7
	s_wait_kmcnt 0x0
	s_lshl_b32 s2, s2, 4
	s_delay_alu instid0(SALU_CYCLE_1)
	s_mul_u64 s[8:9], s[6:7], s[2:3]
.LBB197_5:                              ;   Parent Loop BB197_3 Depth=1
                                        ; =>  This Inner Loop Header: Depth=2
	s_delay_alu instid0(VALU_DEP_2)
	v_add_nc_u64_e32 v[8:9], s[2:3], v[8:9]
	global_store_b64 v[6:7], v[4:5], off
	s_wait_xcnt 0x0
	v_add_nc_u64_e32 v[6:7], s[8:9], v[6:7]
	v_cmp_le_i64_e32 vcc_lo, s[10:11], v[8:9]
	s_or_b32 s16, vcc_lo, s16
	s_delay_alu instid0(SALU_CYCLE_1)
	s_and_not1_b32 exec_lo, exec_lo, s16
	s_cbranch_execnz .LBB197_5
	s_branch .LBB197_2
.LBB197_6:
	s_endpgm
	.section	.rodata,"a",@progbits
	.p2align	6, 0x0
	.amdhsa_kernel _ZL44rocblas_set_matrix_zero_if_alpha_zero_kernelILi16ELi16EdPdEviiT1_lT2_lli
		.amdhsa_group_segment_fixed_size 0
		.amdhsa_private_segment_fixed_size 0
		.amdhsa_kernarg_size 312
		.amdhsa_user_sgpr_count 2
		.amdhsa_user_sgpr_dispatch_ptr 0
		.amdhsa_user_sgpr_queue_ptr 0
		.amdhsa_user_sgpr_kernarg_segment_ptr 1
		.amdhsa_user_sgpr_dispatch_id 0
		.amdhsa_user_sgpr_kernarg_preload_length 0
		.amdhsa_user_sgpr_kernarg_preload_offset 0
		.amdhsa_user_sgpr_private_segment_size 0
		.amdhsa_wavefront_size32 1
		.amdhsa_uses_dynamic_stack 0
		.amdhsa_enable_private_segment 0
		.amdhsa_system_sgpr_workgroup_id_x 1
		.amdhsa_system_sgpr_workgroup_id_y 1
		.amdhsa_system_sgpr_workgroup_id_z 1
		.amdhsa_system_sgpr_workgroup_info 0
		.amdhsa_system_vgpr_workitem_id 1
		.amdhsa_next_free_vgpr 10
		.amdhsa_next_free_sgpr 20
		.amdhsa_named_barrier_count 0
		.amdhsa_reserve_vcc 1
		.amdhsa_float_round_mode_32 0
		.amdhsa_float_round_mode_16_64 0
		.amdhsa_float_denorm_mode_32 3
		.amdhsa_float_denorm_mode_16_64 3
		.amdhsa_fp16_overflow 0
		.amdhsa_memory_ordered 1
		.amdhsa_forward_progress 1
		.amdhsa_inst_pref_size 4
		.amdhsa_round_robin_scheduling 0
		.amdhsa_exception_fp_ieee_invalid_op 0
		.amdhsa_exception_fp_denorm_src 0
		.amdhsa_exception_fp_ieee_div_zero 0
		.amdhsa_exception_fp_ieee_overflow 0
		.amdhsa_exception_fp_ieee_underflow 0
		.amdhsa_exception_fp_ieee_inexact 0
		.amdhsa_exception_int_div_zero 0
	.end_amdhsa_kernel
	.section	.text._ZL44rocblas_set_matrix_zero_if_alpha_zero_kernelILi16ELi16EdPdEviiT1_lT2_lli,"axG",@progbits,_ZL44rocblas_set_matrix_zero_if_alpha_zero_kernelILi16ELi16EdPdEviiT1_lT2_lli,comdat
.Lfunc_end197:
	.size	_ZL44rocblas_set_matrix_zero_if_alpha_zero_kernelILi16ELi16EdPdEviiT1_lT2_lli, .Lfunc_end197-_ZL44rocblas_set_matrix_zero_if_alpha_zero_kernelILi16ELi16EdPdEviiT1_lT2_lli
                                        ; -- End function
	.set _ZL44rocblas_set_matrix_zero_if_alpha_zero_kernelILi16ELi16EdPdEviiT1_lT2_lli.num_vgpr, 10
	.set _ZL44rocblas_set_matrix_zero_if_alpha_zero_kernelILi16ELi16EdPdEviiT1_lT2_lli.num_agpr, 0
	.set _ZL44rocblas_set_matrix_zero_if_alpha_zero_kernelILi16ELi16EdPdEviiT1_lT2_lli.numbered_sgpr, 20
	.set _ZL44rocblas_set_matrix_zero_if_alpha_zero_kernelILi16ELi16EdPdEviiT1_lT2_lli.num_named_barrier, 0
	.set _ZL44rocblas_set_matrix_zero_if_alpha_zero_kernelILi16ELi16EdPdEviiT1_lT2_lli.private_seg_size, 0
	.set _ZL44rocblas_set_matrix_zero_if_alpha_zero_kernelILi16ELi16EdPdEviiT1_lT2_lli.uses_vcc, 1
	.set _ZL44rocblas_set_matrix_zero_if_alpha_zero_kernelILi16ELi16EdPdEviiT1_lT2_lli.uses_flat_scratch, 0
	.set _ZL44rocblas_set_matrix_zero_if_alpha_zero_kernelILi16ELi16EdPdEviiT1_lT2_lli.has_dyn_sized_stack, 0
	.set _ZL44rocblas_set_matrix_zero_if_alpha_zero_kernelILi16ELi16EdPdEviiT1_lT2_lli.has_recursion, 0
	.set _ZL44rocblas_set_matrix_zero_if_alpha_zero_kernelILi16ELi16EdPdEviiT1_lT2_lli.has_indirect_call, 0
	.section	.AMDGPU.csdata,"",@progbits
; Kernel info:
; codeLenInByte = 440
; TotalNumSgprs: 22
; NumVgprs: 10
; ScratchSize: 0
; MemoryBound: 0
; FloatMode: 240
; IeeeMode: 1
; LDSByteSize: 0 bytes/workgroup (compile time only)
; SGPRBlocks: 0
; VGPRBlocks: 0
; NumSGPRsForWavesPerEU: 22
; NumVGPRsForWavesPerEU: 10
; NamedBarCnt: 0
; Occupancy: 16
; WaveLimiterHint : 0
; COMPUTE_PGM_RSRC2:SCRATCH_EN: 0
; COMPUTE_PGM_RSRC2:USER_SGPR: 2
; COMPUTE_PGM_RSRC2:TRAP_HANDLER: 0
; COMPUTE_PGM_RSRC2:TGID_X_EN: 1
; COMPUTE_PGM_RSRC2:TGID_Y_EN: 1
; COMPUTE_PGM_RSRC2:TGID_Z_EN: 1
; COMPUTE_PGM_RSRC2:TIDIG_COMP_CNT: 1
	.section	.text._ZL44rocblas_set_matrix_zero_if_alpha_zero_kernelILi16ELi16EPKdPKPdEviiT1_lT2_lli,"axG",@progbits,_ZL44rocblas_set_matrix_zero_if_alpha_zero_kernelILi16ELi16EPKdPKPdEviiT1_lT2_lli,comdat
	.globl	_ZL44rocblas_set_matrix_zero_if_alpha_zero_kernelILi16ELi16EPKdPKPdEviiT1_lT2_lli ; -- Begin function _ZL44rocblas_set_matrix_zero_if_alpha_zero_kernelILi16ELi16EPKdPKPdEviiT1_lT2_lli
	.p2align	8
	.type	_ZL44rocblas_set_matrix_zero_if_alpha_zero_kernelILi16ELi16EPKdPKPdEviiT1_lT2_lli,@function
_ZL44rocblas_set_matrix_zero_if_alpha_zero_kernelILi16ELi16EPKdPKPdEviiT1_lT2_lli: ; @_ZL44rocblas_set_matrix_zero_if_alpha_zero_kernelILi16ELi16EPKdPKPdEviiT1_lT2_lli
; %bb.0:
	s_load_b32 s18, s[0:1], 0x30
	s_bfe_u32 s2, ttmp6, 0x40014
	s_lshr_b32 s3, ttmp7, 16
	s_add_co_i32 s2, s2, 1
	s_bfe_u32 s5, ttmp6, 0x40008
	s_mul_i32 s4, s3, s2
	s_getreg_b32 s2, hwreg(HW_REG_IB_STS2, 6, 4)
	s_add_co_i32 s5, s5, s4
	s_cmp_eq_u32 s2, 0
	s_mov_b32 s13, 0
	s_cselect_b32 s12, s3, s5
	s_wait_kmcnt 0x0
	s_cmp_ge_u32 s12, s18
	s_cbranch_scc1 .LBB198_6
; %bb.1:
	s_load_b256 s[4:11], s[0:1], 0x8
	s_bfe_u32 s3, ttmp6, 0x40010
	s_bfe_u32 s15, ttmp6, 0x4000c
	s_and_b32 s14, ttmp7, 0xffff
	s_add_co_i32 s3, s3, 1
	s_add_co_i32 s15, s15, 1
	s_mul_i32 s3, s14, s3
	s_bfe_u32 s16, ttmp6, 0x40004
	s_and_b32 s17, ttmp6, 15
	s_mul_i32 s15, ttmp9, s15
	s_add_co_i32 s16, s16, s3
	s_add_co_i32 s15, s17, s15
	v_bfe_u32 v2, v0, 10, 10
	v_mov_b32_e32 v1, 0
	s_cmp_eq_u32 s2, 0
	v_and_b32_e32 v0, 0x3ff, v0
	s_cselect_b32 s2, s14, s16
	s_cselect_b32 s14, ttmp9, s15
	v_lshl_add_u32 v2, s2, 4, v2
	v_mov_b32_e32 v3, v1
	s_clause 0x1
	s_load_b64 s[2:3], s[0:1], 0x0
	s_load_b64 s[16:17], s[0:1], 0x28
	v_lshl_add_u32 v0, s14, 4, v0
	s_wait_xcnt 0x0
	s_add_nc_u64 s[0:1], s[0:1], 56
	s_wait_kmcnt 0x0
	v_mul_u64_e32 v[4:5], s[10:11], v[2:3]
	s_ashr_i32 s15, s2, 31
	s_mov_b32 s14, s2
	s_lshl_b64 s[16:17], s[16:17], 3
	v_cmp_gt_i64_e32 vcc_lo, s[14:15], v[0:1]
	s_ashr_i32 s15, s3, 31
	s_mov_b32 s14, s3
	s_delay_alu instid0(SALU_CYCLE_1) | instskip(SKIP_4) | instid1(VALU_DEP_2)
	v_cmp_gt_i64_e64 s2, s[14:15], v[2:3]
	s_and_b32 s19, s2, vcc_lo
	s_lshl_b64 s[2:3], s[10:11], 3
	v_lshl_add_u64 v[6:7], v[4:5], 3, s[16:17]
	v_mov_b64_e32 v[4:5], 0
	v_lshl_add_u64 v[6:7], v[0:1], 3, v[6:7]
	s_branch .LBB198_3
.LBB198_2:                              ;   in Loop: Header=BB198_3 Depth=1
	s_or_b32 exec_lo, exec_lo, s20
	s_add_co_i32 s12, s12, 0x10000
	s_delay_alu instid0(SALU_CYCLE_1)
	s_cmp_lt_u32 s12, s18
	s_cbranch_scc0 .LBB198_6
.LBB198_3:                              ; =>This Loop Header: Depth=1
                                        ;     Child Loop BB198_5 Depth 2
	s_mul_u64 s[10:11], s[6:7], s[12:13]
	s_delay_alu instid0(SALU_CYCLE_1) | instskip(NEXT) | instid1(SALU_CYCLE_1)
	s_lshl_b64 s[10:11], s[10:11], 3
	s_add_nc_u64 s[10:11], s[4:5], s[10:11]
	global_load_b64 v[8:9], v1, s[10:11]
	s_wait_loadcnt 0x0
	v_cmp_eq_f64_e32 vcc_lo, 0, v[8:9]
	s_wait_xcnt 0x0
	s_and_b32 s10, vcc_lo, s19
	s_delay_alu instid0(SALU_CYCLE_1)
	s_and_saveexec_b32 s20, s10
	s_cbranch_execz .LBB198_2
; %bb.4:                                ;   in Loop: Header=BB198_3 Depth=1
	s_lshl_b64 s[10:11], s[12:13], 3
	v_mov_b64_e32 v[10:11], v[2:3]
	s_add_nc_u64 s[10:11], s[8:9], s[10:11]
	s_load_b32 s21, s[0:1], 0x4
	s_load_b64 s[16:17], s[10:11], 0x0
	s_wait_xcnt 0x0
	s_mov_b32 s11, s13
	s_wait_kmcnt 0x0
	s_lshl_b32 s10, s21, 4
	v_add_nc_u64_e32 v[8:9], s[16:17], v[6:7]
	s_mul_u64 s[16:17], s[2:3], s[10:11]
	s_mov_b32 s21, 0
.LBB198_5:                              ;   Parent Loop BB198_3 Depth=1
                                        ; =>  This Inner Loop Header: Depth=2
	v_add_nc_u64_e32 v[10:11], s[10:11], v[10:11]
	flat_store_b64 v[8:9], v[4:5]
	s_wait_xcnt 0x0
	v_add_nc_u64_e32 v[8:9], s[16:17], v[8:9]
	v_cmp_le_i64_e32 vcc_lo, s[14:15], v[10:11]
	s_or_b32 s21, vcc_lo, s21
	s_delay_alu instid0(SALU_CYCLE_1)
	s_and_not1_b32 exec_lo, exec_lo, s21
	s_cbranch_execnz .LBB198_5
	s_branch .LBB198_2
.LBB198_6:
	s_endpgm
	.section	.rodata,"a",@progbits
	.p2align	6, 0x0
	.amdhsa_kernel _ZL44rocblas_set_matrix_zero_if_alpha_zero_kernelILi16ELi16EPKdPKPdEviiT1_lT2_lli
		.amdhsa_group_segment_fixed_size 0
		.amdhsa_private_segment_fixed_size 0
		.amdhsa_kernarg_size 312
		.amdhsa_user_sgpr_count 2
		.amdhsa_user_sgpr_dispatch_ptr 0
		.amdhsa_user_sgpr_queue_ptr 0
		.amdhsa_user_sgpr_kernarg_segment_ptr 1
		.amdhsa_user_sgpr_dispatch_id 0
		.amdhsa_user_sgpr_kernarg_preload_length 0
		.amdhsa_user_sgpr_kernarg_preload_offset 0
		.amdhsa_user_sgpr_private_segment_size 0
		.amdhsa_wavefront_size32 1
		.amdhsa_uses_dynamic_stack 0
		.amdhsa_enable_private_segment 0
		.amdhsa_system_sgpr_workgroup_id_x 1
		.amdhsa_system_sgpr_workgroup_id_y 1
		.amdhsa_system_sgpr_workgroup_id_z 1
		.amdhsa_system_sgpr_workgroup_info 0
		.amdhsa_system_vgpr_workitem_id 1
		.amdhsa_next_free_vgpr 12
		.amdhsa_next_free_sgpr 22
		.amdhsa_named_barrier_count 0
		.amdhsa_reserve_vcc 1
		.amdhsa_float_round_mode_32 0
		.amdhsa_float_round_mode_16_64 0
		.amdhsa_float_denorm_mode_32 3
		.amdhsa_float_denorm_mode_16_64 3
		.amdhsa_fp16_overflow 0
		.amdhsa_memory_ordered 1
		.amdhsa_forward_progress 1
		.amdhsa_inst_pref_size 4
		.amdhsa_round_robin_scheduling 0
		.amdhsa_exception_fp_ieee_invalid_op 0
		.amdhsa_exception_fp_denorm_src 0
		.amdhsa_exception_fp_ieee_div_zero 0
		.amdhsa_exception_fp_ieee_overflow 0
		.amdhsa_exception_fp_ieee_underflow 0
		.amdhsa_exception_fp_ieee_inexact 0
		.amdhsa_exception_int_div_zero 0
	.end_amdhsa_kernel
	.section	.text._ZL44rocblas_set_matrix_zero_if_alpha_zero_kernelILi16ELi16EPKdPKPdEviiT1_lT2_lli,"axG",@progbits,_ZL44rocblas_set_matrix_zero_if_alpha_zero_kernelILi16ELi16EPKdPKPdEviiT1_lT2_lli,comdat
.Lfunc_end198:
	.size	_ZL44rocblas_set_matrix_zero_if_alpha_zero_kernelILi16ELi16EPKdPKPdEviiT1_lT2_lli, .Lfunc_end198-_ZL44rocblas_set_matrix_zero_if_alpha_zero_kernelILi16ELi16EPKdPKPdEviiT1_lT2_lli
                                        ; -- End function
	.set _ZL44rocblas_set_matrix_zero_if_alpha_zero_kernelILi16ELi16EPKdPKPdEviiT1_lT2_lli.num_vgpr, 12
	.set _ZL44rocblas_set_matrix_zero_if_alpha_zero_kernelILi16ELi16EPKdPKPdEviiT1_lT2_lli.num_agpr, 0
	.set _ZL44rocblas_set_matrix_zero_if_alpha_zero_kernelILi16ELi16EPKdPKPdEviiT1_lT2_lli.numbered_sgpr, 22
	.set _ZL44rocblas_set_matrix_zero_if_alpha_zero_kernelILi16ELi16EPKdPKPdEviiT1_lT2_lli.num_named_barrier, 0
	.set _ZL44rocblas_set_matrix_zero_if_alpha_zero_kernelILi16ELi16EPKdPKPdEviiT1_lT2_lli.private_seg_size, 0
	.set _ZL44rocblas_set_matrix_zero_if_alpha_zero_kernelILi16ELi16EPKdPKPdEviiT1_lT2_lli.uses_vcc, 1
	.set _ZL44rocblas_set_matrix_zero_if_alpha_zero_kernelILi16ELi16EPKdPKPdEviiT1_lT2_lli.uses_flat_scratch, 0
	.set _ZL44rocblas_set_matrix_zero_if_alpha_zero_kernelILi16ELi16EPKdPKPdEviiT1_lT2_lli.has_dyn_sized_stack, 0
	.set _ZL44rocblas_set_matrix_zero_if_alpha_zero_kernelILi16ELi16EPKdPKPdEviiT1_lT2_lli.has_recursion, 0
	.set _ZL44rocblas_set_matrix_zero_if_alpha_zero_kernelILi16ELi16EPKdPKPdEviiT1_lT2_lli.has_indirect_call, 0
	.section	.AMDGPU.csdata,"",@progbits
; Kernel info:
; codeLenInByte = 480
; TotalNumSgprs: 24
; NumVgprs: 12
; ScratchSize: 0
; MemoryBound: 0
; FloatMode: 240
; IeeeMode: 1
; LDSByteSize: 0 bytes/workgroup (compile time only)
; SGPRBlocks: 0
; VGPRBlocks: 0
; NumSGPRsForWavesPerEU: 24
; NumVGPRsForWavesPerEU: 12
; NamedBarCnt: 0
; Occupancy: 16
; WaveLimiterHint : 0
; COMPUTE_PGM_RSRC2:SCRATCH_EN: 0
; COMPUTE_PGM_RSRC2:USER_SGPR: 2
; COMPUTE_PGM_RSRC2:TRAP_HANDLER: 0
; COMPUTE_PGM_RSRC2:TGID_X_EN: 1
; COMPUTE_PGM_RSRC2:TGID_Y_EN: 1
; COMPUTE_PGM_RSRC2:TGID_Z_EN: 1
; COMPUTE_PGM_RSRC2:TIDIG_COMP_CNT: 1
	.section	.text._ZL44rocblas_set_matrix_zero_if_alpha_zero_kernelILi16ELi16EdPKPdEviiT1_lT2_lli,"axG",@progbits,_ZL44rocblas_set_matrix_zero_if_alpha_zero_kernelILi16ELi16EdPKPdEviiT1_lT2_lli,comdat
	.globl	_ZL44rocblas_set_matrix_zero_if_alpha_zero_kernelILi16ELi16EdPKPdEviiT1_lT2_lli ; -- Begin function _ZL44rocblas_set_matrix_zero_if_alpha_zero_kernelILi16ELi16EdPKPdEviiT1_lT2_lli
	.p2align	8
	.type	_ZL44rocblas_set_matrix_zero_if_alpha_zero_kernelILi16ELi16EdPKPdEviiT1_lT2_lli,@function
_ZL44rocblas_set_matrix_zero_if_alpha_zero_kernelILi16ELi16EdPKPdEviiT1_lT2_lli: ; @_ZL44rocblas_set_matrix_zero_if_alpha_zero_kernelILi16ELi16EdPKPdEviiT1_lT2_lli
; %bb.0:
	s_load_b32 s12, s[0:1], 0x30
	s_bfe_u32 s2, ttmp6, 0x40014
	s_lshr_b32 s3, ttmp7, 16
	s_add_co_i32 s2, s2, 1
	s_bfe_u32 s5, ttmp6, 0x40008
	s_mul_i32 s4, s3, s2
	s_getreg_b32 s2, hwreg(HW_REG_IB_STS2, 6, 4)
	s_add_co_i32 s5, s5, s4
	s_cmp_eq_u32 s2, 0
	s_cselect_b32 s13, s3, s5
	s_mov_b32 s3, 0
	s_wait_kmcnt 0x0
	s_cmp_ge_u32 s13, s12
	s_cbranch_scc1 .LBB199_6
; %bb.1:
	s_bfe_u32 s4, ttmp6, 0x40010
	s_bfe_u32 s10, ttmp6, 0x4000c
	s_add_co_i32 s9, s4, 1
	s_clause 0x1
	s_load_b128 s[16:19], s[0:1], 0x0
	s_load_b128 s[4:7], s[0:1], 0x18
	s_and_b32 s8, ttmp7, 0xffff
	s_add_co_i32 s10, s10, 1
	s_mul_i32 s9, s8, s9
	s_bfe_u32 s11, ttmp6, 0x40004
	s_and_b32 s14, ttmp6, 15
	s_mul_i32 s10, ttmp9, s10
	s_add_co_i32 s11, s11, s9
	s_add_co_i32 s14, s14, s10
	v_bfe_u32 v1, v0, 10, 10
	v_mov_b32_e32 v5, 0
	s_cmp_eq_u32 s2, 0
	v_and_b32_e32 v0, 0x3ff, v0
	s_cselect_b32 s2, s8, s11
	s_load_b64 s[10:11], s[0:1], 0x28
	v_lshl_add_u32 v2, s2, 4, v1
	v_mov_b32_e32 v3, v5
	s_cselect_b32 s2, ttmp9, s14
	s_wait_xcnt 0x0
	s_add_nc_u64 s[0:1], s[0:1], 56
	s_wait_kmcnt 0x0
	v_cmp_eq_f64_e64 s18, s[18:19], 0
	v_lshl_add_u32 v4, s2, 4, v0
	v_mul_u64_e32 v[6:7], s[6:7], v[2:3]
	s_ashr_i32 s15, s16, 31
	s_mov_b32 s14, s16
	s_ashr_i32 s9, s17, 31
	s_mov_b32 s8, s17
	v_cmp_gt_i64_e32 vcc_lo, s[14:15], v[4:5]
	v_cmp_gt_i64_e64 s2, s[8:9], v[2:3]
	v_mov_b64_e32 v[0:1], 0
	s_lshl_b64 s[6:7], s[6:7], 3
	s_lshl_b64 s[10:11], s[10:11], 3
	s_and_b32 s2, s2, vcc_lo
	s_delay_alu instid0(SALU_CYCLE_1) | instskip(SKIP_1) | instid1(VALU_DEP_1)
	s_and_b32 s14, s2, s18
	v_lshl_add_u64 v[6:7], v[6:7], 3, s[10:11]
	v_lshl_add_u64 v[4:5], v[4:5], 3, v[6:7]
	s_branch .LBB199_3
.LBB199_2:                              ;   in Loop: Header=BB199_3 Depth=1
	s_or_b32 exec_lo, exec_lo, s15
	s_add_co_i32 s13, s13, 0x10000
	s_delay_alu instid0(SALU_CYCLE_1)
	s_cmp_lt_u32 s13, s12
	s_cbranch_scc0 .LBB199_6
.LBB199_3:                              ; =>This Loop Header: Depth=1
                                        ;     Child Loop BB199_5 Depth 2
	s_and_saveexec_b32 s15, s14
	s_cbranch_execz .LBB199_2
; %bb.4:                                ;   in Loop: Header=BB199_3 Depth=1
	s_load_b64 s[10:11], s[4:5], s13 offset:0x0 scale_offset
	s_load_b32 s2, s[0:1], 0x4
	v_mov_b64_e32 v[8:9], v[2:3]
	s_mov_b32 s16, 0
	s_wait_kmcnt 0x0
	v_add_nc_u64_e32 v[6:7], s[10:11], v[4:5]
	s_lshl_b32 s2, s2, 4
	s_delay_alu instid0(SALU_CYCLE_1)
	s_mul_u64 s[10:11], s[6:7], s[2:3]
.LBB199_5:                              ;   Parent Loop BB199_3 Depth=1
                                        ; =>  This Inner Loop Header: Depth=2
	s_delay_alu instid0(VALU_DEP_2)
	v_add_nc_u64_e32 v[8:9], s[2:3], v[8:9]
	flat_store_b64 v[6:7], v[0:1]
	s_wait_xcnt 0x0
	v_add_nc_u64_e32 v[6:7], s[10:11], v[6:7]
	v_cmp_le_i64_e32 vcc_lo, s[8:9], v[8:9]
	s_or_b32 s16, vcc_lo, s16
	s_delay_alu instid0(SALU_CYCLE_1)
	s_and_not1_b32 exec_lo, exec_lo, s16
	s_cbranch_execnz .LBB199_5
	s_branch .LBB199_2
.LBB199_6:
	s_endpgm
	.section	.rodata,"a",@progbits
	.p2align	6, 0x0
	.amdhsa_kernel _ZL44rocblas_set_matrix_zero_if_alpha_zero_kernelILi16ELi16EdPKPdEviiT1_lT2_lli
		.amdhsa_group_segment_fixed_size 0
		.amdhsa_private_segment_fixed_size 0
		.amdhsa_kernarg_size 312
		.amdhsa_user_sgpr_count 2
		.amdhsa_user_sgpr_dispatch_ptr 0
		.amdhsa_user_sgpr_queue_ptr 0
		.amdhsa_user_sgpr_kernarg_segment_ptr 1
		.amdhsa_user_sgpr_dispatch_id 0
		.amdhsa_user_sgpr_kernarg_preload_length 0
		.amdhsa_user_sgpr_kernarg_preload_offset 0
		.amdhsa_user_sgpr_private_segment_size 0
		.amdhsa_wavefront_size32 1
		.amdhsa_uses_dynamic_stack 0
		.amdhsa_enable_private_segment 0
		.amdhsa_system_sgpr_workgroup_id_x 1
		.amdhsa_system_sgpr_workgroup_id_y 1
		.amdhsa_system_sgpr_workgroup_id_z 1
		.amdhsa_system_sgpr_workgroup_info 0
		.amdhsa_system_vgpr_workitem_id 1
		.amdhsa_next_free_vgpr 10
		.amdhsa_next_free_sgpr 20
		.amdhsa_named_barrier_count 0
		.amdhsa_reserve_vcc 1
		.amdhsa_float_round_mode_32 0
		.amdhsa_float_round_mode_16_64 0
		.amdhsa_float_denorm_mode_32 3
		.amdhsa_float_denorm_mode_16_64 3
		.amdhsa_fp16_overflow 0
		.amdhsa_memory_ordered 1
		.amdhsa_forward_progress 1
		.amdhsa_inst_pref_size 4
		.amdhsa_round_robin_scheduling 0
		.amdhsa_exception_fp_ieee_invalid_op 0
		.amdhsa_exception_fp_denorm_src 0
		.amdhsa_exception_fp_ieee_div_zero 0
		.amdhsa_exception_fp_ieee_overflow 0
		.amdhsa_exception_fp_ieee_underflow 0
		.amdhsa_exception_fp_ieee_inexact 0
		.amdhsa_exception_int_div_zero 0
	.end_amdhsa_kernel
	.section	.text._ZL44rocblas_set_matrix_zero_if_alpha_zero_kernelILi16ELi16EdPKPdEviiT1_lT2_lli,"axG",@progbits,_ZL44rocblas_set_matrix_zero_if_alpha_zero_kernelILi16ELi16EdPKPdEviiT1_lT2_lli,comdat
.Lfunc_end199:
	.size	_ZL44rocblas_set_matrix_zero_if_alpha_zero_kernelILi16ELi16EdPKPdEviiT1_lT2_lli, .Lfunc_end199-_ZL44rocblas_set_matrix_zero_if_alpha_zero_kernelILi16ELi16EdPKPdEviiT1_lT2_lli
                                        ; -- End function
	.set _ZL44rocblas_set_matrix_zero_if_alpha_zero_kernelILi16ELi16EdPKPdEviiT1_lT2_lli.num_vgpr, 10
	.set _ZL44rocblas_set_matrix_zero_if_alpha_zero_kernelILi16ELi16EdPKPdEviiT1_lT2_lli.num_agpr, 0
	.set _ZL44rocblas_set_matrix_zero_if_alpha_zero_kernelILi16ELi16EdPKPdEviiT1_lT2_lli.numbered_sgpr, 20
	.set _ZL44rocblas_set_matrix_zero_if_alpha_zero_kernelILi16ELi16EdPKPdEviiT1_lT2_lli.num_named_barrier, 0
	.set _ZL44rocblas_set_matrix_zero_if_alpha_zero_kernelILi16ELi16EdPKPdEviiT1_lT2_lli.private_seg_size, 0
	.set _ZL44rocblas_set_matrix_zero_if_alpha_zero_kernelILi16ELi16EdPKPdEviiT1_lT2_lli.uses_vcc, 1
	.set _ZL44rocblas_set_matrix_zero_if_alpha_zero_kernelILi16ELi16EdPKPdEviiT1_lT2_lli.uses_flat_scratch, 0
	.set _ZL44rocblas_set_matrix_zero_if_alpha_zero_kernelILi16ELi16EdPKPdEviiT1_lT2_lli.has_dyn_sized_stack, 0
	.set _ZL44rocblas_set_matrix_zero_if_alpha_zero_kernelILi16ELi16EdPKPdEviiT1_lT2_lli.has_recursion, 0
	.set _ZL44rocblas_set_matrix_zero_if_alpha_zero_kernelILi16ELi16EdPKPdEviiT1_lT2_lli.has_indirect_call, 0
	.section	.AMDGPU.csdata,"",@progbits
; Kernel info:
; codeLenInByte = 436
; TotalNumSgprs: 22
; NumVgprs: 10
; ScratchSize: 0
; MemoryBound: 0
; FloatMode: 240
; IeeeMode: 1
; LDSByteSize: 0 bytes/workgroup (compile time only)
; SGPRBlocks: 0
; VGPRBlocks: 0
; NumSGPRsForWavesPerEU: 22
; NumVGPRsForWavesPerEU: 10
; NamedBarCnt: 0
; Occupancy: 16
; WaveLimiterHint : 0
; COMPUTE_PGM_RSRC2:SCRATCH_EN: 0
; COMPUTE_PGM_RSRC2:USER_SGPR: 2
; COMPUTE_PGM_RSRC2:TRAP_HANDLER: 0
; COMPUTE_PGM_RSRC2:TGID_X_EN: 1
; COMPUTE_PGM_RSRC2:TGID_Y_EN: 1
; COMPUTE_PGM_RSRC2:TGID_Z_EN: 1
; COMPUTE_PGM_RSRC2:TIDIG_COMP_CNT: 1
	.section	.text._ZL44rocblas_set_matrix_zero_if_alpha_zero_kernelILi16ELi16EPK19rocblas_complex_numIfEPKPS1_EviiT1_lT2_lli,"axG",@progbits,_ZL44rocblas_set_matrix_zero_if_alpha_zero_kernelILi16ELi16EPK19rocblas_complex_numIfEPKPS1_EviiT1_lT2_lli,comdat
	.globl	_ZL44rocblas_set_matrix_zero_if_alpha_zero_kernelILi16ELi16EPK19rocblas_complex_numIfEPKPS1_EviiT1_lT2_lli ; -- Begin function _ZL44rocblas_set_matrix_zero_if_alpha_zero_kernelILi16ELi16EPK19rocblas_complex_numIfEPKPS1_EviiT1_lT2_lli
	.p2align	8
	.type	_ZL44rocblas_set_matrix_zero_if_alpha_zero_kernelILi16ELi16EPK19rocblas_complex_numIfEPKPS1_EviiT1_lT2_lli,@function
_ZL44rocblas_set_matrix_zero_if_alpha_zero_kernelILi16ELi16EPK19rocblas_complex_numIfEPKPS1_EviiT1_lT2_lli: ; @_ZL44rocblas_set_matrix_zero_if_alpha_zero_kernelILi16ELi16EPK19rocblas_complex_numIfEPKPS1_EviiT1_lT2_lli
; %bb.0:
	s_load_b32 s20, s[0:1], 0x30
	s_bfe_u32 s2, ttmp6, 0x40014
	s_lshr_b32 s3, ttmp7, 16
	s_add_co_i32 s2, s2, 1
	s_bfe_u32 s5, ttmp6, 0x40008
	s_mul_i32 s4, s3, s2
	s_getreg_b32 s2, hwreg(HW_REG_IB_STS2, 6, 4)
	s_add_co_i32 s5, s5, s4
	s_cmp_eq_u32 s2, 0
	s_mov_b32 s13, 0
	s_cselect_b32 s12, s3, s5
	s_wait_kmcnt 0x0
	s_cmp_ge_u32 s12, s20
	s_cbranch_scc1 .LBB200_6
; %bb.1:
	s_load_b256 s[4:11], s[0:1], 0x8
	s_bfe_u32 s3, ttmp6, 0x40010
	s_bfe_u32 s15, ttmp6, 0x4000c
	s_and_b32 s14, ttmp7, 0xffff
	s_add_co_i32 s3, s3, 1
	s_add_co_i32 s15, s15, 1
	s_mul_i32 s3, s14, s3
	s_bfe_u32 s16, ttmp6, 0x40004
	s_and_b32 s17, ttmp6, 15
	s_mul_i32 s15, ttmp9, s15
	s_add_co_i32 s16, s16, s3
	s_add_co_i32 s15, s17, s15
	v_bfe_u32 v2, v0, 10, 10
	v_mov_b32_e32 v1, 0
	s_cmp_eq_u32 s2, 0
	v_and_b32_e32 v0, 0x3ff, v0
	s_cselect_b32 s2, s14, s16
	s_cselect_b32 s14, ttmp9, s15
	v_lshl_add_u32 v2, s2, 4, v2
	v_mov_b32_e32 v3, v1
	s_clause 0x1
	s_load_b64 s[2:3], s[0:1], 0x0
	s_load_b64 s[16:17], s[0:1], 0x28
	v_lshl_add_u32 v0, s14, 4, v0
	s_wait_xcnt 0x0
	s_add_nc_u64 s[0:1], s[0:1], 56
	s_wait_kmcnt 0x0
	v_mul_u64_e32 v[4:5], s[10:11], v[2:3]
	s_ashr_i32 s15, s2, 31
	s_mov_b32 s14, s2
	s_lshl_b64 s[16:17], s[16:17], 3
	v_cmp_gt_i64_e32 vcc_lo, s[14:15], v[0:1]
	s_ashr_i32 s15, s3, 31
	s_mov_b32 s14, s3
	s_delay_alu instid0(SALU_CYCLE_1) | instskip(SKIP_4) | instid1(VALU_DEP_2)
	v_cmp_gt_i64_e64 s2, s[14:15], v[2:3]
	s_and_b32 s21, s2, vcc_lo
	s_lshl_b64 s[2:3], s[10:11], 3
	v_lshl_add_u64 v[6:7], v[4:5], 3, s[16:17]
	v_mov_b64_e32 v[4:5], 0
	v_lshl_add_u64 v[6:7], v[0:1], 3, v[6:7]
	s_branch .LBB200_3
.LBB200_2:                              ;   in Loop: Header=BB200_3 Depth=1
	s_or_b32 exec_lo, exec_lo, s22
	s_add_co_i32 s12, s12, 0x10000
	s_delay_alu instid0(SALU_CYCLE_1)
	s_cmp_lt_u32 s12, s20
	s_cbranch_scc0 .LBB200_6
.LBB200_3:                              ; =>This Loop Header: Depth=1
                                        ;     Child Loop BB200_5 Depth 2
	s_mul_u64 s[10:11], s[6:7], s[12:13]
	s_delay_alu instid0(SALU_CYCLE_1) | instskip(NEXT) | instid1(SALU_CYCLE_1)
	s_lshl_b64 s[10:11], s[10:11], 3
	s_add_nc_u64 s[10:11], s[4:5], s[10:11]
	global_load_b64 v[8:9], v1, s[10:11]
	s_wait_loadcnt 0x0
	s_wait_xcnt 0x0
	v_readfirstlane_b32 s10, v8
	v_readfirstlane_b32 s11, v9
	s_cmp_eq_f32 s10, 0
	s_cselect_b32 s10, -1, 0
	s_cmp_eq_f32 s11, 0
	s_cselect_b32 s11, -1, 0
	s_delay_alu instid0(SALU_CYCLE_1) | instskip(NEXT) | instid1(SALU_CYCLE_1)
	s_and_b32 s10, s10, s11
	s_and_b32 s10, s10, s21
	s_delay_alu instid0(SALU_CYCLE_1)
	s_and_saveexec_b32 s22, s10
	s_cbranch_execz .LBB200_2
; %bb.4:                                ;   in Loop: Header=BB200_3 Depth=1
	s_load_b32 s10, s[0:1], 0x4
	v_mov_b64_e32 v[8:9], v[6:7]
	v_mov_b64_e32 v[10:11], v[2:3]
	s_lshl_b64 s[16:17], s[12:13], 3
	s_mov_b32 s11, s13
	s_add_nc_u64 s[16:17], s[8:9], s[16:17]
	s_mov_b32 s23, 0
	s_wait_kmcnt 0x0
	s_lshl_b32 s10, s10, 4
	s_delay_alu instid0(SALU_CYCLE_1)
	s_mul_u64 s[18:19], s[2:3], s[10:11]
.LBB200_5:                              ;   Parent Loop BB200_3 Depth=1
                                        ; =>  This Inner Loop Header: Depth=2
	global_load_b64 v[12:13], v1, s[16:17]
	v_add_nc_u64_e32 v[10:11], s[10:11], v[10:11]
	s_delay_alu instid0(VALU_DEP_1)
	v_cmp_le_i64_e32 vcc_lo, s[14:15], v[10:11]
	s_or_b32 s23, vcc_lo, s23
	s_wait_loadcnt 0x0
	v_add_nc_u64_e32 v[12:13], v[12:13], v[8:9]
	v_add_nc_u64_e32 v[8:9], s[18:19], v[8:9]
	flat_store_b64 v[12:13], v[4:5]
	s_wait_xcnt 0x0
	s_and_not1_b32 exec_lo, exec_lo, s23
	s_cbranch_execnz .LBB200_5
	s_branch .LBB200_2
.LBB200_6:
	s_endpgm
	.section	.rodata,"a",@progbits
	.p2align	6, 0x0
	.amdhsa_kernel _ZL44rocblas_set_matrix_zero_if_alpha_zero_kernelILi16ELi16EPK19rocblas_complex_numIfEPKPS1_EviiT1_lT2_lli
		.amdhsa_group_segment_fixed_size 0
		.amdhsa_private_segment_fixed_size 0
		.amdhsa_kernarg_size 312
		.amdhsa_user_sgpr_count 2
		.amdhsa_user_sgpr_dispatch_ptr 0
		.amdhsa_user_sgpr_queue_ptr 0
		.amdhsa_user_sgpr_kernarg_segment_ptr 1
		.amdhsa_user_sgpr_dispatch_id 0
		.amdhsa_user_sgpr_kernarg_preload_length 0
		.amdhsa_user_sgpr_kernarg_preload_offset 0
		.amdhsa_user_sgpr_private_segment_size 0
		.amdhsa_wavefront_size32 1
		.amdhsa_uses_dynamic_stack 0
		.amdhsa_enable_private_segment 0
		.amdhsa_system_sgpr_workgroup_id_x 1
		.amdhsa_system_sgpr_workgroup_id_y 1
		.amdhsa_system_sgpr_workgroup_id_z 1
		.amdhsa_system_sgpr_workgroup_info 0
		.amdhsa_system_vgpr_workitem_id 1
		.amdhsa_next_free_vgpr 14
		.amdhsa_next_free_sgpr 24
		.amdhsa_named_barrier_count 0
		.amdhsa_reserve_vcc 1
		.amdhsa_float_round_mode_32 0
		.amdhsa_float_round_mode_16_64 0
		.amdhsa_float_denorm_mode_32 3
		.amdhsa_float_denorm_mode_16_64 3
		.amdhsa_fp16_overflow 0
		.amdhsa_memory_ordered 1
		.amdhsa_forward_progress 1
		.amdhsa_inst_pref_size 5
		.amdhsa_round_robin_scheduling 0
		.amdhsa_exception_fp_ieee_invalid_op 0
		.amdhsa_exception_fp_denorm_src 0
		.amdhsa_exception_fp_ieee_div_zero 0
		.amdhsa_exception_fp_ieee_overflow 0
		.amdhsa_exception_fp_ieee_underflow 0
		.amdhsa_exception_fp_ieee_inexact 0
		.amdhsa_exception_int_div_zero 0
	.end_amdhsa_kernel
	.section	.text._ZL44rocblas_set_matrix_zero_if_alpha_zero_kernelILi16ELi16EPK19rocblas_complex_numIfEPKPS1_EviiT1_lT2_lli,"axG",@progbits,_ZL44rocblas_set_matrix_zero_if_alpha_zero_kernelILi16ELi16EPK19rocblas_complex_numIfEPKPS1_EviiT1_lT2_lli,comdat
.Lfunc_end200:
	.size	_ZL44rocblas_set_matrix_zero_if_alpha_zero_kernelILi16ELi16EPK19rocblas_complex_numIfEPKPS1_EviiT1_lT2_lli, .Lfunc_end200-_ZL44rocblas_set_matrix_zero_if_alpha_zero_kernelILi16ELi16EPK19rocblas_complex_numIfEPKPS1_EviiT1_lT2_lli
                                        ; -- End function
	.set _ZL44rocblas_set_matrix_zero_if_alpha_zero_kernelILi16ELi16EPK19rocblas_complex_numIfEPKPS1_EviiT1_lT2_lli.num_vgpr, 14
	.set _ZL44rocblas_set_matrix_zero_if_alpha_zero_kernelILi16ELi16EPK19rocblas_complex_numIfEPKPS1_EviiT1_lT2_lli.num_agpr, 0
	.set _ZL44rocblas_set_matrix_zero_if_alpha_zero_kernelILi16ELi16EPK19rocblas_complex_numIfEPKPS1_EviiT1_lT2_lli.numbered_sgpr, 24
	.set _ZL44rocblas_set_matrix_zero_if_alpha_zero_kernelILi16ELi16EPK19rocblas_complex_numIfEPKPS1_EviiT1_lT2_lli.num_named_barrier, 0
	.set _ZL44rocblas_set_matrix_zero_if_alpha_zero_kernelILi16ELi16EPK19rocblas_complex_numIfEPKPS1_EviiT1_lT2_lli.private_seg_size, 0
	.set _ZL44rocblas_set_matrix_zero_if_alpha_zero_kernelILi16ELi16EPK19rocblas_complex_numIfEPKPS1_EviiT1_lT2_lli.uses_vcc, 1
	.set _ZL44rocblas_set_matrix_zero_if_alpha_zero_kernelILi16ELi16EPK19rocblas_complex_numIfEPKPS1_EviiT1_lT2_lli.uses_flat_scratch, 0
	.set _ZL44rocblas_set_matrix_zero_if_alpha_zero_kernelILi16ELi16EPK19rocblas_complex_numIfEPKPS1_EviiT1_lT2_lli.has_dyn_sized_stack, 0
	.set _ZL44rocblas_set_matrix_zero_if_alpha_zero_kernelILi16ELi16EPK19rocblas_complex_numIfEPKPS1_EviiT1_lT2_lli.has_recursion, 0
	.set _ZL44rocblas_set_matrix_zero_if_alpha_zero_kernelILi16ELi16EPK19rocblas_complex_numIfEPKPS1_EviiT1_lT2_lli.has_indirect_call, 0
	.section	.AMDGPU.csdata,"",@progbits
; Kernel info:
; codeLenInByte = 520
; TotalNumSgprs: 26
; NumVgprs: 14
; ScratchSize: 0
; MemoryBound: 0
; FloatMode: 240
; IeeeMode: 1
; LDSByteSize: 0 bytes/workgroup (compile time only)
; SGPRBlocks: 0
; VGPRBlocks: 0
; NumSGPRsForWavesPerEU: 26
; NumVGPRsForWavesPerEU: 14
; NamedBarCnt: 0
; Occupancy: 16
; WaveLimiterHint : 1
; COMPUTE_PGM_RSRC2:SCRATCH_EN: 0
; COMPUTE_PGM_RSRC2:USER_SGPR: 2
; COMPUTE_PGM_RSRC2:TRAP_HANDLER: 0
; COMPUTE_PGM_RSRC2:TGID_X_EN: 1
; COMPUTE_PGM_RSRC2:TGID_Y_EN: 1
; COMPUTE_PGM_RSRC2:TGID_Z_EN: 1
; COMPUTE_PGM_RSRC2:TIDIG_COMP_CNT: 1
	.section	.text._ZL44rocblas_set_matrix_zero_if_alpha_zero_kernelILi16ELi16E19rocblas_complex_numIfEPKPS1_EviiT1_lT2_lli,"axG",@progbits,_ZL44rocblas_set_matrix_zero_if_alpha_zero_kernelILi16ELi16E19rocblas_complex_numIfEPKPS1_EviiT1_lT2_lli,comdat
	.globl	_ZL44rocblas_set_matrix_zero_if_alpha_zero_kernelILi16ELi16E19rocblas_complex_numIfEPKPS1_EviiT1_lT2_lli ; -- Begin function _ZL44rocblas_set_matrix_zero_if_alpha_zero_kernelILi16ELi16E19rocblas_complex_numIfEPKPS1_EviiT1_lT2_lli
	.p2align	8
	.type	_ZL44rocblas_set_matrix_zero_if_alpha_zero_kernelILi16ELi16E19rocblas_complex_numIfEPKPS1_EviiT1_lT2_lli,@function
_ZL44rocblas_set_matrix_zero_if_alpha_zero_kernelILi16ELi16E19rocblas_complex_numIfEPKPS1_EviiT1_lT2_lli: ; @_ZL44rocblas_set_matrix_zero_if_alpha_zero_kernelILi16ELi16E19rocblas_complex_numIfEPKPS1_EviiT1_lT2_lli
; %bb.0:
	s_load_b32 s16, s[0:1], 0x30
	s_bfe_u32 s2, ttmp6, 0x40014
	s_lshr_b32 s3, ttmp7, 16
	s_add_co_i32 s2, s2, 1
	s_bfe_u32 s5, ttmp6, 0x40008
	s_mul_i32 s4, s3, s2
	s_getreg_b32 s2, hwreg(HW_REG_IB_STS2, 6, 4)
	s_add_co_i32 s5, s5, s4
	s_cmp_eq_u32 s2, 0
	s_cselect_b32 s12, s3, s5
	s_mov_b32 s3, 0
	s_wait_kmcnt 0x0
	s_cmp_ge_u32 s12, s16
	s_cbranch_scc1 .LBB201_6
; %bb.1:
	s_clause 0x1
	s_load_b128 s[8:11], s[0:1], 0x0
	s_load_b128 s[4:7], s[0:1], 0x18
	v_mov_b32_e32 v1, 0
	v_bfe_u32 v2, v0, 10, 10
	v_and_b32_e32 v0, 0x3ff, v0
	s_delay_alu instid0(VALU_DEP_3)
	v_mov_b32_e32 v3, v1
	s_wait_kmcnt 0x0
	s_cmp_eq_f32 s10, 0
	s_cselect_b32 s10, -1, 0
	s_cmp_eq_f32 s11, 0
	s_cselect_b32 s11, -1, 0
	s_bfe_u32 s14, ttmp6, 0x40010
	s_bfe_u32 s18, ttmp6, 0x4000c
	s_and_b32 s13, ttmp7, 0xffff
	s_add_co_i32 s14, s14, 1
	s_add_co_i32 s18, s18, 1
	s_bfe_u32 s15, ttmp6, 0x40004
	s_and_b32 s17, ttmp6, 15
	s_and_b32 s20, s10, s11
	s_mul_i32 s10, s13, s14
	s_mul_i32 s11, ttmp9, s18
	s_add_co_i32 s15, s15, s10
	s_add_co_i32 s17, s17, s11
	s_cmp_eq_u32 s2, 0
	s_mov_b32 s10, s9
	s_cselect_b32 s2, s13, s15
	s_load_b64 s[14:15], s[0:1], 0x28
	v_lshl_add_u32 v2, s2, 4, v2
	s_cselect_b32 s2, ttmp9, s17
	s_ashr_i32 s11, s9, 31
	v_lshl_add_u32 v0, s2, 4, v0
	s_ashr_i32 s19, s8, 31
	v_mul_u64_e32 v[4:5], s[6:7], v[2:3]
	s_mov_b32 s18, s8
	v_cmp_gt_i64_e32 vcc_lo, s[10:11], v[2:3]
	v_cmp_gt_i64_e64 s2, s[18:19], v[0:1]
	s_wait_xcnt 0x0
	s_add_nc_u64 s[0:1], s[0:1], 56
	s_lshl_b64 s[6:7], s[6:7], 3
	s_wait_kmcnt 0x0
	s_lshl_b64 s[8:9], s[14:15], 3
	s_delay_alu instid0(SALU_CYCLE_1) | instskip(SKIP_2) | instid1(SALU_CYCLE_1)
	v_lshl_add_u64 v[6:7], v[4:5], 3, s[8:9]
	v_mov_b64_e32 v[4:5], 0
	s_and_b32 s8, vcc_lo, s20
	s_and_b32 s17, s8, s2
	s_delay_alu instid0(VALU_DEP_2)
	v_lshl_add_u64 v[6:7], v[0:1], 3, v[6:7]
	s_branch .LBB201_3
.LBB201_2:                              ;   in Loop: Header=BB201_3 Depth=1
	s_or_b32 exec_lo, exec_lo, s18
	s_add_co_i32 s12, s12, 0x10000
	s_delay_alu instid0(SALU_CYCLE_1)
	s_cmp_lt_u32 s12, s16
	s_cbranch_scc0 .LBB201_6
.LBB201_3:                              ; =>This Loop Header: Depth=1
                                        ;     Child Loop BB201_5 Depth 2
	s_and_saveexec_b32 s18, s17
	s_cbranch_execz .LBB201_2
; %bb.4:                                ;   in Loop: Header=BB201_3 Depth=1
	s_load_b32 s2, s[0:1], 0x4
	v_mov_b64_e32 v[8:9], v[6:7]
	v_mov_b64_e32 v[10:11], v[2:3]
	s_mov_b32 s13, s3
	s_delay_alu instid0(SALU_CYCLE_1) | instskip(SKIP_4) | instid1(SALU_CYCLE_1)
	s_lshl_b64 s[8:9], s[12:13], 3
	s_mov_b32 s13, 0
	s_add_nc_u64 s[8:9], s[4:5], s[8:9]
	s_wait_kmcnt 0x0
	s_lshl_b32 s2, s2, 4
	s_mul_u64 s[14:15], s[6:7], s[2:3]
.LBB201_5:                              ;   Parent Loop BB201_3 Depth=1
                                        ; =>  This Inner Loop Header: Depth=2
	global_load_b64 v[12:13], v1, s[8:9]
	v_add_nc_u64_e32 v[10:11], s[2:3], v[10:11]
	s_delay_alu instid0(VALU_DEP_1)
	v_cmp_le_i64_e32 vcc_lo, s[10:11], v[10:11]
	s_or_b32 s13, vcc_lo, s13
	s_wait_loadcnt 0x0
	v_add_nc_u64_e32 v[12:13], v[12:13], v[8:9]
	v_add_nc_u64_e32 v[8:9], s[14:15], v[8:9]
	flat_store_b64 v[12:13], v[4:5]
	s_wait_xcnt 0x0
	s_and_not1_b32 exec_lo, exec_lo, s13
	s_cbranch_execnz .LBB201_5
	s_branch .LBB201_2
.LBB201_6:
	s_endpgm
	.section	.rodata,"a",@progbits
	.p2align	6, 0x0
	.amdhsa_kernel _ZL44rocblas_set_matrix_zero_if_alpha_zero_kernelILi16ELi16E19rocblas_complex_numIfEPKPS1_EviiT1_lT2_lli
		.amdhsa_group_segment_fixed_size 0
		.amdhsa_private_segment_fixed_size 0
		.amdhsa_kernarg_size 312
		.amdhsa_user_sgpr_count 2
		.amdhsa_user_sgpr_dispatch_ptr 0
		.amdhsa_user_sgpr_queue_ptr 0
		.amdhsa_user_sgpr_kernarg_segment_ptr 1
		.amdhsa_user_sgpr_dispatch_id 0
		.amdhsa_user_sgpr_kernarg_preload_length 0
		.amdhsa_user_sgpr_kernarg_preload_offset 0
		.amdhsa_user_sgpr_private_segment_size 0
		.amdhsa_wavefront_size32 1
		.amdhsa_uses_dynamic_stack 0
		.amdhsa_enable_private_segment 0
		.amdhsa_system_sgpr_workgroup_id_x 1
		.amdhsa_system_sgpr_workgroup_id_y 1
		.amdhsa_system_sgpr_workgroup_id_z 1
		.amdhsa_system_sgpr_workgroup_info 0
		.amdhsa_system_vgpr_workitem_id 1
		.amdhsa_next_free_vgpr 14
		.amdhsa_next_free_sgpr 21
		.amdhsa_named_barrier_count 0
		.amdhsa_reserve_vcc 1
		.amdhsa_float_round_mode_32 0
		.amdhsa_float_round_mode_16_64 0
		.amdhsa_float_denorm_mode_32 3
		.amdhsa_float_denorm_mode_16_64 3
		.amdhsa_fp16_overflow 0
		.amdhsa_memory_ordered 1
		.amdhsa_forward_progress 1
		.amdhsa_inst_pref_size 4
		.amdhsa_round_robin_scheduling 0
		.amdhsa_exception_fp_ieee_invalid_op 0
		.amdhsa_exception_fp_denorm_src 0
		.amdhsa_exception_fp_ieee_div_zero 0
		.amdhsa_exception_fp_ieee_overflow 0
		.amdhsa_exception_fp_ieee_underflow 0
		.amdhsa_exception_fp_ieee_inexact 0
		.amdhsa_exception_int_div_zero 0
	.end_amdhsa_kernel
	.section	.text._ZL44rocblas_set_matrix_zero_if_alpha_zero_kernelILi16ELi16E19rocblas_complex_numIfEPKPS1_EviiT1_lT2_lli,"axG",@progbits,_ZL44rocblas_set_matrix_zero_if_alpha_zero_kernelILi16ELi16E19rocblas_complex_numIfEPKPS1_EviiT1_lT2_lli,comdat
.Lfunc_end201:
	.size	_ZL44rocblas_set_matrix_zero_if_alpha_zero_kernelILi16ELi16E19rocblas_complex_numIfEPKPS1_EviiT1_lT2_lli, .Lfunc_end201-_ZL44rocblas_set_matrix_zero_if_alpha_zero_kernelILi16ELi16E19rocblas_complex_numIfEPKPS1_EviiT1_lT2_lli
                                        ; -- End function
	.set _ZL44rocblas_set_matrix_zero_if_alpha_zero_kernelILi16ELi16E19rocblas_complex_numIfEPKPS1_EviiT1_lT2_lli.num_vgpr, 14
	.set _ZL44rocblas_set_matrix_zero_if_alpha_zero_kernelILi16ELi16E19rocblas_complex_numIfEPKPS1_EviiT1_lT2_lli.num_agpr, 0
	.set _ZL44rocblas_set_matrix_zero_if_alpha_zero_kernelILi16ELi16E19rocblas_complex_numIfEPKPS1_EviiT1_lT2_lli.numbered_sgpr, 21
	.set _ZL44rocblas_set_matrix_zero_if_alpha_zero_kernelILi16ELi16E19rocblas_complex_numIfEPKPS1_EviiT1_lT2_lli.num_named_barrier, 0
	.set _ZL44rocblas_set_matrix_zero_if_alpha_zero_kernelILi16ELi16E19rocblas_complex_numIfEPKPS1_EviiT1_lT2_lli.private_seg_size, 0
	.set _ZL44rocblas_set_matrix_zero_if_alpha_zero_kernelILi16ELi16E19rocblas_complex_numIfEPKPS1_EviiT1_lT2_lli.uses_vcc, 1
	.set _ZL44rocblas_set_matrix_zero_if_alpha_zero_kernelILi16ELi16E19rocblas_complex_numIfEPKPS1_EviiT1_lT2_lli.uses_flat_scratch, 0
	.set _ZL44rocblas_set_matrix_zero_if_alpha_zero_kernelILi16ELi16E19rocblas_complex_numIfEPKPS1_EviiT1_lT2_lli.has_dyn_sized_stack, 0
	.set _ZL44rocblas_set_matrix_zero_if_alpha_zero_kernelILi16ELi16E19rocblas_complex_numIfEPKPS1_EviiT1_lT2_lli.has_recursion, 0
	.set _ZL44rocblas_set_matrix_zero_if_alpha_zero_kernelILi16ELi16E19rocblas_complex_numIfEPKPS1_EviiT1_lT2_lli.has_indirect_call, 0
	.section	.AMDGPU.csdata,"",@progbits
; Kernel info:
; codeLenInByte = 480
; TotalNumSgprs: 23
; NumVgprs: 14
; ScratchSize: 0
; MemoryBound: 0
; FloatMode: 240
; IeeeMode: 1
; LDSByteSize: 0 bytes/workgroup (compile time only)
; SGPRBlocks: 0
; VGPRBlocks: 0
; NumSGPRsForWavesPerEU: 23
; NumVGPRsForWavesPerEU: 14
; NamedBarCnt: 0
; Occupancy: 16
; WaveLimiterHint : 1
; COMPUTE_PGM_RSRC2:SCRATCH_EN: 0
; COMPUTE_PGM_RSRC2:USER_SGPR: 2
; COMPUTE_PGM_RSRC2:TRAP_HANDLER: 0
; COMPUTE_PGM_RSRC2:TGID_X_EN: 1
; COMPUTE_PGM_RSRC2:TGID_Y_EN: 1
; COMPUTE_PGM_RSRC2:TGID_Z_EN: 1
; COMPUTE_PGM_RSRC2:TIDIG_COMP_CNT: 1
	.section	.text._ZL44rocblas_set_matrix_zero_if_alpha_zero_kernelILi16ELi16EPK19rocblas_complex_numIfEPS1_EviiT1_lT2_lli,"axG",@progbits,_ZL44rocblas_set_matrix_zero_if_alpha_zero_kernelILi16ELi16EPK19rocblas_complex_numIfEPS1_EviiT1_lT2_lli,comdat
	.globl	_ZL44rocblas_set_matrix_zero_if_alpha_zero_kernelILi16ELi16EPK19rocblas_complex_numIfEPS1_EviiT1_lT2_lli ; -- Begin function _ZL44rocblas_set_matrix_zero_if_alpha_zero_kernelILi16ELi16EPK19rocblas_complex_numIfEPS1_EviiT1_lT2_lli
	.p2align	8
	.type	_ZL44rocblas_set_matrix_zero_if_alpha_zero_kernelILi16ELi16EPK19rocblas_complex_numIfEPS1_EviiT1_lT2_lli,@function
_ZL44rocblas_set_matrix_zero_if_alpha_zero_kernelILi16ELi16EPK19rocblas_complex_numIfEPS1_EviiT1_lT2_lli: ; @_ZL44rocblas_set_matrix_zero_if_alpha_zero_kernelILi16ELi16EPK19rocblas_complex_numIfEPS1_EviiT1_lT2_lli
; %bb.0:
	s_load_b32 s18, s[0:1], 0x30
	s_bfe_u32 s2, ttmp6, 0x40014
	s_lshr_b32 s3, ttmp7, 16
	s_add_co_i32 s2, s2, 1
	s_bfe_u32 s5, ttmp6, 0x40008
	s_mul_i32 s4, s3, s2
	s_getreg_b32 s2, hwreg(HW_REG_IB_STS2, 6, 4)
	s_add_co_i32 s5, s5, s4
	s_cmp_eq_u32 s2, 0
	s_mov_b32 s13, 0
	s_cselect_b32 s12, s3, s5
	s_wait_kmcnt 0x0
	s_cmp_ge_u32 s12, s18
	s_cbranch_scc1 .LBB202_6
; %bb.1:
	s_load_b256 s[4:11], s[0:1], 0x8
	s_bfe_u32 s3, ttmp6, 0x40010
	s_bfe_u32 s15, ttmp6, 0x4000c
	s_and_b32 s14, ttmp7, 0xffff
	s_add_co_i32 s3, s3, 1
	s_add_co_i32 s15, s15, 1
	s_mul_i32 s3, s14, s3
	s_bfe_u32 s16, ttmp6, 0x40004
	s_and_b32 s17, ttmp6, 15
	s_mul_i32 s15, ttmp9, s15
	s_add_co_i32 s16, s16, s3
	s_add_co_i32 s17, s17, s15
	v_mov_b32_e32 v1, 0
	v_bfe_u32 v2, v0, 10, 10
	s_cmp_eq_u32 s2, 0
	v_and_b32_e32 v0, 0x3ff, v0
	s_cselect_b32 s2, s14, s16
	v_mov_b32_e32 v3, v1
	v_lshl_add_u32 v2, s2, 4, v2
	s_load_b64 s[2:3], s[0:1], 0x0
	s_cselect_b32 s14, ttmp9, s17
	s_load_b64 s[16:17], s[0:1], 0x28
	v_lshl_add_u32 v0, s14, 4, v0
	s_wait_kmcnt 0x0
	v_mul_u64_e32 v[4:5], s[10:11], v[2:3]
	s_add_nc_u64 s[0:1], s[0:1], 56
	s_delay_alu instid0(VALU_DEP_2)
	v_lshlrev_b64_e32 v[6:7], 3, v[0:1]
	s_ashr_i32 s21, s2, 31
	s_mov_b32 s20, s2
	s_ashr_i32 s15, s3, 31
	s_mov_b32 s14, s3
	v_cmp_gt_i64_e32 vcc_lo, s[20:21], v[0:1]
	v_cmp_gt_i64_e64 s2, s[14:15], v[2:3]
	s_and_b32 s19, s2, vcc_lo
	s_lshl_b64 s[2:3], s[16:17], 3
	v_lshl_add_u64 v[4:5], v[4:5], 3, v[6:7]
	v_mov_b64_e32 v[6:7], 0
	s_delay_alu instid0(VALU_DEP_2)
	v_add_nc_u64_e32 v[4:5], s[8:9], v[4:5]
	s_lshl_b64 s[8:9], s[10:11], 3
	s_branch .LBB202_3
.LBB202_2:                              ;   in Loop: Header=BB202_3 Depth=1
	s_or_b32 exec_lo, exec_lo, s20
	s_add_co_i32 s12, s12, 0x10000
	s_delay_alu instid0(SALU_CYCLE_1)
	s_cmp_lt_u32 s12, s18
	s_cbranch_scc0 .LBB202_6
.LBB202_3:                              ; =>This Loop Header: Depth=1
                                        ;     Child Loop BB202_5 Depth 2
	s_mul_u64 s[10:11], s[6:7], s[12:13]
	s_delay_alu instid0(SALU_CYCLE_1) | instskip(NEXT) | instid1(SALU_CYCLE_1)
	s_lshl_b64 s[10:11], s[10:11], 3
	s_add_nc_u64 s[10:11], s[4:5], s[10:11]
	global_load_b64 v[8:9], v1, s[10:11]
	s_wait_loadcnt 0x0
	s_wait_xcnt 0x0
	v_readfirstlane_b32 s10, v8
	v_readfirstlane_b32 s11, v9
	s_cmp_eq_f32 s10, 0
	s_cselect_b32 s10, -1, 0
	s_cmp_eq_f32 s11, 0
	s_cselect_b32 s11, -1, 0
	s_delay_alu instid0(SALU_CYCLE_1) | instskip(NEXT) | instid1(SALU_CYCLE_1)
	s_and_b32 s10, s10, s11
	s_and_b32 s10, s10, s19
	s_delay_alu instid0(SALU_CYCLE_1)
	s_and_saveexec_b32 s20, s10
	s_cbranch_execz .LBB202_2
; %bb.4:                                ;   in Loop: Header=BB202_3 Depth=1
	s_load_b32 s10, s[0:1], 0x4
	v_mad_nc_u64_u32 v[8:9], s2, s12, v[4:5]
	v_mov_b64_e32 v[10:11], v[2:3]
	s_mov_b32 s11, s13
	s_mov_b32 s21, 0
	s_delay_alu instid0(VALU_DEP_2) | instskip(SKIP_2) | instid1(SALU_CYCLE_1)
	v_mad_u32 v9, s3, s12, v9
	s_wait_kmcnt 0x0
	s_lshl_b32 s10, s10, 4
	s_mul_u64 s[16:17], s[8:9], s[10:11]
.LBB202_5:                              ;   Parent Loop BB202_3 Depth=1
                                        ; =>  This Inner Loop Header: Depth=2
	v_add_nc_u64_e32 v[10:11], s[10:11], v[10:11]
	global_store_b64 v[8:9], v[6:7], off
	s_wait_xcnt 0x0
	v_add_nc_u64_e32 v[8:9], s[16:17], v[8:9]
	v_cmp_le_i64_e32 vcc_lo, s[14:15], v[10:11]
	s_or_b32 s21, vcc_lo, s21
	s_delay_alu instid0(SALU_CYCLE_1)
	s_and_not1_b32 exec_lo, exec_lo, s21
	s_cbranch_execnz .LBB202_5
	s_branch .LBB202_2
.LBB202_6:
	s_endpgm
	.section	.rodata,"a",@progbits
	.p2align	6, 0x0
	.amdhsa_kernel _ZL44rocblas_set_matrix_zero_if_alpha_zero_kernelILi16ELi16EPK19rocblas_complex_numIfEPS1_EviiT1_lT2_lli
		.amdhsa_group_segment_fixed_size 0
		.amdhsa_private_segment_fixed_size 0
		.amdhsa_kernarg_size 312
		.amdhsa_user_sgpr_count 2
		.amdhsa_user_sgpr_dispatch_ptr 0
		.amdhsa_user_sgpr_queue_ptr 0
		.amdhsa_user_sgpr_kernarg_segment_ptr 1
		.amdhsa_user_sgpr_dispatch_id 0
		.amdhsa_user_sgpr_kernarg_preload_length 0
		.amdhsa_user_sgpr_kernarg_preload_offset 0
		.amdhsa_user_sgpr_private_segment_size 0
		.amdhsa_wavefront_size32 1
		.amdhsa_uses_dynamic_stack 0
		.amdhsa_enable_private_segment 0
		.amdhsa_system_sgpr_workgroup_id_x 1
		.amdhsa_system_sgpr_workgroup_id_y 1
		.amdhsa_system_sgpr_workgroup_id_z 1
		.amdhsa_system_sgpr_workgroup_info 0
		.amdhsa_system_vgpr_workitem_id 1
		.amdhsa_next_free_vgpr 12
		.amdhsa_next_free_sgpr 22
		.amdhsa_named_barrier_count 0
		.amdhsa_reserve_vcc 1
		.amdhsa_float_round_mode_32 0
		.amdhsa_float_round_mode_16_64 0
		.amdhsa_float_denorm_mode_32 3
		.amdhsa_float_denorm_mode_16_64 3
		.amdhsa_fp16_overflow 0
		.amdhsa_memory_ordered 1
		.amdhsa_forward_progress 1
		.amdhsa_inst_pref_size 4
		.amdhsa_round_robin_scheduling 0
		.amdhsa_exception_fp_ieee_invalid_op 0
		.amdhsa_exception_fp_denorm_src 0
		.amdhsa_exception_fp_ieee_div_zero 0
		.amdhsa_exception_fp_ieee_overflow 0
		.amdhsa_exception_fp_ieee_underflow 0
		.amdhsa_exception_fp_ieee_inexact 0
		.amdhsa_exception_int_div_zero 0
	.end_amdhsa_kernel
	.section	.text._ZL44rocblas_set_matrix_zero_if_alpha_zero_kernelILi16ELi16EPK19rocblas_complex_numIfEPS1_EviiT1_lT2_lli,"axG",@progbits,_ZL44rocblas_set_matrix_zero_if_alpha_zero_kernelILi16ELi16EPK19rocblas_complex_numIfEPS1_EviiT1_lT2_lli,comdat
.Lfunc_end202:
	.size	_ZL44rocblas_set_matrix_zero_if_alpha_zero_kernelILi16ELi16EPK19rocblas_complex_numIfEPS1_EviiT1_lT2_lli, .Lfunc_end202-_ZL44rocblas_set_matrix_zero_if_alpha_zero_kernelILi16ELi16EPK19rocblas_complex_numIfEPS1_EviiT1_lT2_lli
                                        ; -- End function
	.set _ZL44rocblas_set_matrix_zero_if_alpha_zero_kernelILi16ELi16EPK19rocblas_complex_numIfEPS1_EviiT1_lT2_lli.num_vgpr, 12
	.set _ZL44rocblas_set_matrix_zero_if_alpha_zero_kernelILi16ELi16EPK19rocblas_complex_numIfEPS1_EviiT1_lT2_lli.num_agpr, 0
	.set _ZL44rocblas_set_matrix_zero_if_alpha_zero_kernelILi16ELi16EPK19rocblas_complex_numIfEPS1_EviiT1_lT2_lli.numbered_sgpr, 22
	.set _ZL44rocblas_set_matrix_zero_if_alpha_zero_kernelILi16ELi16EPK19rocblas_complex_numIfEPS1_EviiT1_lT2_lli.num_named_barrier, 0
	.set _ZL44rocblas_set_matrix_zero_if_alpha_zero_kernelILi16ELi16EPK19rocblas_complex_numIfEPS1_EviiT1_lT2_lli.private_seg_size, 0
	.set _ZL44rocblas_set_matrix_zero_if_alpha_zero_kernelILi16ELi16EPK19rocblas_complex_numIfEPS1_EviiT1_lT2_lli.uses_vcc, 1
	.set _ZL44rocblas_set_matrix_zero_if_alpha_zero_kernelILi16ELi16EPK19rocblas_complex_numIfEPS1_EviiT1_lT2_lli.uses_flat_scratch, 0
	.set _ZL44rocblas_set_matrix_zero_if_alpha_zero_kernelILi16ELi16EPK19rocblas_complex_numIfEPS1_EviiT1_lT2_lli.has_dyn_sized_stack, 0
	.set _ZL44rocblas_set_matrix_zero_if_alpha_zero_kernelILi16ELi16EPK19rocblas_complex_numIfEPS1_EviiT1_lT2_lli.has_recursion, 0
	.set _ZL44rocblas_set_matrix_zero_if_alpha_zero_kernelILi16ELi16EPK19rocblas_complex_numIfEPS1_EviiT1_lT2_lli.has_indirect_call, 0
	.section	.AMDGPU.csdata,"",@progbits
; Kernel info:
; codeLenInByte = 500
; TotalNumSgprs: 24
; NumVgprs: 12
; ScratchSize: 0
; MemoryBound: 0
; FloatMode: 240
; IeeeMode: 1
; LDSByteSize: 0 bytes/workgroup (compile time only)
; SGPRBlocks: 0
; VGPRBlocks: 0
; NumSGPRsForWavesPerEU: 24
; NumVGPRsForWavesPerEU: 12
; NamedBarCnt: 0
; Occupancy: 16
; WaveLimiterHint : 0
; COMPUTE_PGM_RSRC2:SCRATCH_EN: 0
; COMPUTE_PGM_RSRC2:USER_SGPR: 2
; COMPUTE_PGM_RSRC2:TRAP_HANDLER: 0
; COMPUTE_PGM_RSRC2:TGID_X_EN: 1
; COMPUTE_PGM_RSRC2:TGID_Y_EN: 1
; COMPUTE_PGM_RSRC2:TGID_Z_EN: 1
; COMPUTE_PGM_RSRC2:TIDIG_COMP_CNT: 1
	.section	.text._ZL44rocblas_set_matrix_zero_if_alpha_zero_kernelILi16ELi16E19rocblas_complex_numIfEPS1_EviiT1_lT2_lli,"axG",@progbits,_ZL44rocblas_set_matrix_zero_if_alpha_zero_kernelILi16ELi16E19rocblas_complex_numIfEPS1_EviiT1_lT2_lli,comdat
	.globl	_ZL44rocblas_set_matrix_zero_if_alpha_zero_kernelILi16ELi16E19rocblas_complex_numIfEPS1_EviiT1_lT2_lli ; -- Begin function _ZL44rocblas_set_matrix_zero_if_alpha_zero_kernelILi16ELi16E19rocblas_complex_numIfEPS1_EviiT1_lT2_lli
	.p2align	8
	.type	_ZL44rocblas_set_matrix_zero_if_alpha_zero_kernelILi16ELi16E19rocblas_complex_numIfEPS1_EviiT1_lT2_lli,@function
_ZL44rocblas_set_matrix_zero_if_alpha_zero_kernelILi16ELi16E19rocblas_complex_numIfEPS1_EviiT1_lT2_lli: ; @_ZL44rocblas_set_matrix_zero_if_alpha_zero_kernelILi16ELi16E19rocblas_complex_numIfEPS1_EviiT1_lT2_lli
; %bb.0:
	s_load_b32 s12, s[0:1], 0x30
	s_bfe_u32 s2, ttmp6, 0x40014
	s_lshr_b32 s3, ttmp7, 16
	s_add_co_i32 s2, s2, 1
	s_bfe_u32 s5, ttmp6, 0x40008
	s_mul_i32 s4, s3, s2
	s_getreg_b32 s2, hwreg(HW_REG_IB_STS2, 6, 4)
	s_add_co_i32 s5, s5, s4
	s_cmp_eq_u32 s2, 0
	s_cselect_b32 s13, s3, s5
	s_mov_b32 s3, 0
	s_wait_kmcnt 0x0
	s_cmp_ge_u32 s13, s12
	s_cbranch_scc1 .LBB203_6
; %bb.1:
	s_clause 0x1
	s_load_b128 s[8:11], s[0:1], 0x0
	s_load_b128 s[4:7], s[0:1], 0x18
	v_mov_b32_e32 v1, 0
	v_bfe_u32 v2, v0, 10, 10
	v_and_b32_e32 v0, 0x3ff, v0
	s_delay_alu instid0(VALU_DEP_3)
	v_mov_b32_e32 v3, v1
	s_wait_kmcnt 0x0
	s_cmp_eq_f32 s10, 0
	s_cselect_b32 s10, -1, 0
	s_cmp_eq_f32 s11, 0
	s_cselect_b32 s11, -1, 0
	s_bfe_u32 s15, ttmp6, 0x40010
	s_bfe_u32 s18, ttmp6, 0x4000c
	s_and_b32 s14, ttmp7, 0xffff
	s_add_co_i32 s15, s15, 1
	s_add_co_i32 s18, s18, 1
	s_bfe_u32 s16, ttmp6, 0x40004
	s_and_b32 s17, ttmp6, 15
	s_and_b32 s19, s10, s11
	s_mul_i32 s10, s14, s15
	s_mul_i32 s11, ttmp9, s18
	s_add_co_i32 s16, s16, s10
	s_add_co_i32 s17, s17, s11
	s_cmp_eq_u32 s2, 0
	s_mov_b32 s10, s9
	s_cselect_b32 s2, s14, s16
	s_mov_b32 s14, s8
	v_lshl_add_u32 v2, s2, 4, v2
	s_cselect_b32 s2, ttmp9, s17
	s_load_b64 s[16:17], s[0:1], 0x28
	v_lshl_add_u32 v0, s2, 4, v0
	s_ashr_i32 s11, s9, 31
	v_mul_u64_e32 v[4:5], s[6:7], v[2:3]
	s_ashr_i32 s15, s8, 31
	v_cmp_gt_i64_e32 vcc_lo, s[10:11], v[2:3]
	v_lshlrev_b64_e32 v[6:7], 3, v[0:1]
	v_cmp_gt_i64_e64 s2, s[14:15], v[0:1]
	s_wait_xcnt 0x0
	s_add_nc_u64 s[0:1], s[0:1], 56
	s_lshl_b64 s[6:7], s[6:7], 3
	v_lshl_add_u64 v[4:5], v[4:5], 3, v[6:7]
	s_delay_alu instid0(VALU_DEP_1) | instskip(SKIP_2) | instid1(SALU_CYCLE_1)
	v_add_nc_u64_e32 v[0:1], s[4:5], v[4:5]
	v_mov_b64_e32 v[4:5], 0
	s_and_b32 s4, vcc_lo, s19
	s_and_b32 s14, s4, s2
	s_wait_kmcnt 0x0
	s_lshl_b64 s[4:5], s[16:17], 3
	s_branch .LBB203_3
.LBB203_2:                              ;   in Loop: Header=BB203_3 Depth=1
	s_or_b32 exec_lo, exec_lo, s15
	s_add_co_i32 s13, s13, 0x10000
	s_delay_alu instid0(SALU_CYCLE_1)
	s_cmp_lt_u32 s13, s12
	s_cbranch_scc0 .LBB203_6
.LBB203_3:                              ; =>This Loop Header: Depth=1
                                        ;     Child Loop BB203_5 Depth 2
	s_and_saveexec_b32 s15, s14
	s_cbranch_execz .LBB203_2
; %bb.4:                                ;   in Loop: Header=BB203_3 Depth=1
	s_load_b32 s2, s[0:1], 0x4
	v_mad_nc_u64_u32 v[6:7], s4, s13, v[0:1]
	v_mov_b64_e32 v[8:9], v[2:3]
	s_mov_b32 s16, 0
	s_delay_alu instid0(VALU_DEP_2) | instskip(SKIP_2) | instid1(SALU_CYCLE_1)
	v_mad_u32 v7, s5, s13, v7
	s_wait_kmcnt 0x0
	s_lshl_b32 s2, s2, 4
	s_mul_u64 s[8:9], s[6:7], s[2:3]
.LBB203_5:                              ;   Parent Loop BB203_3 Depth=1
                                        ; =>  This Inner Loop Header: Depth=2
	s_delay_alu instid0(VALU_DEP_2)
	v_add_nc_u64_e32 v[8:9], s[2:3], v[8:9]
	global_store_b64 v[6:7], v[4:5], off
	s_wait_xcnt 0x0
	v_add_nc_u64_e32 v[6:7], s[8:9], v[6:7]
	v_cmp_le_i64_e32 vcc_lo, s[10:11], v[8:9]
	s_or_b32 s16, vcc_lo, s16
	s_delay_alu instid0(SALU_CYCLE_1)
	s_and_not1_b32 exec_lo, exec_lo, s16
	s_cbranch_execnz .LBB203_5
	s_branch .LBB203_2
.LBB203_6:
	s_endpgm
	.section	.rodata,"a",@progbits
	.p2align	6, 0x0
	.amdhsa_kernel _ZL44rocblas_set_matrix_zero_if_alpha_zero_kernelILi16ELi16E19rocblas_complex_numIfEPS1_EviiT1_lT2_lli
		.amdhsa_group_segment_fixed_size 0
		.amdhsa_private_segment_fixed_size 0
		.amdhsa_kernarg_size 312
		.amdhsa_user_sgpr_count 2
		.amdhsa_user_sgpr_dispatch_ptr 0
		.amdhsa_user_sgpr_queue_ptr 0
		.amdhsa_user_sgpr_kernarg_segment_ptr 1
		.amdhsa_user_sgpr_dispatch_id 0
		.amdhsa_user_sgpr_kernarg_preload_length 0
		.amdhsa_user_sgpr_kernarg_preload_offset 0
		.amdhsa_user_sgpr_private_segment_size 0
		.amdhsa_wavefront_size32 1
		.amdhsa_uses_dynamic_stack 0
		.amdhsa_enable_private_segment 0
		.amdhsa_system_sgpr_workgroup_id_x 1
		.amdhsa_system_sgpr_workgroup_id_y 1
		.amdhsa_system_sgpr_workgroup_id_z 1
		.amdhsa_system_sgpr_workgroup_info 0
		.amdhsa_system_vgpr_workitem_id 1
		.amdhsa_next_free_vgpr 10
		.amdhsa_next_free_sgpr 20
		.amdhsa_named_barrier_count 0
		.amdhsa_reserve_vcc 1
		.amdhsa_float_round_mode_32 0
		.amdhsa_float_round_mode_16_64 0
		.amdhsa_float_denorm_mode_32 3
		.amdhsa_float_denorm_mode_16_64 3
		.amdhsa_fp16_overflow 0
		.amdhsa_memory_ordered 1
		.amdhsa_forward_progress 1
		.amdhsa_inst_pref_size 4
		.amdhsa_round_robin_scheduling 0
		.amdhsa_exception_fp_ieee_invalid_op 0
		.amdhsa_exception_fp_denorm_src 0
		.amdhsa_exception_fp_ieee_div_zero 0
		.amdhsa_exception_fp_ieee_overflow 0
		.amdhsa_exception_fp_ieee_underflow 0
		.amdhsa_exception_fp_ieee_inexact 0
		.amdhsa_exception_int_div_zero 0
	.end_amdhsa_kernel
	.section	.text._ZL44rocblas_set_matrix_zero_if_alpha_zero_kernelILi16ELi16E19rocblas_complex_numIfEPS1_EviiT1_lT2_lli,"axG",@progbits,_ZL44rocblas_set_matrix_zero_if_alpha_zero_kernelILi16ELi16E19rocblas_complex_numIfEPS1_EviiT1_lT2_lli,comdat
.Lfunc_end203:
	.size	_ZL44rocblas_set_matrix_zero_if_alpha_zero_kernelILi16ELi16E19rocblas_complex_numIfEPS1_EviiT1_lT2_lli, .Lfunc_end203-_ZL44rocblas_set_matrix_zero_if_alpha_zero_kernelILi16ELi16E19rocblas_complex_numIfEPS1_EviiT1_lT2_lli
                                        ; -- End function
	.set _ZL44rocblas_set_matrix_zero_if_alpha_zero_kernelILi16ELi16E19rocblas_complex_numIfEPS1_EviiT1_lT2_lli.num_vgpr, 10
	.set _ZL44rocblas_set_matrix_zero_if_alpha_zero_kernelILi16ELi16E19rocblas_complex_numIfEPS1_EviiT1_lT2_lli.num_agpr, 0
	.set _ZL44rocblas_set_matrix_zero_if_alpha_zero_kernelILi16ELi16E19rocblas_complex_numIfEPS1_EviiT1_lT2_lli.numbered_sgpr, 20
	.set _ZL44rocblas_set_matrix_zero_if_alpha_zero_kernelILi16ELi16E19rocblas_complex_numIfEPS1_EviiT1_lT2_lli.num_named_barrier, 0
	.set _ZL44rocblas_set_matrix_zero_if_alpha_zero_kernelILi16ELi16E19rocblas_complex_numIfEPS1_EviiT1_lT2_lli.private_seg_size, 0
	.set _ZL44rocblas_set_matrix_zero_if_alpha_zero_kernelILi16ELi16E19rocblas_complex_numIfEPS1_EviiT1_lT2_lli.uses_vcc, 1
	.set _ZL44rocblas_set_matrix_zero_if_alpha_zero_kernelILi16ELi16E19rocblas_complex_numIfEPS1_EviiT1_lT2_lli.uses_flat_scratch, 0
	.set _ZL44rocblas_set_matrix_zero_if_alpha_zero_kernelILi16ELi16E19rocblas_complex_numIfEPS1_EviiT1_lT2_lli.has_dyn_sized_stack, 0
	.set _ZL44rocblas_set_matrix_zero_if_alpha_zero_kernelILi16ELi16E19rocblas_complex_numIfEPS1_EviiT1_lT2_lli.has_recursion, 0
	.set _ZL44rocblas_set_matrix_zero_if_alpha_zero_kernelILi16ELi16E19rocblas_complex_numIfEPS1_EviiT1_lT2_lli.has_indirect_call, 0
	.section	.AMDGPU.csdata,"",@progbits
; Kernel info:
; codeLenInByte = 460
; TotalNumSgprs: 22
; NumVgprs: 10
; ScratchSize: 0
; MemoryBound: 0
; FloatMode: 240
; IeeeMode: 1
; LDSByteSize: 0 bytes/workgroup (compile time only)
; SGPRBlocks: 0
; VGPRBlocks: 0
; NumSGPRsForWavesPerEU: 22
; NumVGPRsForWavesPerEU: 10
; NamedBarCnt: 0
; Occupancy: 16
; WaveLimiterHint : 0
; COMPUTE_PGM_RSRC2:SCRATCH_EN: 0
; COMPUTE_PGM_RSRC2:USER_SGPR: 2
; COMPUTE_PGM_RSRC2:TRAP_HANDLER: 0
; COMPUTE_PGM_RSRC2:TGID_X_EN: 1
; COMPUTE_PGM_RSRC2:TGID_Y_EN: 1
; COMPUTE_PGM_RSRC2:TGID_Z_EN: 1
; COMPUTE_PGM_RSRC2:TIDIG_COMP_CNT: 1
	.section	.text._ZL44rocblas_set_matrix_zero_if_alpha_zero_kernelILi16ELi16EPK19rocblas_complex_numIdEPKPS1_EviiT1_lT2_lli,"axG",@progbits,_ZL44rocblas_set_matrix_zero_if_alpha_zero_kernelILi16ELi16EPK19rocblas_complex_numIdEPKPS1_EviiT1_lT2_lli,comdat
	.globl	_ZL44rocblas_set_matrix_zero_if_alpha_zero_kernelILi16ELi16EPK19rocblas_complex_numIdEPKPS1_EviiT1_lT2_lli ; -- Begin function _ZL44rocblas_set_matrix_zero_if_alpha_zero_kernelILi16ELi16EPK19rocblas_complex_numIdEPKPS1_EviiT1_lT2_lli
	.p2align	8
	.type	_ZL44rocblas_set_matrix_zero_if_alpha_zero_kernelILi16ELi16EPK19rocblas_complex_numIdEPKPS1_EviiT1_lT2_lli,@function
_ZL44rocblas_set_matrix_zero_if_alpha_zero_kernelILi16ELi16EPK19rocblas_complex_numIdEPKPS1_EviiT1_lT2_lli: ; @_ZL44rocblas_set_matrix_zero_if_alpha_zero_kernelILi16ELi16EPK19rocblas_complex_numIdEPKPS1_EviiT1_lT2_lli
; %bb.0:
	s_load_b32 s18, s[0:1], 0x30
	s_bfe_u32 s2, ttmp6, 0x40014
	s_lshr_b32 s3, ttmp7, 16
	s_add_co_i32 s2, s2, 1
	s_bfe_u32 s5, ttmp6, 0x40008
	s_mul_i32 s4, s3, s2
	s_getreg_b32 s2, hwreg(HW_REG_IB_STS2, 6, 4)
	s_add_co_i32 s5, s5, s4
	s_cmp_eq_u32 s2, 0
	s_mov_b32 s13, 0
	s_cselect_b32 s12, s3, s5
	s_wait_kmcnt 0x0
	s_cmp_ge_u32 s12, s18
	s_cbranch_scc1 .LBB204_6
; %bb.1:
	s_load_b256 s[4:11], s[0:1], 0x8
	s_bfe_u32 s3, ttmp6, 0x40010
	s_bfe_u32 s15, ttmp6, 0x4000c
	s_and_b32 s14, ttmp7, 0xffff
	s_add_co_i32 s3, s3, 1
	s_add_co_i32 s15, s15, 1
	s_mul_i32 s3, s14, s3
	s_bfe_u32 s16, ttmp6, 0x40004
	s_and_b32 s17, ttmp6, 15
	s_mul_i32 s15, ttmp9, s15
	s_add_co_i32 s16, s16, s3
	s_add_co_i32 s17, s17, s15
	v_bfe_u32 v1, v0, 10, 10
	v_mov_b32_e32 v2, 0
	s_cmp_eq_u32 s2, 0
	v_and_b32_e32 v0, 0x3ff, v0
	s_cselect_b32 s2, s14, s16
	s_cselect_b32 s16, ttmp9, s17
	v_lshl_add_u32 v6, s2, 4, v1
	v_dual_mov_b32 v7, v2 :: v_dual_mov_b32 v1, v2
	s_clause 0x1
	s_load_b64 s[2:3], s[0:1], 0x0
	s_load_b64 s[14:15], s[0:1], 0x28
	v_lshl_add_u32 v0, s16, 4, v0
	s_wait_kmcnt 0x0
	v_mul_u64_e32 v[4:5], s[10:11], v[6:7]
	s_ashr_i32 s17, s2, 31
	s_lshl_b64 s[14:15], s[14:15], 4
	s_mov_b32 s16, s2
	s_delay_alu instid0(SALU_CYCLE_1) | instskip(SKIP_1) | instid1(VALU_DEP_2)
	v_cmp_gt_i64_e32 vcc_lo, s[16:17], v[0:1]
	s_add_nc_u64 s[16:17], s[0:1], 56
	v_lshl_add_u64 v[4:5], v[4:5], 4, s[14:15]
	s_ashr_i32 s15, s3, 31
	s_mov_b32 s14, s3
	s_delay_alu instid0(SALU_CYCLE_1) | instskip(NEXT) | instid1(VALU_DEP_2)
	v_cmp_gt_i64_e64 s2, s[14:15], v[6:7]
	v_lshl_add_u64 v[0:1], v[0:1], 4, v[4:5]
	s_delay_alu instid0(VALU_DEP_1)
	v_or_b32_e32 v0, 8, v0
	s_and_b32 s19, s2, vcc_lo
	s_lshl_b64 s[2:3], s[10:11], 4
	s_branch .LBB204_3
.LBB204_2:                              ;   in Loop: Header=BB204_3 Depth=1
	s_or_b32 exec_lo, exec_lo, s20
	s_add_co_i32 s12, s12, 0x10000
	s_delay_alu instid0(SALU_CYCLE_1)
	s_cmp_lt_u32 s12, s18
	s_cbranch_scc0 .LBB204_6
.LBB204_3:                              ; =>This Loop Header: Depth=1
                                        ;     Child Loop BB204_5 Depth 2
	s_mul_u64 s[0:1], s[6:7], s[12:13]
	s_delay_alu instid0(SALU_CYCLE_1) | instskip(NEXT) | instid1(SALU_CYCLE_1)
	s_lshl_b64 s[0:1], s[0:1], 4
	s_add_nc_u64 s[0:1], s[4:5], s[0:1]
	global_load_b128 v[8:11], v2, s[0:1]
	s_wait_loadcnt 0x0
	v_cmp_eq_f64_e32 vcc_lo, 0, v[8:9]
	s_wait_xcnt 0x0
	v_cmp_eq_f64_e64 s0, 0, v[10:11]
	s_and_b32 s0, vcc_lo, s0
	s_delay_alu instid0(SALU_CYCLE_1) | instskip(NEXT) | instid1(SALU_CYCLE_1)
	s_and_b32 s0, s0, s19
	s_and_saveexec_b32 s20, s0
	s_cbranch_execz .LBB204_2
; %bb.4:                                ;   in Loop: Header=BB204_3 Depth=1
	s_lshl_b64 s[0:1], s[12:13], 3
	v_mov_b64_e32 v[10:11], v[6:7]
	s_add_nc_u64 s[0:1], s[8:9], s[0:1]
	s_load_b32 s21, s[16:17], 0x4
	s_load_b64 s[10:11], s[0:1], 0x0
	s_wait_xcnt 0x0
	s_mov_b32 s1, s13
	s_wait_kmcnt 0x0
	s_lshl_b32 s0, s21, 4
	v_add_nc_u64_e32 v[8:9], s[10:11], v[0:1]
	s_mul_u64 s[10:11], s[2:3], s[0:1]
	s_mov_b32 s21, 0
.LBB204_5:                              ;   Parent Loop BB204_3 Depth=1
                                        ; =>  This Inner Loop Header: Depth=2
	v_add_nc_u64_e32 v[10:11], s[0:1], v[10:11]
	v_dual_mov_b32 v3, v2 :: v_dual_mov_b32 v4, v2
	v_mov_b32_e32 v5, v2
	s_delay_alu instid0(VALU_DEP_3) | instskip(SKIP_4) | instid1(SALU_CYCLE_1)
	v_cmp_le_i64_e32 vcc_lo, s[14:15], v[10:11]
	flat_store_b128 v[8:9], v[2:5] offset:-8
	s_wait_xcnt 0x0
	v_add_nc_u64_e32 v[8:9], s[10:11], v[8:9]
	s_or_b32 s21, vcc_lo, s21
	s_and_not1_b32 exec_lo, exec_lo, s21
	s_cbranch_execnz .LBB204_5
	s_branch .LBB204_2
.LBB204_6:
	s_endpgm
	.section	.rodata,"a",@progbits
	.p2align	6, 0x0
	.amdhsa_kernel _ZL44rocblas_set_matrix_zero_if_alpha_zero_kernelILi16ELi16EPK19rocblas_complex_numIdEPKPS1_EviiT1_lT2_lli
		.amdhsa_group_segment_fixed_size 0
		.amdhsa_private_segment_fixed_size 0
		.amdhsa_kernarg_size 312
		.amdhsa_user_sgpr_count 2
		.amdhsa_user_sgpr_dispatch_ptr 0
		.amdhsa_user_sgpr_queue_ptr 0
		.amdhsa_user_sgpr_kernarg_segment_ptr 1
		.amdhsa_user_sgpr_dispatch_id 0
		.amdhsa_user_sgpr_kernarg_preload_length 0
		.amdhsa_user_sgpr_kernarg_preload_offset 0
		.amdhsa_user_sgpr_private_segment_size 0
		.amdhsa_wavefront_size32 1
		.amdhsa_uses_dynamic_stack 0
		.amdhsa_enable_private_segment 0
		.amdhsa_system_sgpr_workgroup_id_x 1
		.amdhsa_system_sgpr_workgroup_id_y 1
		.amdhsa_system_sgpr_workgroup_id_z 1
		.amdhsa_system_sgpr_workgroup_info 0
		.amdhsa_system_vgpr_workitem_id 1
		.amdhsa_next_free_vgpr 12
		.amdhsa_next_free_sgpr 22
		.amdhsa_named_barrier_count 0
		.amdhsa_reserve_vcc 1
		.amdhsa_float_round_mode_32 0
		.amdhsa_float_round_mode_16_64 0
		.amdhsa_float_denorm_mode_32 3
		.amdhsa_float_denorm_mode_16_64 3
		.amdhsa_fp16_overflow 0
		.amdhsa_memory_ordered 1
		.amdhsa_forward_progress 1
		.amdhsa_inst_pref_size 5
		.amdhsa_round_robin_scheduling 0
		.amdhsa_exception_fp_ieee_invalid_op 0
		.amdhsa_exception_fp_denorm_src 0
		.amdhsa_exception_fp_ieee_div_zero 0
		.amdhsa_exception_fp_ieee_overflow 0
		.amdhsa_exception_fp_ieee_underflow 0
		.amdhsa_exception_fp_ieee_inexact 0
		.amdhsa_exception_int_div_zero 0
	.end_amdhsa_kernel
	.section	.text._ZL44rocblas_set_matrix_zero_if_alpha_zero_kernelILi16ELi16EPK19rocblas_complex_numIdEPKPS1_EviiT1_lT2_lli,"axG",@progbits,_ZL44rocblas_set_matrix_zero_if_alpha_zero_kernelILi16ELi16EPK19rocblas_complex_numIdEPKPS1_EviiT1_lT2_lli,comdat
.Lfunc_end204:
	.size	_ZL44rocblas_set_matrix_zero_if_alpha_zero_kernelILi16ELi16EPK19rocblas_complex_numIdEPKPS1_EviiT1_lT2_lli, .Lfunc_end204-_ZL44rocblas_set_matrix_zero_if_alpha_zero_kernelILi16ELi16EPK19rocblas_complex_numIdEPKPS1_EviiT1_lT2_lli
                                        ; -- End function
	.set _ZL44rocblas_set_matrix_zero_if_alpha_zero_kernelILi16ELi16EPK19rocblas_complex_numIdEPKPS1_EviiT1_lT2_lli.num_vgpr, 12
	.set _ZL44rocblas_set_matrix_zero_if_alpha_zero_kernelILi16ELi16EPK19rocblas_complex_numIdEPKPS1_EviiT1_lT2_lli.num_agpr, 0
	.set _ZL44rocblas_set_matrix_zero_if_alpha_zero_kernelILi16ELi16EPK19rocblas_complex_numIdEPKPS1_EviiT1_lT2_lli.numbered_sgpr, 22
	.set _ZL44rocblas_set_matrix_zero_if_alpha_zero_kernelILi16ELi16EPK19rocblas_complex_numIdEPKPS1_EviiT1_lT2_lli.num_named_barrier, 0
	.set _ZL44rocblas_set_matrix_zero_if_alpha_zero_kernelILi16ELi16EPK19rocblas_complex_numIdEPKPS1_EviiT1_lT2_lli.private_seg_size, 0
	.set _ZL44rocblas_set_matrix_zero_if_alpha_zero_kernelILi16ELi16EPK19rocblas_complex_numIdEPKPS1_EviiT1_lT2_lli.uses_vcc, 1
	.set _ZL44rocblas_set_matrix_zero_if_alpha_zero_kernelILi16ELi16EPK19rocblas_complex_numIdEPKPS1_EviiT1_lT2_lli.uses_flat_scratch, 0
	.set _ZL44rocblas_set_matrix_zero_if_alpha_zero_kernelILi16ELi16EPK19rocblas_complex_numIdEPKPS1_EviiT1_lT2_lli.has_dyn_sized_stack, 0
	.set _ZL44rocblas_set_matrix_zero_if_alpha_zero_kernelILi16ELi16EPK19rocblas_complex_numIdEPKPS1_EviiT1_lT2_lli.has_recursion, 0
	.set _ZL44rocblas_set_matrix_zero_if_alpha_zero_kernelILi16ELi16EPK19rocblas_complex_numIdEPKPS1_EviiT1_lT2_lli.has_indirect_call, 0
	.section	.AMDGPU.csdata,"",@progbits
; Kernel info:
; codeLenInByte = 516
; TotalNumSgprs: 24
; NumVgprs: 12
; ScratchSize: 0
; MemoryBound: 0
; FloatMode: 240
; IeeeMode: 1
; LDSByteSize: 0 bytes/workgroup (compile time only)
; SGPRBlocks: 0
; VGPRBlocks: 0
; NumSGPRsForWavesPerEU: 24
; NumVGPRsForWavesPerEU: 12
; NamedBarCnt: 0
; Occupancy: 16
; WaveLimiterHint : 0
; COMPUTE_PGM_RSRC2:SCRATCH_EN: 0
; COMPUTE_PGM_RSRC2:USER_SGPR: 2
; COMPUTE_PGM_RSRC2:TRAP_HANDLER: 0
; COMPUTE_PGM_RSRC2:TGID_X_EN: 1
; COMPUTE_PGM_RSRC2:TGID_Y_EN: 1
; COMPUTE_PGM_RSRC2:TGID_Z_EN: 1
; COMPUTE_PGM_RSRC2:TIDIG_COMP_CNT: 1
	.section	.text._ZL44rocblas_set_matrix_zero_if_alpha_zero_kernelILi16ELi16E19rocblas_complex_numIdEPKPS1_EviiT1_lT2_lli,"axG",@progbits,_ZL44rocblas_set_matrix_zero_if_alpha_zero_kernelILi16ELi16E19rocblas_complex_numIdEPKPS1_EviiT1_lT2_lli,comdat
	.globl	_ZL44rocblas_set_matrix_zero_if_alpha_zero_kernelILi16ELi16E19rocblas_complex_numIdEPKPS1_EviiT1_lT2_lli ; -- Begin function _ZL44rocblas_set_matrix_zero_if_alpha_zero_kernelILi16ELi16E19rocblas_complex_numIdEPKPS1_EviiT1_lT2_lli
	.p2align	8
	.type	_ZL44rocblas_set_matrix_zero_if_alpha_zero_kernelILi16ELi16E19rocblas_complex_numIdEPKPS1_EviiT1_lT2_lli,@function
_ZL44rocblas_set_matrix_zero_if_alpha_zero_kernelILi16ELi16E19rocblas_complex_numIdEPKPS1_EviiT1_lT2_lli: ; @_ZL44rocblas_set_matrix_zero_if_alpha_zero_kernelILi16ELi16E19rocblas_complex_numIdEPKPS1_EviiT1_lT2_lli
; %bb.0:
	s_load_b32 s12, s[0:1], 0x38
	s_bfe_u32 s2, ttmp6, 0x40014
	s_lshr_b32 s3, ttmp7, 16
	s_add_co_i32 s2, s2, 1
	s_bfe_u32 s5, ttmp6, 0x40008
	s_mul_i32 s4, s3, s2
	s_getreg_b32 s2, hwreg(HW_REG_IB_STS2, 6, 4)
	s_add_co_i32 s5, s5, s4
	s_cmp_eq_u32 s2, 0
	s_cselect_b32 s13, s3, s5
	s_mov_b32 s3, 0
	s_wait_kmcnt 0x0
	s_cmp_ge_u32 s13, s12
	s_cbranch_scc1 .LBB205_6
; %bb.1:
	s_load_b128 s[4:7], s[0:1], 0x8
	s_bfe_u32 s11, ttmp6, 0x40010
	s_bfe_u32 s16, ttmp6, 0x4000c
	s_and_b32 s10, ttmp7, 0xffff
	s_add_co_i32 s11, s11, 1
	s_add_co_i32 s16, s16, 1
	s_bfe_u32 s14, ttmp6, 0x40004
	s_and_b32 s15, ttmp6, 15
	s_mul_i32 s11, s10, s11
	s_mul_i32 s16, ttmp9, s16
	v_mov_b32_e32 v2, 0
	v_bfe_u32 v1, v0, 10, 10
	s_add_co_i32 s14, s14, s11
	s_add_co_i32 s16, s15, s16
	v_and_b32_e32 v0, 0x3ff, v0
	v_mov_b32_e32 v7, v2
	s_wait_kmcnt 0x0
	v_cmp_eq_f64_e64 s8, s[4:5], 0
	v_cmp_eq_f64_e64 s9, s[6:7], 0
	s_load_b128 s[4:7], s[0:1], 0x20
	s_and_b32 s18, s8, s9
	s_cmp_eq_u32 s2, 0
	s_cselect_b32 s2, s10, s14
	s_load_b64 s[14:15], s[0:1], 0x0
	v_lshl_add_u32 v6, s2, 4, v1
	v_mov_b32_e32 v1, v2
	s_load_b64 s[10:11], s[0:1], 0x30
	s_cselect_b32 s2, ttmp9, s16
	s_wait_xcnt 0x0
	s_add_nc_u64 s[0:1], s[0:1], 64
	s_wait_kmcnt 0x0
	v_mul_u64_e32 v[4:5], s[6:7], v[6:7]
	v_lshl_add_u32 v0, s2, 4, v0
	s_lshl_b64 s[6:7], s[6:7], 4
	s_ashr_i32 s9, s15, 31
	s_mov_b32 s8, s15
	s_ashr_i32 s17, s14, 31
	s_lshl_b64 s[10:11], s[10:11], 4
	s_mov_b32 s16, s14
	v_cmp_gt_i64_e32 vcc_lo, s[8:9], v[6:7]
	v_cmp_gt_i64_e64 s2, s[16:17], v[0:1]
	s_delay_alu instid0(VALU_DEP_4) | instskip(SKIP_1) | instid1(SALU_CYCLE_1)
	v_lshl_add_u64 v[4:5], v[4:5], 4, s[10:11]
	s_and_b32 s10, vcc_lo, s18
	s_and_b32 s14, s10, s2
	s_delay_alu instid0(VALU_DEP_1) | instskip(NEXT) | instid1(VALU_DEP_1)
	v_lshl_add_u64 v[0:1], v[0:1], 4, v[4:5]
	v_or_b32_e32 v0, 8, v0
	s_branch .LBB205_3
.LBB205_2:                              ;   in Loop: Header=BB205_3 Depth=1
	s_or_b32 exec_lo, exec_lo, s15
	s_add_co_i32 s13, s13, 0x10000
	s_delay_alu instid0(SALU_CYCLE_1)
	s_cmp_lt_u32 s13, s12
	s_cbranch_scc0 .LBB205_6
.LBB205_3:                              ; =>This Loop Header: Depth=1
                                        ;     Child Loop BB205_5 Depth 2
	s_and_saveexec_b32 s15, s14
	s_cbranch_execz .LBB205_2
; %bb.4:                                ;   in Loop: Header=BB205_3 Depth=1
	s_load_b64 s[10:11], s[4:5], s13 offset:0x0 scale_offset
	s_load_b32 s2, s[0:1], 0x4
	v_mov_b64_e32 v[10:11], v[6:7]
	s_mov_b32 s16, 0
	s_wait_kmcnt 0x0
	v_add_nc_u64_e32 v[8:9], s[10:11], v[0:1]
	s_lshl_b32 s2, s2, 4
	s_delay_alu instid0(SALU_CYCLE_1)
	s_mul_u64 s[10:11], s[6:7], s[2:3]
.LBB205_5:                              ;   Parent Loop BB205_3 Depth=1
                                        ; =>  This Inner Loop Header: Depth=2
	s_delay_alu instid0(VALU_DEP_2) | instskip(SKIP_2) | instid1(VALU_DEP_3)
	v_add_nc_u64_e32 v[10:11], s[2:3], v[10:11]
	v_dual_mov_b32 v3, v2 :: v_dual_mov_b32 v4, v2
	v_mov_b32_e32 v5, v2
	v_cmp_le_i64_e32 vcc_lo, s[8:9], v[10:11]
	flat_store_b128 v[8:9], v[2:5] offset:-8
	s_wait_xcnt 0x0
	v_add_nc_u64_e32 v[8:9], s[10:11], v[8:9]
	s_or_b32 s16, vcc_lo, s16
	s_delay_alu instid0(SALU_CYCLE_1)
	s_and_not1_b32 exec_lo, exec_lo, s16
	s_cbranch_execnz .LBB205_5
	s_branch .LBB205_2
.LBB205_6:
	s_endpgm
	.section	.rodata,"a",@progbits
	.p2align	6, 0x0
	.amdhsa_kernel _ZL44rocblas_set_matrix_zero_if_alpha_zero_kernelILi16ELi16E19rocblas_complex_numIdEPKPS1_EviiT1_lT2_lli
		.amdhsa_group_segment_fixed_size 0
		.amdhsa_private_segment_fixed_size 0
		.amdhsa_kernarg_size 320
		.amdhsa_user_sgpr_count 2
		.amdhsa_user_sgpr_dispatch_ptr 0
		.amdhsa_user_sgpr_queue_ptr 0
		.amdhsa_user_sgpr_kernarg_segment_ptr 1
		.amdhsa_user_sgpr_dispatch_id 0
		.amdhsa_user_sgpr_kernarg_preload_length 0
		.amdhsa_user_sgpr_kernarg_preload_offset 0
		.amdhsa_user_sgpr_private_segment_size 0
		.amdhsa_wavefront_size32 1
		.amdhsa_uses_dynamic_stack 0
		.amdhsa_enable_private_segment 0
		.amdhsa_system_sgpr_workgroup_id_x 1
		.amdhsa_system_sgpr_workgroup_id_y 1
		.amdhsa_system_sgpr_workgroup_id_z 1
		.amdhsa_system_sgpr_workgroup_info 0
		.amdhsa_system_vgpr_workitem_id 1
		.amdhsa_next_free_vgpr 12
		.amdhsa_next_free_sgpr 19
		.amdhsa_named_barrier_count 0
		.amdhsa_reserve_vcc 1
		.amdhsa_float_round_mode_32 0
		.amdhsa_float_round_mode_16_64 0
		.amdhsa_float_denorm_mode_32 3
		.amdhsa_float_denorm_mode_16_64 3
		.amdhsa_fp16_overflow 0
		.amdhsa_memory_ordered 1
		.amdhsa_forward_progress 1
		.amdhsa_inst_pref_size 4
		.amdhsa_round_robin_scheduling 0
		.amdhsa_exception_fp_ieee_invalid_op 0
		.amdhsa_exception_fp_denorm_src 0
		.amdhsa_exception_fp_ieee_div_zero 0
		.amdhsa_exception_fp_ieee_overflow 0
		.amdhsa_exception_fp_ieee_underflow 0
		.amdhsa_exception_fp_ieee_inexact 0
		.amdhsa_exception_int_div_zero 0
	.end_amdhsa_kernel
	.section	.text._ZL44rocblas_set_matrix_zero_if_alpha_zero_kernelILi16ELi16E19rocblas_complex_numIdEPKPS1_EviiT1_lT2_lli,"axG",@progbits,_ZL44rocblas_set_matrix_zero_if_alpha_zero_kernelILi16ELi16E19rocblas_complex_numIdEPKPS1_EviiT1_lT2_lli,comdat
.Lfunc_end205:
	.size	_ZL44rocblas_set_matrix_zero_if_alpha_zero_kernelILi16ELi16E19rocblas_complex_numIdEPKPS1_EviiT1_lT2_lli, .Lfunc_end205-_ZL44rocblas_set_matrix_zero_if_alpha_zero_kernelILi16ELi16E19rocblas_complex_numIdEPKPS1_EviiT1_lT2_lli
                                        ; -- End function
	.set _ZL44rocblas_set_matrix_zero_if_alpha_zero_kernelILi16ELi16E19rocblas_complex_numIdEPKPS1_EviiT1_lT2_lli.num_vgpr, 12
	.set _ZL44rocblas_set_matrix_zero_if_alpha_zero_kernelILi16ELi16E19rocblas_complex_numIdEPKPS1_EviiT1_lT2_lli.num_agpr, 0
	.set _ZL44rocblas_set_matrix_zero_if_alpha_zero_kernelILi16ELi16E19rocblas_complex_numIdEPKPS1_EviiT1_lT2_lli.numbered_sgpr, 19
	.set _ZL44rocblas_set_matrix_zero_if_alpha_zero_kernelILi16ELi16E19rocblas_complex_numIdEPKPS1_EviiT1_lT2_lli.num_named_barrier, 0
	.set _ZL44rocblas_set_matrix_zero_if_alpha_zero_kernelILi16ELi16E19rocblas_complex_numIdEPKPS1_EviiT1_lT2_lli.private_seg_size, 0
	.set _ZL44rocblas_set_matrix_zero_if_alpha_zero_kernelILi16ELi16E19rocblas_complex_numIdEPKPS1_EviiT1_lT2_lli.uses_vcc, 1
	.set _ZL44rocblas_set_matrix_zero_if_alpha_zero_kernelILi16ELi16E19rocblas_complex_numIdEPKPS1_EviiT1_lT2_lli.uses_flat_scratch, 0
	.set _ZL44rocblas_set_matrix_zero_if_alpha_zero_kernelILi16ELi16E19rocblas_complex_numIdEPKPS1_EviiT1_lT2_lli.has_dyn_sized_stack, 0
	.set _ZL44rocblas_set_matrix_zero_if_alpha_zero_kernelILi16ELi16E19rocblas_complex_numIdEPKPS1_EviiT1_lT2_lli.has_recursion, 0
	.set _ZL44rocblas_set_matrix_zero_if_alpha_zero_kernelILi16ELi16E19rocblas_complex_numIdEPKPS1_EviiT1_lT2_lli.has_indirect_call, 0
	.section	.AMDGPU.csdata,"",@progbits
; Kernel info:
; codeLenInByte = 476
; TotalNumSgprs: 21
; NumVgprs: 12
; ScratchSize: 0
; MemoryBound: 0
; FloatMode: 240
; IeeeMode: 1
; LDSByteSize: 0 bytes/workgroup (compile time only)
; SGPRBlocks: 0
; VGPRBlocks: 0
; NumSGPRsForWavesPerEU: 21
; NumVGPRsForWavesPerEU: 12
; NamedBarCnt: 0
; Occupancy: 16
; WaveLimiterHint : 0
; COMPUTE_PGM_RSRC2:SCRATCH_EN: 0
; COMPUTE_PGM_RSRC2:USER_SGPR: 2
; COMPUTE_PGM_RSRC2:TRAP_HANDLER: 0
; COMPUTE_PGM_RSRC2:TGID_X_EN: 1
; COMPUTE_PGM_RSRC2:TGID_Y_EN: 1
; COMPUTE_PGM_RSRC2:TGID_Z_EN: 1
; COMPUTE_PGM_RSRC2:TIDIG_COMP_CNT: 1
	.section	.text._ZL44rocblas_set_matrix_zero_if_alpha_zero_kernelILi16ELi16EPK19rocblas_complex_numIdEPS1_EviiT1_lT2_lli,"axG",@progbits,_ZL44rocblas_set_matrix_zero_if_alpha_zero_kernelILi16ELi16EPK19rocblas_complex_numIdEPS1_EviiT1_lT2_lli,comdat
	.globl	_ZL44rocblas_set_matrix_zero_if_alpha_zero_kernelILi16ELi16EPK19rocblas_complex_numIdEPS1_EviiT1_lT2_lli ; -- Begin function _ZL44rocblas_set_matrix_zero_if_alpha_zero_kernelILi16ELi16EPK19rocblas_complex_numIdEPS1_EviiT1_lT2_lli
	.p2align	8
	.type	_ZL44rocblas_set_matrix_zero_if_alpha_zero_kernelILi16ELi16EPK19rocblas_complex_numIdEPS1_EviiT1_lT2_lli,@function
_ZL44rocblas_set_matrix_zero_if_alpha_zero_kernelILi16ELi16EPK19rocblas_complex_numIdEPS1_EviiT1_lT2_lli: ; @_ZL44rocblas_set_matrix_zero_if_alpha_zero_kernelILi16ELi16EPK19rocblas_complex_numIdEPS1_EviiT1_lT2_lli
; %bb.0:
	s_load_b32 s18, s[0:1], 0x30
	s_bfe_u32 s2, ttmp6, 0x40014
	s_lshr_b32 s3, ttmp7, 16
	s_add_co_i32 s2, s2, 1
	s_bfe_u32 s5, ttmp6, 0x40008
	s_mul_i32 s4, s3, s2
	s_getreg_b32 s2, hwreg(HW_REG_IB_STS2, 6, 4)
	s_add_co_i32 s5, s5, s4
	s_cmp_eq_u32 s2, 0
	s_mov_b32 s13, 0
	s_cselect_b32 s12, s3, s5
	s_wait_kmcnt 0x0
	s_cmp_ge_u32 s12, s18
	s_cbranch_scc1 .LBB206_6
; %bb.1:
	s_load_b256 s[4:11], s[0:1], 0x8
	s_bfe_u32 s3, ttmp6, 0x40010
	s_bfe_u32 s15, ttmp6, 0x4000c
	s_and_b32 s14, ttmp7, 0xffff
	s_add_co_i32 s3, s3, 1
	s_add_co_i32 s15, s15, 1
	s_mul_i32 s3, s14, s3
	s_bfe_u32 s16, ttmp6, 0x40004
	s_and_b32 s17, ttmp6, 15
	s_mul_i32 s15, ttmp9, s15
	s_add_co_i32 s16, s16, s3
	s_add_co_i32 s17, s17, s15
	v_bfe_u32 v1, v0, 10, 10
	v_mov_b32_e32 v2, 0
	s_cmp_eq_u32 s2, 0
	v_and_b32_e32 v0, 0x3ff, v0
	s_cselect_b32 s2, s14, s16
	s_cselect_b32 s14, ttmp9, s17
	v_lshl_add_u32 v6, s2, 4, v1
	v_dual_mov_b32 v7, v2 :: v_dual_mov_b32 v1, v2
	s_load_b64 s[2:3], s[0:1], 0x0
	v_lshl_add_u32 v0, s14, 4, v0
	s_load_b64 s[16:17], s[0:1], 0x28
	s_wait_kmcnt 0x0
	v_mul_u64_e32 v[4:5], s[10:11], v[6:7]
	s_lshl_b64 s[10:11], s[10:11], 4
	v_lshlrev_b64_e32 v[8:9], 4, v[0:1]
	s_ashr_i32 s21, s2, 31
	s_mov_b32 s20, s2
	s_ashr_i32 s15, s3, 31
	s_mov_b32 s14, s3
	v_cmp_gt_i64_e32 vcc_lo, s[20:21], v[0:1]
	v_cmp_gt_i64_e64 s2, s[14:15], v[6:7]
	s_and_b32 s19, s2, vcc_lo
	s_lshl_b64 s[2:3], s[16:17], 4
	v_lshl_add_u64 v[4:5], v[4:5], 4, v[8:9]
	s_delay_alu instid0(VALU_DEP_1) | instskip(SKIP_1) | instid1(VALU_DEP_1)
	v_add_nc_u64_e32 v[4:5], s[8:9], v[4:5]
	s_add_nc_u64 s[8:9], s[0:1], 56
	v_add_nc_u64_e32 v[0:1], 8, v[4:5]
	s_branch .LBB206_3
.LBB206_2:                              ;   in Loop: Header=BB206_3 Depth=1
	s_or_b32 exec_lo, exec_lo, s20
	s_add_co_i32 s12, s12, 0x10000
	s_delay_alu instid0(SALU_CYCLE_1)
	s_cmp_lt_u32 s12, s18
	s_cbranch_scc0 .LBB206_6
.LBB206_3:                              ; =>This Loop Header: Depth=1
                                        ;     Child Loop BB206_5 Depth 2
	s_mul_u64 s[0:1], s[6:7], s[12:13]
	s_delay_alu instid0(SALU_CYCLE_1) | instskip(NEXT) | instid1(SALU_CYCLE_1)
	s_lshl_b64 s[0:1], s[0:1], 4
	s_add_nc_u64 s[0:1], s[4:5], s[0:1]
	global_load_b128 v[8:11], v2, s[0:1]
	s_wait_loadcnt 0x0
	v_cmp_eq_f64_e32 vcc_lo, 0, v[8:9]
	s_wait_xcnt 0x0
	v_cmp_eq_f64_e64 s0, 0, v[10:11]
	s_and_b32 s0, vcc_lo, s0
	s_delay_alu instid0(SALU_CYCLE_1) | instskip(NEXT) | instid1(SALU_CYCLE_1)
	s_and_b32 s0, s0, s19
	s_and_saveexec_b32 s20, s0
	s_cbranch_execz .LBB206_2
; %bb.4:                                ;   in Loop: Header=BB206_3 Depth=1
	s_load_b32 s0, s[8:9], 0x4
	v_mad_nc_u64_u32 v[8:9], s2, s12, v[0:1]
	v_mov_b64_e32 v[10:11], v[6:7]
	s_mov_b32 s1, s13
	s_mov_b32 s21, 0
	s_delay_alu instid0(VALU_DEP_2) | instskip(SKIP_2) | instid1(SALU_CYCLE_1)
	v_mad_u32 v9, s3, s12, v9
	s_wait_kmcnt 0x0
	s_lshl_b32 s0, s0, 4
	s_mul_u64 s[16:17], s[10:11], s[0:1]
.LBB206_5:                              ;   Parent Loop BB206_3 Depth=1
                                        ; =>  This Inner Loop Header: Depth=2
	v_add_nc_u64_e32 v[10:11], s[0:1], v[10:11]
	v_dual_mov_b32 v3, v2 :: v_dual_mov_b32 v4, v2
	v_mov_b32_e32 v5, v2
	s_delay_alu instid0(VALU_DEP_3) | instskip(SKIP_4) | instid1(SALU_CYCLE_1)
	v_cmp_le_i64_e32 vcc_lo, s[14:15], v[10:11]
	global_store_b128 v[8:9], v[2:5], off offset:-8
	s_wait_xcnt 0x0
	v_add_nc_u64_e32 v[8:9], s[16:17], v[8:9]
	s_or_b32 s21, vcc_lo, s21
	s_and_not1_b32 exec_lo, exec_lo, s21
	s_cbranch_execnz .LBB206_5
	s_branch .LBB206_2
.LBB206_6:
	s_endpgm
	.section	.rodata,"a",@progbits
	.p2align	6, 0x0
	.amdhsa_kernel _ZL44rocblas_set_matrix_zero_if_alpha_zero_kernelILi16ELi16EPK19rocblas_complex_numIdEPS1_EviiT1_lT2_lli
		.amdhsa_group_segment_fixed_size 0
		.amdhsa_private_segment_fixed_size 0
		.amdhsa_kernarg_size 312
		.amdhsa_user_sgpr_count 2
		.amdhsa_user_sgpr_dispatch_ptr 0
		.amdhsa_user_sgpr_queue_ptr 0
		.amdhsa_user_sgpr_kernarg_segment_ptr 1
		.amdhsa_user_sgpr_dispatch_id 0
		.amdhsa_user_sgpr_kernarg_preload_length 0
		.amdhsa_user_sgpr_kernarg_preload_offset 0
		.amdhsa_user_sgpr_private_segment_size 0
		.amdhsa_wavefront_size32 1
		.amdhsa_uses_dynamic_stack 0
		.amdhsa_enable_private_segment 0
		.amdhsa_system_sgpr_workgroup_id_x 1
		.amdhsa_system_sgpr_workgroup_id_y 1
		.amdhsa_system_sgpr_workgroup_id_z 1
		.amdhsa_system_sgpr_workgroup_info 0
		.amdhsa_system_vgpr_workitem_id 1
		.amdhsa_next_free_vgpr 12
		.amdhsa_next_free_sgpr 22
		.amdhsa_named_barrier_count 0
		.amdhsa_reserve_vcc 1
		.amdhsa_float_round_mode_32 0
		.amdhsa_float_round_mode_16_64 0
		.amdhsa_float_denorm_mode_32 3
		.amdhsa_float_denorm_mode_16_64 3
		.amdhsa_fp16_overflow 0
		.amdhsa_memory_ordered 1
		.amdhsa_forward_progress 1
		.amdhsa_inst_pref_size 4
		.amdhsa_round_robin_scheduling 0
		.amdhsa_exception_fp_ieee_invalid_op 0
		.amdhsa_exception_fp_denorm_src 0
		.amdhsa_exception_fp_ieee_div_zero 0
		.amdhsa_exception_fp_ieee_overflow 0
		.amdhsa_exception_fp_ieee_underflow 0
		.amdhsa_exception_fp_ieee_inexact 0
		.amdhsa_exception_int_div_zero 0
	.end_amdhsa_kernel
	.section	.text._ZL44rocblas_set_matrix_zero_if_alpha_zero_kernelILi16ELi16EPK19rocblas_complex_numIdEPS1_EviiT1_lT2_lli,"axG",@progbits,_ZL44rocblas_set_matrix_zero_if_alpha_zero_kernelILi16ELi16EPK19rocblas_complex_numIdEPS1_EviiT1_lT2_lli,comdat
.Lfunc_end206:
	.size	_ZL44rocblas_set_matrix_zero_if_alpha_zero_kernelILi16ELi16EPK19rocblas_complex_numIdEPS1_EviiT1_lT2_lli, .Lfunc_end206-_ZL44rocblas_set_matrix_zero_if_alpha_zero_kernelILi16ELi16EPK19rocblas_complex_numIdEPS1_EviiT1_lT2_lli
                                        ; -- End function
	.set _ZL44rocblas_set_matrix_zero_if_alpha_zero_kernelILi16ELi16EPK19rocblas_complex_numIdEPS1_EviiT1_lT2_lli.num_vgpr, 12
	.set _ZL44rocblas_set_matrix_zero_if_alpha_zero_kernelILi16ELi16EPK19rocblas_complex_numIdEPS1_EviiT1_lT2_lli.num_agpr, 0
	.set _ZL44rocblas_set_matrix_zero_if_alpha_zero_kernelILi16ELi16EPK19rocblas_complex_numIdEPS1_EviiT1_lT2_lli.numbered_sgpr, 22
	.set _ZL44rocblas_set_matrix_zero_if_alpha_zero_kernelILi16ELi16EPK19rocblas_complex_numIdEPS1_EviiT1_lT2_lli.num_named_barrier, 0
	.set _ZL44rocblas_set_matrix_zero_if_alpha_zero_kernelILi16ELi16EPK19rocblas_complex_numIdEPS1_EviiT1_lT2_lli.private_seg_size, 0
	.set _ZL44rocblas_set_matrix_zero_if_alpha_zero_kernelILi16ELi16EPK19rocblas_complex_numIdEPS1_EviiT1_lT2_lli.uses_vcc, 1
	.set _ZL44rocblas_set_matrix_zero_if_alpha_zero_kernelILi16ELi16EPK19rocblas_complex_numIdEPS1_EviiT1_lT2_lli.uses_flat_scratch, 0
	.set _ZL44rocblas_set_matrix_zero_if_alpha_zero_kernelILi16ELi16EPK19rocblas_complex_numIdEPS1_EviiT1_lT2_lli.has_dyn_sized_stack, 0
	.set _ZL44rocblas_set_matrix_zero_if_alpha_zero_kernelILi16ELi16EPK19rocblas_complex_numIdEPS1_EviiT1_lT2_lli.has_recursion, 0
	.set _ZL44rocblas_set_matrix_zero_if_alpha_zero_kernelILi16ELi16EPK19rocblas_complex_numIdEPS1_EviiT1_lT2_lli.has_indirect_call, 0
	.section	.AMDGPU.csdata,"",@progbits
; Kernel info:
; codeLenInByte = 500
; TotalNumSgprs: 24
; NumVgprs: 12
; ScratchSize: 0
; MemoryBound: 0
; FloatMode: 240
; IeeeMode: 1
; LDSByteSize: 0 bytes/workgroup (compile time only)
; SGPRBlocks: 0
; VGPRBlocks: 0
; NumSGPRsForWavesPerEU: 24
; NumVGPRsForWavesPerEU: 12
; NamedBarCnt: 0
; Occupancy: 16
; WaveLimiterHint : 0
; COMPUTE_PGM_RSRC2:SCRATCH_EN: 0
; COMPUTE_PGM_RSRC2:USER_SGPR: 2
; COMPUTE_PGM_RSRC2:TRAP_HANDLER: 0
; COMPUTE_PGM_RSRC2:TGID_X_EN: 1
; COMPUTE_PGM_RSRC2:TGID_Y_EN: 1
; COMPUTE_PGM_RSRC2:TGID_Z_EN: 1
; COMPUTE_PGM_RSRC2:TIDIG_COMP_CNT: 1
	.section	.text._ZL44rocblas_set_matrix_zero_if_alpha_zero_kernelILi16ELi16E19rocblas_complex_numIdEPS1_EviiT1_lT2_lli,"axG",@progbits,_ZL44rocblas_set_matrix_zero_if_alpha_zero_kernelILi16ELi16E19rocblas_complex_numIdEPS1_EviiT1_lT2_lli,comdat
	.globl	_ZL44rocblas_set_matrix_zero_if_alpha_zero_kernelILi16ELi16E19rocblas_complex_numIdEPS1_EviiT1_lT2_lli ; -- Begin function _ZL44rocblas_set_matrix_zero_if_alpha_zero_kernelILi16ELi16E19rocblas_complex_numIdEPS1_EviiT1_lT2_lli
	.p2align	8
	.type	_ZL44rocblas_set_matrix_zero_if_alpha_zero_kernelILi16ELi16E19rocblas_complex_numIdEPS1_EviiT1_lT2_lli,@function
_ZL44rocblas_set_matrix_zero_if_alpha_zero_kernelILi16ELi16E19rocblas_complex_numIdEPS1_EviiT1_lT2_lli: ; @_ZL44rocblas_set_matrix_zero_if_alpha_zero_kernelILi16ELi16E19rocblas_complex_numIdEPS1_EviiT1_lT2_lli
; %bb.0:
	s_load_b32 s12, s[0:1], 0x38
	s_bfe_u32 s2, ttmp6, 0x40014
	s_lshr_b32 s3, ttmp7, 16
	s_add_co_i32 s2, s2, 1
	s_bfe_u32 s5, ttmp6, 0x40008
	s_mul_i32 s4, s3, s2
	s_getreg_b32 s2, hwreg(HW_REG_IB_STS2, 6, 4)
	s_add_co_i32 s5, s5, s4
	s_cmp_eq_u32 s2, 0
	s_cselect_b32 s13, s3, s5
	s_mov_b32 s3, 0
	s_wait_kmcnt 0x0
	s_cmp_ge_u32 s13, s12
	s_cbranch_scc1 .LBB207_6
; %bb.1:
	s_load_b128 s[4:7], s[0:1], 0x8
	s_bfe_u32 s11, ttmp6, 0x40010
	s_bfe_u32 s16, ttmp6, 0x4000c
	s_and_b32 s10, ttmp7, 0xffff
	s_add_co_i32 s11, s11, 1
	s_add_co_i32 s16, s16, 1
	s_bfe_u32 s14, ttmp6, 0x40004
	s_and_b32 s15, ttmp6, 15
	s_mul_i32 s11, s10, s11
	s_mul_i32 s16, ttmp9, s16
	v_mov_b32_e32 v2, 0
	v_bfe_u32 v1, v0, 10, 10
	s_add_co_i32 s14, s14, s11
	s_add_co_i32 s16, s15, s16
	v_and_b32_e32 v0, 0x3ff, v0
	v_mov_b32_e32 v7, v2
	s_wait_kmcnt 0x0
	v_cmp_eq_f64_e64 s8, s[4:5], 0
	v_cmp_eq_f64_e64 s9, s[6:7], 0
	s_load_b128 s[4:7], s[0:1], 0x20
	s_and_b32 s18, s8, s9
	s_cmp_eq_u32 s2, 0
	s_cselect_b32 s2, s10, s14
	s_load_b64 s[14:15], s[0:1], 0x0
	v_lshl_add_u32 v6, s2, 4, v1
	v_mov_b32_e32 v1, v2
	s_cselect_b32 s2, ttmp9, s16
	s_load_b64 s[10:11], s[0:1], 0x30
	v_lshl_add_u32 v0, s2, 4, v0
	s_wait_kmcnt 0x0
	v_mul_u64_e32 v[4:5], s[6:7], v[6:7]
	s_add_nc_u64 s[0:1], s[0:1], 64
	s_lshl_b64 s[6:7], s[6:7], 4
	v_lshlrev_b64_e32 v[8:9], 4, v[0:1]
	s_ashr_i32 s9, s15, 31
	s_mov_b32 s8, s15
	s_ashr_i32 s17, s14, 31
	s_mov_b32 s16, s14
	v_cmp_gt_i64_e32 vcc_lo, s[8:9], v[6:7]
	v_cmp_gt_i64_e64 s2, s[16:17], v[0:1]
	s_delay_alu instid0(VALU_DEP_4) | instskip(NEXT) | instid1(VALU_DEP_1)
	v_lshl_add_u64 v[4:5], v[4:5], 4, v[8:9]
	v_add_nc_u64_e32 v[4:5], s[4:5], v[4:5]
	s_and_b32 s4, vcc_lo, s18
	s_delay_alu instid0(SALU_CYCLE_1) | instskip(SKIP_1) | instid1(VALU_DEP_1)
	s_and_b32 s14, s4, s2
	s_lshl_b64 s[4:5], s[10:11], 4
	v_add_nc_u64_e32 v[0:1], 8, v[4:5]
	s_branch .LBB207_3
.LBB207_2:                              ;   in Loop: Header=BB207_3 Depth=1
	s_or_b32 exec_lo, exec_lo, s15
	s_add_co_i32 s13, s13, 0x10000
	s_delay_alu instid0(SALU_CYCLE_1)
	s_cmp_lt_u32 s13, s12
	s_cbranch_scc0 .LBB207_6
.LBB207_3:                              ; =>This Loop Header: Depth=1
                                        ;     Child Loop BB207_5 Depth 2
	s_and_saveexec_b32 s15, s14
	s_cbranch_execz .LBB207_2
; %bb.4:                                ;   in Loop: Header=BB207_3 Depth=1
	s_load_b32 s2, s[0:1], 0x4
	s_delay_alu instid0(VALU_DEP_1) | instskip(SKIP_2) | instid1(VALU_DEP_2)
	v_mad_nc_u64_u32 v[8:9], s4, s13, v[0:1]
	v_mov_b64_e32 v[10:11], v[6:7]
	s_mov_b32 s16, 0
	v_mad_u32 v9, s5, s13, v9
	s_wait_kmcnt 0x0
	s_lshl_b32 s2, s2, 4
	s_delay_alu instid0(SALU_CYCLE_1)
	s_mul_u64 s[10:11], s[6:7], s[2:3]
.LBB207_5:                              ;   Parent Loop BB207_3 Depth=1
                                        ; =>  This Inner Loop Header: Depth=2
	s_delay_alu instid0(VALU_DEP_2) | instskip(SKIP_2) | instid1(VALU_DEP_3)
	v_add_nc_u64_e32 v[10:11], s[2:3], v[10:11]
	v_dual_mov_b32 v3, v2 :: v_dual_mov_b32 v4, v2
	v_mov_b32_e32 v5, v2
	v_cmp_le_i64_e32 vcc_lo, s[8:9], v[10:11]
	global_store_b128 v[8:9], v[2:5], off offset:-8
	s_wait_xcnt 0x0
	v_add_nc_u64_e32 v[8:9], s[10:11], v[8:9]
	s_or_b32 s16, vcc_lo, s16
	s_delay_alu instid0(SALU_CYCLE_1)
	s_and_not1_b32 exec_lo, exec_lo, s16
	s_cbranch_execnz .LBB207_5
	s_branch .LBB207_2
.LBB207_6:
	s_endpgm
	.section	.rodata,"a",@progbits
	.p2align	6, 0x0
	.amdhsa_kernel _ZL44rocblas_set_matrix_zero_if_alpha_zero_kernelILi16ELi16E19rocblas_complex_numIdEPS1_EviiT1_lT2_lli
		.amdhsa_group_segment_fixed_size 0
		.amdhsa_private_segment_fixed_size 0
		.amdhsa_kernarg_size 320
		.amdhsa_user_sgpr_count 2
		.amdhsa_user_sgpr_dispatch_ptr 0
		.amdhsa_user_sgpr_queue_ptr 0
		.amdhsa_user_sgpr_kernarg_segment_ptr 1
		.amdhsa_user_sgpr_dispatch_id 0
		.amdhsa_user_sgpr_kernarg_preload_length 0
		.amdhsa_user_sgpr_kernarg_preload_offset 0
		.amdhsa_user_sgpr_private_segment_size 0
		.amdhsa_wavefront_size32 1
		.amdhsa_uses_dynamic_stack 0
		.amdhsa_enable_private_segment 0
		.amdhsa_system_sgpr_workgroup_id_x 1
		.amdhsa_system_sgpr_workgroup_id_y 1
		.amdhsa_system_sgpr_workgroup_id_z 1
		.amdhsa_system_sgpr_workgroup_info 0
		.amdhsa_system_vgpr_workitem_id 1
		.amdhsa_next_free_vgpr 12
		.amdhsa_next_free_sgpr 19
		.amdhsa_named_barrier_count 0
		.amdhsa_reserve_vcc 1
		.amdhsa_float_round_mode_32 0
		.amdhsa_float_round_mode_16_64 0
		.amdhsa_float_denorm_mode_32 3
		.amdhsa_float_denorm_mode_16_64 3
		.amdhsa_fp16_overflow 0
		.amdhsa_memory_ordered 1
		.amdhsa_forward_progress 1
		.amdhsa_inst_pref_size 4
		.amdhsa_round_robin_scheduling 0
		.amdhsa_exception_fp_ieee_invalid_op 0
		.amdhsa_exception_fp_denorm_src 0
		.amdhsa_exception_fp_ieee_div_zero 0
		.amdhsa_exception_fp_ieee_overflow 0
		.amdhsa_exception_fp_ieee_underflow 0
		.amdhsa_exception_fp_ieee_inexact 0
		.amdhsa_exception_int_div_zero 0
	.end_amdhsa_kernel
	.section	.text._ZL44rocblas_set_matrix_zero_if_alpha_zero_kernelILi16ELi16E19rocblas_complex_numIdEPS1_EviiT1_lT2_lli,"axG",@progbits,_ZL44rocblas_set_matrix_zero_if_alpha_zero_kernelILi16ELi16E19rocblas_complex_numIdEPS1_EviiT1_lT2_lli,comdat
.Lfunc_end207:
	.size	_ZL44rocblas_set_matrix_zero_if_alpha_zero_kernelILi16ELi16E19rocblas_complex_numIdEPS1_EviiT1_lT2_lli, .Lfunc_end207-_ZL44rocblas_set_matrix_zero_if_alpha_zero_kernelILi16ELi16E19rocblas_complex_numIdEPS1_EviiT1_lT2_lli
                                        ; -- End function
	.set _ZL44rocblas_set_matrix_zero_if_alpha_zero_kernelILi16ELi16E19rocblas_complex_numIdEPS1_EviiT1_lT2_lli.num_vgpr, 12
	.set _ZL44rocblas_set_matrix_zero_if_alpha_zero_kernelILi16ELi16E19rocblas_complex_numIdEPS1_EviiT1_lT2_lli.num_agpr, 0
	.set _ZL44rocblas_set_matrix_zero_if_alpha_zero_kernelILi16ELi16E19rocblas_complex_numIdEPS1_EviiT1_lT2_lli.numbered_sgpr, 19
	.set _ZL44rocblas_set_matrix_zero_if_alpha_zero_kernelILi16ELi16E19rocblas_complex_numIdEPS1_EviiT1_lT2_lli.num_named_barrier, 0
	.set _ZL44rocblas_set_matrix_zero_if_alpha_zero_kernelILi16ELi16E19rocblas_complex_numIdEPS1_EviiT1_lT2_lli.private_seg_size, 0
	.set _ZL44rocblas_set_matrix_zero_if_alpha_zero_kernelILi16ELi16E19rocblas_complex_numIdEPS1_EviiT1_lT2_lli.uses_vcc, 1
	.set _ZL44rocblas_set_matrix_zero_if_alpha_zero_kernelILi16ELi16E19rocblas_complex_numIdEPS1_EviiT1_lT2_lli.uses_flat_scratch, 0
	.set _ZL44rocblas_set_matrix_zero_if_alpha_zero_kernelILi16ELi16E19rocblas_complex_numIdEPS1_EviiT1_lT2_lli.has_dyn_sized_stack, 0
	.set _ZL44rocblas_set_matrix_zero_if_alpha_zero_kernelILi16ELi16E19rocblas_complex_numIdEPS1_EviiT1_lT2_lli.has_recursion, 0
	.set _ZL44rocblas_set_matrix_zero_if_alpha_zero_kernelILi16ELi16E19rocblas_complex_numIdEPS1_EviiT1_lT2_lli.has_indirect_call, 0
	.section	.AMDGPU.csdata,"",@progbits
; Kernel info:
; codeLenInByte = 480
; TotalNumSgprs: 21
; NumVgprs: 12
; ScratchSize: 0
; MemoryBound: 0
; FloatMode: 240
; IeeeMode: 1
; LDSByteSize: 0 bytes/workgroup (compile time only)
; SGPRBlocks: 0
; VGPRBlocks: 0
; NumSGPRsForWavesPerEU: 21
; NumVGPRsForWavesPerEU: 12
; NamedBarCnt: 0
; Occupancy: 16
; WaveLimiterHint : 0
; COMPUTE_PGM_RSRC2:SCRATCH_EN: 0
; COMPUTE_PGM_RSRC2:USER_SGPR: 2
; COMPUTE_PGM_RSRC2:TRAP_HANDLER: 0
; COMPUTE_PGM_RSRC2:TGID_X_EN: 1
; COMPUTE_PGM_RSRC2:TGID_Y_EN: 1
; COMPUTE_PGM_RSRC2:TGID_Z_EN: 1
; COMPUTE_PGM_RSRC2:TIDIG_COMP_CNT: 1
	.section	.AMDGPU.gpr_maximums,"",@progbits
	.set amdgpu.max_num_vgpr, 0
	.set amdgpu.max_num_agpr, 0
	.set amdgpu.max_num_sgpr, 0
	.section	.AMDGPU.csdata,"",@progbits
	.type	__hip_cuid_ebf8662ed0fe672c,@object ; @__hip_cuid_ebf8662ed0fe672c
	.section	.bss,"aw",@nobits
	.globl	__hip_cuid_ebf8662ed0fe672c
__hip_cuid_ebf8662ed0fe672c:
	.byte	0                               ; 0x0
	.size	__hip_cuid_ebf8662ed0fe672c, 1

	.ident	"AMD clang version 22.0.0git (https://github.com/RadeonOpenCompute/llvm-project roc-7.2.4 26084 f58b06dce1f9c15707c5f808fd002e18c2accf7e)"
	.section	".note.GNU-stack","",@progbits
	.addrsig
	.addrsig_sym __hip_cuid_ebf8662ed0fe672c
	.amdgpu_metadata
---
amdhsa.kernels:
  - .args:
      - .offset:         0
        .size:           4
        .value_kind:     by_value
      - .offset:         4
        .size:           4
        .value_kind:     by_value
      - .offset:         8
        .size:           4
        .value_kind:     by_value
      - .address_space:  global
        .offset:         16
        .size:           8
        .value_kind:     global_buffer
      - .offset:         24
        .size:           8
        .value_kind:     by_value
      - .address_space:  global
        .offset:         32
        .size:           8
        .value_kind:     global_buffer
      - .offset:         40
        .size:           8
        .value_kind:     by_value
      - .offset:         48
        .size:           8
        .value_kind:     by_value
      - .offset:         56
        .size:           8
        .value_kind:     by_value
      - .address_space:  global
        .offset:         64
        .size:           8
        .value_kind:     global_buffer
      - .offset:         72
        .size:           8
        .value_kind:     by_value
      - .offset:         80
        .size:           8
        .value_kind:     by_value
      - .offset:         88
        .size:           8
        .value_kind:     by_value
      - .address_space:  global
        .offset:         96
        .size:           8
        .value_kind:     global_buffer
      - .offset:         104
        .size:           8
        .value_kind:     by_value
      - .offset:         112
        .size:           8
        .value_kind:     by_value
      - .offset:         120
        .size:           8
        .value_kind:     by_value
      - .offset:         128
        .size:           4
        .value_kind:     by_value
      - .offset:         136
        .size:           4
        .value_kind:     hidden_block_count_x
      - .offset:         140
        .size:           4
        .value_kind:     hidden_block_count_y
      - .offset:         144
        .size:           4
        .value_kind:     hidden_block_count_z
      - .offset:         148
        .size:           2
        .value_kind:     hidden_group_size_x
      - .offset:         150
        .size:           2
        .value_kind:     hidden_group_size_y
      - .offset:         152
        .size:           2
        .value_kind:     hidden_group_size_z
      - .offset:         154
        .size:           2
        .value_kind:     hidden_remainder_x
      - .offset:         156
        .size:           2
        .value_kind:     hidden_remainder_y
      - .offset:         158
        .size:           2
        .value_kind:     hidden_remainder_z
      - .offset:         176
        .size:           8
        .value_kind:     hidden_global_offset_x
      - .offset:         184
        .size:           8
        .value_kind:     hidden_global_offset_y
      - .offset:         192
        .size:           8
        .value_kind:     hidden_global_offset_z
      - .offset:         200
        .size:           2
        .value_kind:     hidden_grid_dims
    .group_segment_fixed_size: 8192
    .kernarg_segment_align: 8
    .kernarg_segment_size: 392
    .language:       OpenCL C
    .language_version:
      - 2
      - 0
    .max_flat_workgroup_size: 1024
    .name:           _ZL30rocblas_trmm_outofplace_kernelIfLi32ELi2ELb1ELb0ELb0ELb0EPKfS0_fEv17rocblas_diagonal_iiT6_lPT7_lllS5_lllPT8_llli
    .private_segment_fixed_size: 0
    .sgpr_count:     59
    .sgpr_spill_count: 0
    .symbol:         _ZL30rocblas_trmm_outofplace_kernelIfLi32ELi2ELb1ELb0ELb0ELb0EPKfS0_fEv17rocblas_diagonal_iiT6_lPT7_lllS5_lllPT8_llli.kd
    .uniform_work_group_size: 1
    .uses_dynamic_stack: false
    .vgpr_count:     76
    .vgpr_spill_count: 0
    .wavefront_size: 32
  - .args:
      - .offset:         0
        .size:           4
        .value_kind:     by_value
      - .offset:         4
        .size:           4
        .value_kind:     by_value
      - .offset:         8
        .size:           4
        .value_kind:     by_value
      - .offset:         12
        .size:           4
        .value_kind:     by_value
      - .offset:         16
        .size:           8
        .value_kind:     by_value
      - .address_space:  global
        .offset:         24
        .size:           8
        .value_kind:     global_buffer
      - .offset:         32
        .size:           8
        .value_kind:     by_value
      - .offset:         40
        .size:           8
        .value_kind:     by_value
      - .offset:         48
        .size:           8
        .value_kind:     by_value
      - .address_space:  global
        .offset:         56
        .size:           8
        .value_kind:     global_buffer
      - .offset:         64
        .size:           8
        .value_kind:     by_value
      - .offset:         72
        .size:           8
        .value_kind:     by_value
      - .offset:         80
        .size:           8
        .value_kind:     by_value
      - .address_space:  global
        .offset:         88
        .size:           8
        .value_kind:     global_buffer
      - .offset:         96
        .size:           8
        .value_kind:     by_value
      - .offset:         104
        .size:           8
        .value_kind:     by_value
      - .offset:         112
        .size:           8
        .value_kind:     by_value
      - .offset:         120
        .size:           4
        .value_kind:     by_value
      - .offset:         128
        .size:           4
        .value_kind:     hidden_block_count_x
      - .offset:         132
        .size:           4
        .value_kind:     hidden_block_count_y
      - .offset:         136
        .size:           4
        .value_kind:     hidden_block_count_z
      - .offset:         140
        .size:           2
        .value_kind:     hidden_group_size_x
      - .offset:         142
        .size:           2
        .value_kind:     hidden_group_size_y
      - .offset:         144
        .size:           2
        .value_kind:     hidden_group_size_z
      - .offset:         146
        .size:           2
        .value_kind:     hidden_remainder_x
      - .offset:         148
        .size:           2
        .value_kind:     hidden_remainder_y
      - .offset:         150
        .size:           2
        .value_kind:     hidden_remainder_z
      - .offset:         168
        .size:           8
        .value_kind:     hidden_global_offset_x
      - .offset:         176
        .size:           8
        .value_kind:     hidden_global_offset_y
      - .offset:         184
        .size:           8
        .value_kind:     hidden_global_offset_z
      - .offset:         192
        .size:           2
        .value_kind:     hidden_grid_dims
    .group_segment_fixed_size: 8192
    .kernarg_segment_align: 8
    .kernarg_segment_size: 384
    .language:       OpenCL C
    .language_version:
      - 2
      - 0
    .max_flat_workgroup_size: 1024
    .name:           _ZL30rocblas_trmm_outofplace_kernelIfLi32ELi2ELb1ELb0ELb0ELb0EfKffEv17rocblas_diagonal_iiT6_lPT7_lllS4_lllPT8_llli
    .private_segment_fixed_size: 0
    .sgpr_count:     56
    .sgpr_spill_count: 0
    .symbol:         _ZL30rocblas_trmm_outofplace_kernelIfLi32ELi2ELb1ELb0ELb0ELb0EfKffEv17rocblas_diagonal_iiT6_lPT7_lllS4_lllPT8_llli.kd
    .uniform_work_group_size: 1
    .uses_dynamic_stack: false
    .vgpr_count:     77
    .vgpr_spill_count: 0
    .wavefront_size: 32
  - .args:
      - .offset:         0
        .size:           4
        .value_kind:     by_value
      - .offset:         4
        .size:           4
        .value_kind:     by_value
      - .offset:         8
        .size:           4
        .value_kind:     by_value
      - .address_space:  global
        .offset:         16
        .size:           8
        .value_kind:     global_buffer
      - .offset:         24
        .size:           8
        .value_kind:     by_value
      - .address_space:  global
        .offset:         32
        .size:           8
        .value_kind:     global_buffer
      - .offset:         40
        .size:           8
        .value_kind:     by_value
      - .offset:         48
        .size:           8
        .value_kind:     by_value
      - .offset:         56
        .size:           8
        .value_kind:     by_value
      - .address_space:  global
        .offset:         64
        .size:           8
        .value_kind:     global_buffer
      - .offset:         72
        .size:           8
        .value_kind:     by_value
      - .offset:         80
        .size:           8
        .value_kind:     by_value
      - .offset:         88
        .size:           8
        .value_kind:     by_value
      - .address_space:  global
        .offset:         96
        .size:           8
        .value_kind:     global_buffer
      - .offset:         104
        .size:           8
        .value_kind:     by_value
      - .offset:         112
        .size:           8
        .value_kind:     by_value
      - .offset:         120
        .size:           8
        .value_kind:     by_value
      - .offset:         128
        .size:           4
        .value_kind:     by_value
      - .offset:         136
        .size:           4
        .value_kind:     hidden_block_count_x
      - .offset:         140
        .size:           4
        .value_kind:     hidden_block_count_y
      - .offset:         144
        .size:           4
        .value_kind:     hidden_block_count_z
      - .offset:         148
        .size:           2
        .value_kind:     hidden_group_size_x
      - .offset:         150
        .size:           2
        .value_kind:     hidden_group_size_y
      - .offset:         152
        .size:           2
        .value_kind:     hidden_group_size_z
      - .offset:         154
        .size:           2
        .value_kind:     hidden_remainder_x
      - .offset:         156
        .size:           2
        .value_kind:     hidden_remainder_y
      - .offset:         158
        .size:           2
        .value_kind:     hidden_remainder_z
      - .offset:         176
        .size:           8
        .value_kind:     hidden_global_offset_x
      - .offset:         184
        .size:           8
        .value_kind:     hidden_global_offset_y
      - .offset:         192
        .size:           8
        .value_kind:     hidden_global_offset_z
      - .offset:         200
        .size:           2
        .value_kind:     hidden_grid_dims
    .group_segment_fixed_size: 8192
    .kernarg_segment_align: 8
    .kernarg_segment_size: 392
    .language:       OpenCL C
    .language_version:
      - 2
      - 0
    .max_flat_workgroup_size: 1024
    .name:           _ZL30rocblas_trmm_outofplace_kernelIfLi32ELi2ELb1ELb1ELb0ELb0EPKfS0_fEv17rocblas_diagonal_iiT6_lPT7_lllS5_lllPT8_llli
    .private_segment_fixed_size: 0
    .sgpr_count:     63
    .sgpr_spill_count: 0
    .symbol:         _ZL30rocblas_trmm_outofplace_kernelIfLi32ELi2ELb1ELb1ELb0ELb0EPKfS0_fEv17rocblas_diagonal_iiT6_lPT7_lllS5_lllPT8_llli.kd
    .uniform_work_group_size: 1
    .uses_dynamic_stack: false
    .vgpr_count:     76
    .vgpr_spill_count: 0
    .wavefront_size: 32
  - .args:
      - .offset:         0
        .size:           4
        .value_kind:     by_value
      - .offset:         4
        .size:           4
        .value_kind:     by_value
      - .offset:         8
        .size:           4
        .value_kind:     by_value
      - .offset:         12
        .size:           4
        .value_kind:     by_value
      - .offset:         16
        .size:           8
        .value_kind:     by_value
      - .address_space:  global
        .offset:         24
        .size:           8
        .value_kind:     global_buffer
      - .offset:         32
        .size:           8
        .value_kind:     by_value
      - .offset:         40
        .size:           8
        .value_kind:     by_value
      - .offset:         48
        .size:           8
        .value_kind:     by_value
      - .address_space:  global
        .offset:         56
        .size:           8
        .value_kind:     global_buffer
      - .offset:         64
        .size:           8
        .value_kind:     by_value
      - .offset:         72
        .size:           8
        .value_kind:     by_value
      - .offset:         80
        .size:           8
        .value_kind:     by_value
      - .address_space:  global
        .offset:         88
        .size:           8
        .value_kind:     global_buffer
      - .offset:         96
        .size:           8
        .value_kind:     by_value
      - .offset:         104
        .size:           8
        .value_kind:     by_value
      - .offset:         112
        .size:           8
        .value_kind:     by_value
      - .offset:         120
        .size:           4
        .value_kind:     by_value
      - .offset:         128
        .size:           4
        .value_kind:     hidden_block_count_x
      - .offset:         132
        .size:           4
        .value_kind:     hidden_block_count_y
      - .offset:         136
        .size:           4
        .value_kind:     hidden_block_count_z
      - .offset:         140
        .size:           2
        .value_kind:     hidden_group_size_x
      - .offset:         142
        .size:           2
        .value_kind:     hidden_group_size_y
      - .offset:         144
        .size:           2
        .value_kind:     hidden_group_size_z
      - .offset:         146
        .size:           2
        .value_kind:     hidden_remainder_x
      - .offset:         148
        .size:           2
        .value_kind:     hidden_remainder_y
      - .offset:         150
        .size:           2
        .value_kind:     hidden_remainder_z
      - .offset:         168
        .size:           8
        .value_kind:     hidden_global_offset_x
      - .offset:         176
        .size:           8
        .value_kind:     hidden_global_offset_y
      - .offset:         184
        .size:           8
        .value_kind:     hidden_global_offset_z
      - .offset:         192
        .size:           2
        .value_kind:     hidden_grid_dims
    .group_segment_fixed_size: 8192
    .kernarg_segment_align: 8
    .kernarg_segment_size: 384
    .language:       OpenCL C
    .language_version:
      - 2
      - 0
    .max_flat_workgroup_size: 1024
    .name:           _ZL30rocblas_trmm_outofplace_kernelIfLi32ELi2ELb1ELb1ELb0ELb0EfKffEv17rocblas_diagonal_iiT6_lPT7_lllS4_lllPT8_llli
    .private_segment_fixed_size: 0
    .sgpr_count:     60
    .sgpr_spill_count: 0
    .symbol:         _ZL30rocblas_trmm_outofplace_kernelIfLi32ELi2ELb1ELb1ELb0ELb0EfKffEv17rocblas_diagonal_iiT6_lPT7_lllS4_lllPT8_llli.kd
    .uniform_work_group_size: 1
    .uses_dynamic_stack: false
    .vgpr_count:     75
    .vgpr_spill_count: 0
    .wavefront_size: 32
  - .args:
      - .offset:         0
        .size:           4
        .value_kind:     by_value
      - .offset:         4
        .size:           4
        .value_kind:     by_value
      - .offset:         8
        .size:           4
        .value_kind:     by_value
      - .address_space:  global
        .offset:         16
        .size:           8
        .value_kind:     global_buffer
      - .offset:         24
        .size:           8
        .value_kind:     by_value
      - .address_space:  global
        .offset:         32
        .size:           8
        .value_kind:     global_buffer
      - .offset:         40
        .size:           8
        .value_kind:     by_value
      - .offset:         48
        .size:           8
        .value_kind:     by_value
      - .offset:         56
        .size:           8
        .value_kind:     by_value
      - .address_space:  global
        .offset:         64
        .size:           8
        .value_kind:     global_buffer
      - .offset:         72
        .size:           8
        .value_kind:     by_value
      - .offset:         80
        .size:           8
        .value_kind:     by_value
      - .offset:         88
        .size:           8
        .value_kind:     by_value
      - .address_space:  global
        .offset:         96
        .size:           8
        .value_kind:     global_buffer
      - .offset:         104
        .size:           8
        .value_kind:     by_value
      - .offset:         112
        .size:           8
        .value_kind:     by_value
      - .offset:         120
        .size:           8
        .value_kind:     by_value
      - .offset:         128
        .size:           4
        .value_kind:     by_value
      - .offset:         136
        .size:           4
        .value_kind:     hidden_block_count_x
      - .offset:         140
        .size:           4
        .value_kind:     hidden_block_count_y
      - .offset:         144
        .size:           4
        .value_kind:     hidden_block_count_z
      - .offset:         148
        .size:           2
        .value_kind:     hidden_group_size_x
      - .offset:         150
        .size:           2
        .value_kind:     hidden_group_size_y
      - .offset:         152
        .size:           2
        .value_kind:     hidden_group_size_z
      - .offset:         154
        .size:           2
        .value_kind:     hidden_remainder_x
      - .offset:         156
        .size:           2
        .value_kind:     hidden_remainder_y
      - .offset:         158
        .size:           2
        .value_kind:     hidden_remainder_z
      - .offset:         176
        .size:           8
        .value_kind:     hidden_global_offset_x
      - .offset:         184
        .size:           8
        .value_kind:     hidden_global_offset_y
      - .offset:         192
        .size:           8
        .value_kind:     hidden_global_offset_z
      - .offset:         200
        .size:           2
        .value_kind:     hidden_grid_dims
    .group_segment_fixed_size: 8192
    .kernarg_segment_align: 8
    .kernarg_segment_size: 392
    .language:       OpenCL C
    .language_version:
      - 2
      - 0
    .max_flat_workgroup_size: 1024
    .name:           _ZL30rocblas_trmm_outofplace_kernelIfLi32ELi2ELb1ELb0ELb1ELb0EPKfS0_fEv17rocblas_diagonal_iiT6_lPT7_lllS5_lllPT8_llli
    .private_segment_fixed_size: 0
    .sgpr_count:     59
    .sgpr_spill_count: 0
    .symbol:         _ZL30rocblas_trmm_outofplace_kernelIfLi32ELi2ELb1ELb0ELb1ELb0EPKfS0_fEv17rocblas_diagonal_iiT6_lPT7_lllS5_lllPT8_llli.kd
    .uniform_work_group_size: 1
    .uses_dynamic_stack: false
    .vgpr_count:     78
    .vgpr_spill_count: 0
    .wavefront_size: 32
  - .args:
      - .offset:         0
        .size:           4
        .value_kind:     by_value
      - .offset:         4
        .size:           4
        .value_kind:     by_value
      - .offset:         8
        .size:           4
        .value_kind:     by_value
      - .offset:         12
        .size:           4
        .value_kind:     by_value
      - .offset:         16
        .size:           8
        .value_kind:     by_value
      - .address_space:  global
        .offset:         24
        .size:           8
        .value_kind:     global_buffer
      - .offset:         32
        .size:           8
        .value_kind:     by_value
      - .offset:         40
        .size:           8
        .value_kind:     by_value
      - .offset:         48
        .size:           8
        .value_kind:     by_value
      - .address_space:  global
        .offset:         56
        .size:           8
        .value_kind:     global_buffer
      - .offset:         64
        .size:           8
        .value_kind:     by_value
      - .offset:         72
        .size:           8
        .value_kind:     by_value
      - .offset:         80
        .size:           8
        .value_kind:     by_value
      - .address_space:  global
        .offset:         88
        .size:           8
        .value_kind:     global_buffer
      - .offset:         96
        .size:           8
        .value_kind:     by_value
      - .offset:         104
        .size:           8
        .value_kind:     by_value
      - .offset:         112
        .size:           8
        .value_kind:     by_value
      - .offset:         120
        .size:           4
        .value_kind:     by_value
      - .offset:         128
        .size:           4
        .value_kind:     hidden_block_count_x
      - .offset:         132
        .size:           4
        .value_kind:     hidden_block_count_y
      - .offset:         136
        .size:           4
        .value_kind:     hidden_block_count_z
      - .offset:         140
        .size:           2
        .value_kind:     hidden_group_size_x
      - .offset:         142
        .size:           2
        .value_kind:     hidden_group_size_y
      - .offset:         144
        .size:           2
        .value_kind:     hidden_group_size_z
      - .offset:         146
        .size:           2
        .value_kind:     hidden_remainder_x
      - .offset:         148
        .size:           2
        .value_kind:     hidden_remainder_y
      - .offset:         150
        .size:           2
        .value_kind:     hidden_remainder_z
      - .offset:         168
        .size:           8
        .value_kind:     hidden_global_offset_x
      - .offset:         176
        .size:           8
        .value_kind:     hidden_global_offset_y
      - .offset:         184
        .size:           8
        .value_kind:     hidden_global_offset_z
      - .offset:         192
        .size:           2
        .value_kind:     hidden_grid_dims
    .group_segment_fixed_size: 8192
    .kernarg_segment_align: 8
    .kernarg_segment_size: 384
    .language:       OpenCL C
    .language_version:
      - 2
      - 0
    .max_flat_workgroup_size: 1024
    .name:           _ZL30rocblas_trmm_outofplace_kernelIfLi32ELi2ELb1ELb0ELb1ELb0EfKffEv17rocblas_diagonal_iiT6_lPT7_lllS4_lllPT8_llli
    .private_segment_fixed_size: 0
    .sgpr_count:     56
    .sgpr_spill_count: 0
    .symbol:         _ZL30rocblas_trmm_outofplace_kernelIfLi32ELi2ELb1ELb0ELb1ELb0EfKffEv17rocblas_diagonal_iiT6_lPT7_lllS4_lllPT8_llli.kd
    .uniform_work_group_size: 1
    .uses_dynamic_stack: false
    .vgpr_count:     78
    .vgpr_spill_count: 0
    .wavefront_size: 32
  - .args:
      - .offset:         0
        .size:           4
        .value_kind:     by_value
      - .offset:         4
        .size:           4
        .value_kind:     by_value
      - .offset:         8
        .size:           4
        .value_kind:     by_value
      - .address_space:  global
        .offset:         16
        .size:           8
        .value_kind:     global_buffer
      - .offset:         24
        .size:           8
        .value_kind:     by_value
      - .address_space:  global
        .offset:         32
        .size:           8
        .value_kind:     global_buffer
      - .offset:         40
        .size:           8
        .value_kind:     by_value
      - .offset:         48
        .size:           8
        .value_kind:     by_value
      - .offset:         56
        .size:           8
        .value_kind:     by_value
      - .address_space:  global
        .offset:         64
        .size:           8
        .value_kind:     global_buffer
      - .offset:         72
        .size:           8
        .value_kind:     by_value
      - .offset:         80
        .size:           8
        .value_kind:     by_value
      - .offset:         88
        .size:           8
        .value_kind:     by_value
      - .address_space:  global
        .offset:         96
        .size:           8
        .value_kind:     global_buffer
      - .offset:         104
        .size:           8
        .value_kind:     by_value
      - .offset:         112
        .size:           8
        .value_kind:     by_value
      - .offset:         120
        .size:           8
        .value_kind:     by_value
      - .offset:         128
        .size:           4
        .value_kind:     by_value
      - .offset:         136
        .size:           4
        .value_kind:     hidden_block_count_x
      - .offset:         140
        .size:           4
        .value_kind:     hidden_block_count_y
      - .offset:         144
        .size:           4
        .value_kind:     hidden_block_count_z
      - .offset:         148
        .size:           2
        .value_kind:     hidden_group_size_x
      - .offset:         150
        .size:           2
        .value_kind:     hidden_group_size_y
      - .offset:         152
        .size:           2
        .value_kind:     hidden_group_size_z
      - .offset:         154
        .size:           2
        .value_kind:     hidden_remainder_x
      - .offset:         156
        .size:           2
        .value_kind:     hidden_remainder_y
      - .offset:         158
        .size:           2
        .value_kind:     hidden_remainder_z
      - .offset:         176
        .size:           8
        .value_kind:     hidden_global_offset_x
      - .offset:         184
        .size:           8
        .value_kind:     hidden_global_offset_y
      - .offset:         192
        .size:           8
        .value_kind:     hidden_global_offset_z
      - .offset:         200
        .size:           2
        .value_kind:     hidden_grid_dims
    .group_segment_fixed_size: 8192
    .kernarg_segment_align: 8
    .kernarg_segment_size: 392
    .language:       OpenCL C
    .language_version:
      - 2
      - 0
    .max_flat_workgroup_size: 1024
    .name:           _ZL30rocblas_trmm_outofplace_kernelIfLi32ELi2ELb1ELb1ELb1ELb0EPKfS0_fEv17rocblas_diagonal_iiT6_lPT7_lllS5_lllPT8_llli
    .private_segment_fixed_size: 0
    .sgpr_count:     59
    .sgpr_spill_count: 0
    .symbol:         _ZL30rocblas_trmm_outofplace_kernelIfLi32ELi2ELb1ELb1ELb1ELb0EPKfS0_fEv17rocblas_diagonal_iiT6_lPT7_lllS5_lllPT8_llli.kd
    .uniform_work_group_size: 1
    .uses_dynamic_stack: false
    .vgpr_count:     78
    .vgpr_spill_count: 0
    .wavefront_size: 32
  - .args:
      - .offset:         0
        .size:           4
        .value_kind:     by_value
      - .offset:         4
        .size:           4
        .value_kind:     by_value
      - .offset:         8
        .size:           4
        .value_kind:     by_value
      - .offset:         12
        .size:           4
        .value_kind:     by_value
      - .offset:         16
        .size:           8
        .value_kind:     by_value
      - .address_space:  global
        .offset:         24
        .size:           8
        .value_kind:     global_buffer
      - .offset:         32
        .size:           8
        .value_kind:     by_value
      - .offset:         40
        .size:           8
        .value_kind:     by_value
      - .offset:         48
        .size:           8
        .value_kind:     by_value
      - .address_space:  global
        .offset:         56
        .size:           8
        .value_kind:     global_buffer
      - .offset:         64
        .size:           8
        .value_kind:     by_value
      - .offset:         72
        .size:           8
        .value_kind:     by_value
      - .offset:         80
        .size:           8
        .value_kind:     by_value
      - .address_space:  global
        .offset:         88
        .size:           8
        .value_kind:     global_buffer
      - .offset:         96
        .size:           8
        .value_kind:     by_value
      - .offset:         104
        .size:           8
        .value_kind:     by_value
      - .offset:         112
        .size:           8
        .value_kind:     by_value
      - .offset:         120
        .size:           4
        .value_kind:     by_value
      - .offset:         128
        .size:           4
        .value_kind:     hidden_block_count_x
      - .offset:         132
        .size:           4
        .value_kind:     hidden_block_count_y
      - .offset:         136
        .size:           4
        .value_kind:     hidden_block_count_z
      - .offset:         140
        .size:           2
        .value_kind:     hidden_group_size_x
      - .offset:         142
        .size:           2
        .value_kind:     hidden_group_size_y
      - .offset:         144
        .size:           2
        .value_kind:     hidden_group_size_z
      - .offset:         146
        .size:           2
        .value_kind:     hidden_remainder_x
      - .offset:         148
        .size:           2
        .value_kind:     hidden_remainder_y
      - .offset:         150
        .size:           2
        .value_kind:     hidden_remainder_z
      - .offset:         168
        .size:           8
        .value_kind:     hidden_global_offset_x
      - .offset:         176
        .size:           8
        .value_kind:     hidden_global_offset_y
      - .offset:         184
        .size:           8
        .value_kind:     hidden_global_offset_z
      - .offset:         192
        .size:           2
        .value_kind:     hidden_grid_dims
    .group_segment_fixed_size: 8192
    .kernarg_segment_align: 8
    .kernarg_segment_size: 384
    .language:       OpenCL C
    .language_version:
      - 2
      - 0
    .max_flat_workgroup_size: 1024
    .name:           _ZL30rocblas_trmm_outofplace_kernelIfLi32ELi2ELb1ELb1ELb1ELb0EfKffEv17rocblas_diagonal_iiT6_lPT7_lllS4_lllPT8_llli
    .private_segment_fixed_size: 0
    .sgpr_count:     56
    .sgpr_spill_count: 0
    .symbol:         _ZL30rocblas_trmm_outofplace_kernelIfLi32ELi2ELb1ELb1ELb1ELb0EfKffEv17rocblas_diagonal_iiT6_lPT7_lllS4_lllPT8_llli.kd
    .uniform_work_group_size: 1
    .uses_dynamic_stack: false
    .vgpr_count:     78
    .vgpr_spill_count: 0
    .wavefront_size: 32
  - .args:
      - .offset:         0
        .size:           4
        .value_kind:     by_value
      - .offset:         4
        .size:           4
        .value_kind:     by_value
      - .offset:         8
        .size:           4
        .value_kind:     by_value
      - .address_space:  global
        .offset:         16
        .size:           8
        .value_kind:     global_buffer
      - .offset:         24
        .size:           8
        .value_kind:     by_value
      - .address_space:  global
        .offset:         32
        .size:           8
        .value_kind:     global_buffer
      - .offset:         40
        .size:           8
        .value_kind:     by_value
      - .offset:         48
        .size:           8
        .value_kind:     by_value
      - .offset:         56
        .size:           8
        .value_kind:     by_value
      - .address_space:  global
        .offset:         64
        .size:           8
        .value_kind:     global_buffer
      - .offset:         72
        .size:           8
        .value_kind:     by_value
      - .offset:         80
        .size:           8
        .value_kind:     by_value
      - .offset:         88
        .size:           8
        .value_kind:     by_value
      - .address_space:  global
        .offset:         96
        .size:           8
        .value_kind:     global_buffer
      - .offset:         104
        .size:           8
        .value_kind:     by_value
      - .offset:         112
        .size:           8
        .value_kind:     by_value
      - .offset:         120
        .size:           8
        .value_kind:     by_value
      - .offset:         128
        .size:           4
        .value_kind:     by_value
      - .offset:         136
        .size:           4
        .value_kind:     hidden_block_count_x
      - .offset:         140
        .size:           4
        .value_kind:     hidden_block_count_y
      - .offset:         144
        .size:           4
        .value_kind:     hidden_block_count_z
      - .offset:         148
        .size:           2
        .value_kind:     hidden_group_size_x
      - .offset:         150
        .size:           2
        .value_kind:     hidden_group_size_y
      - .offset:         152
        .size:           2
        .value_kind:     hidden_group_size_z
      - .offset:         154
        .size:           2
        .value_kind:     hidden_remainder_x
      - .offset:         156
        .size:           2
        .value_kind:     hidden_remainder_y
      - .offset:         158
        .size:           2
        .value_kind:     hidden_remainder_z
      - .offset:         176
        .size:           8
        .value_kind:     hidden_global_offset_x
      - .offset:         184
        .size:           8
        .value_kind:     hidden_global_offset_y
      - .offset:         192
        .size:           8
        .value_kind:     hidden_global_offset_z
      - .offset:         200
        .size:           2
        .value_kind:     hidden_grid_dims
    .group_segment_fixed_size: 8192
    .kernarg_segment_align: 8
    .kernarg_segment_size: 392
    .language:       OpenCL C
    .language_version:
      - 2
      - 0
    .max_flat_workgroup_size: 1024
    .name:           _ZL30rocblas_trmm_outofplace_kernelIfLi32ELi2ELb1ELb0ELb1ELb1EPKfS0_fEv17rocblas_diagonal_iiT6_lPT7_lllS5_lllPT8_llli
    .private_segment_fixed_size: 0
    .sgpr_count:     59
    .sgpr_spill_count: 0
    .symbol:         _ZL30rocblas_trmm_outofplace_kernelIfLi32ELi2ELb1ELb0ELb1ELb1EPKfS0_fEv17rocblas_diagonal_iiT6_lPT7_lllS5_lllPT8_llli.kd
    .uniform_work_group_size: 1
    .uses_dynamic_stack: false
    .vgpr_count:     78
    .vgpr_spill_count: 0
    .wavefront_size: 32
  - .args:
      - .offset:         0
        .size:           4
        .value_kind:     by_value
      - .offset:         4
        .size:           4
        .value_kind:     by_value
      - .offset:         8
        .size:           4
        .value_kind:     by_value
      - .offset:         12
        .size:           4
        .value_kind:     by_value
      - .offset:         16
        .size:           8
        .value_kind:     by_value
      - .address_space:  global
        .offset:         24
        .size:           8
        .value_kind:     global_buffer
      - .offset:         32
        .size:           8
        .value_kind:     by_value
      - .offset:         40
        .size:           8
        .value_kind:     by_value
      - .offset:         48
        .size:           8
        .value_kind:     by_value
      - .address_space:  global
        .offset:         56
        .size:           8
        .value_kind:     global_buffer
      - .offset:         64
        .size:           8
        .value_kind:     by_value
      - .offset:         72
        .size:           8
        .value_kind:     by_value
      - .offset:         80
        .size:           8
        .value_kind:     by_value
      - .address_space:  global
        .offset:         88
        .size:           8
        .value_kind:     global_buffer
      - .offset:         96
        .size:           8
        .value_kind:     by_value
      - .offset:         104
        .size:           8
        .value_kind:     by_value
      - .offset:         112
        .size:           8
        .value_kind:     by_value
      - .offset:         120
        .size:           4
        .value_kind:     by_value
      - .offset:         128
        .size:           4
        .value_kind:     hidden_block_count_x
      - .offset:         132
        .size:           4
        .value_kind:     hidden_block_count_y
      - .offset:         136
        .size:           4
        .value_kind:     hidden_block_count_z
      - .offset:         140
        .size:           2
        .value_kind:     hidden_group_size_x
      - .offset:         142
        .size:           2
        .value_kind:     hidden_group_size_y
      - .offset:         144
        .size:           2
        .value_kind:     hidden_group_size_z
      - .offset:         146
        .size:           2
        .value_kind:     hidden_remainder_x
      - .offset:         148
        .size:           2
        .value_kind:     hidden_remainder_y
      - .offset:         150
        .size:           2
        .value_kind:     hidden_remainder_z
      - .offset:         168
        .size:           8
        .value_kind:     hidden_global_offset_x
      - .offset:         176
        .size:           8
        .value_kind:     hidden_global_offset_y
      - .offset:         184
        .size:           8
        .value_kind:     hidden_global_offset_z
      - .offset:         192
        .size:           2
        .value_kind:     hidden_grid_dims
    .group_segment_fixed_size: 8192
    .kernarg_segment_align: 8
    .kernarg_segment_size: 384
    .language:       OpenCL C
    .language_version:
      - 2
      - 0
    .max_flat_workgroup_size: 1024
    .name:           _ZL30rocblas_trmm_outofplace_kernelIfLi32ELi2ELb1ELb0ELb1ELb1EfKffEv17rocblas_diagonal_iiT6_lPT7_lllS4_lllPT8_llli
    .private_segment_fixed_size: 0
    .sgpr_count:     56
    .sgpr_spill_count: 0
    .symbol:         _ZL30rocblas_trmm_outofplace_kernelIfLi32ELi2ELb1ELb0ELb1ELb1EfKffEv17rocblas_diagonal_iiT6_lPT7_lllS4_lllPT8_llli.kd
    .uniform_work_group_size: 1
    .uses_dynamic_stack: false
    .vgpr_count:     78
    .vgpr_spill_count: 0
    .wavefront_size: 32
  - .args:
      - .offset:         0
        .size:           4
        .value_kind:     by_value
      - .offset:         4
        .size:           4
        .value_kind:     by_value
      - .offset:         8
        .size:           4
        .value_kind:     by_value
      - .address_space:  global
        .offset:         16
        .size:           8
        .value_kind:     global_buffer
      - .offset:         24
        .size:           8
        .value_kind:     by_value
      - .address_space:  global
        .offset:         32
        .size:           8
        .value_kind:     global_buffer
      - .offset:         40
        .size:           8
        .value_kind:     by_value
      - .offset:         48
        .size:           8
        .value_kind:     by_value
      - .offset:         56
        .size:           8
        .value_kind:     by_value
      - .address_space:  global
        .offset:         64
        .size:           8
        .value_kind:     global_buffer
      - .offset:         72
        .size:           8
        .value_kind:     by_value
      - .offset:         80
        .size:           8
        .value_kind:     by_value
      - .offset:         88
        .size:           8
        .value_kind:     by_value
      - .address_space:  global
        .offset:         96
        .size:           8
        .value_kind:     global_buffer
      - .offset:         104
        .size:           8
        .value_kind:     by_value
      - .offset:         112
        .size:           8
        .value_kind:     by_value
      - .offset:         120
        .size:           8
        .value_kind:     by_value
      - .offset:         128
        .size:           4
        .value_kind:     by_value
      - .offset:         136
        .size:           4
        .value_kind:     hidden_block_count_x
      - .offset:         140
        .size:           4
        .value_kind:     hidden_block_count_y
      - .offset:         144
        .size:           4
        .value_kind:     hidden_block_count_z
      - .offset:         148
        .size:           2
        .value_kind:     hidden_group_size_x
      - .offset:         150
        .size:           2
        .value_kind:     hidden_group_size_y
      - .offset:         152
        .size:           2
        .value_kind:     hidden_group_size_z
      - .offset:         154
        .size:           2
        .value_kind:     hidden_remainder_x
      - .offset:         156
        .size:           2
        .value_kind:     hidden_remainder_y
      - .offset:         158
        .size:           2
        .value_kind:     hidden_remainder_z
      - .offset:         176
        .size:           8
        .value_kind:     hidden_global_offset_x
      - .offset:         184
        .size:           8
        .value_kind:     hidden_global_offset_y
      - .offset:         192
        .size:           8
        .value_kind:     hidden_global_offset_z
      - .offset:         200
        .size:           2
        .value_kind:     hidden_grid_dims
    .group_segment_fixed_size: 8192
    .kernarg_segment_align: 8
    .kernarg_segment_size: 392
    .language:       OpenCL C
    .language_version:
      - 2
      - 0
    .max_flat_workgroup_size: 1024
    .name:           _ZL30rocblas_trmm_outofplace_kernelIfLi32ELi2ELb1ELb1ELb1ELb1EPKfS0_fEv17rocblas_diagonal_iiT6_lPT7_lllS5_lllPT8_llli
    .private_segment_fixed_size: 0
    .sgpr_count:     59
    .sgpr_spill_count: 0
    .symbol:         _ZL30rocblas_trmm_outofplace_kernelIfLi32ELi2ELb1ELb1ELb1ELb1EPKfS0_fEv17rocblas_diagonal_iiT6_lPT7_lllS5_lllPT8_llli.kd
    .uniform_work_group_size: 1
    .uses_dynamic_stack: false
    .vgpr_count:     78
    .vgpr_spill_count: 0
    .wavefront_size: 32
  - .args:
      - .offset:         0
        .size:           4
        .value_kind:     by_value
      - .offset:         4
        .size:           4
        .value_kind:     by_value
      - .offset:         8
        .size:           4
        .value_kind:     by_value
      - .offset:         12
        .size:           4
        .value_kind:     by_value
      - .offset:         16
        .size:           8
        .value_kind:     by_value
      - .address_space:  global
        .offset:         24
        .size:           8
        .value_kind:     global_buffer
      - .offset:         32
        .size:           8
        .value_kind:     by_value
      - .offset:         40
        .size:           8
        .value_kind:     by_value
      - .offset:         48
        .size:           8
        .value_kind:     by_value
      - .address_space:  global
        .offset:         56
        .size:           8
        .value_kind:     global_buffer
      - .offset:         64
        .size:           8
        .value_kind:     by_value
      - .offset:         72
        .size:           8
        .value_kind:     by_value
      - .offset:         80
        .size:           8
        .value_kind:     by_value
      - .address_space:  global
        .offset:         88
        .size:           8
        .value_kind:     global_buffer
      - .offset:         96
        .size:           8
        .value_kind:     by_value
      - .offset:         104
        .size:           8
        .value_kind:     by_value
      - .offset:         112
        .size:           8
        .value_kind:     by_value
      - .offset:         120
        .size:           4
        .value_kind:     by_value
      - .offset:         128
        .size:           4
        .value_kind:     hidden_block_count_x
      - .offset:         132
        .size:           4
        .value_kind:     hidden_block_count_y
      - .offset:         136
        .size:           4
        .value_kind:     hidden_block_count_z
      - .offset:         140
        .size:           2
        .value_kind:     hidden_group_size_x
      - .offset:         142
        .size:           2
        .value_kind:     hidden_group_size_y
      - .offset:         144
        .size:           2
        .value_kind:     hidden_group_size_z
      - .offset:         146
        .size:           2
        .value_kind:     hidden_remainder_x
      - .offset:         148
        .size:           2
        .value_kind:     hidden_remainder_y
      - .offset:         150
        .size:           2
        .value_kind:     hidden_remainder_z
      - .offset:         168
        .size:           8
        .value_kind:     hidden_global_offset_x
      - .offset:         176
        .size:           8
        .value_kind:     hidden_global_offset_y
      - .offset:         184
        .size:           8
        .value_kind:     hidden_global_offset_z
      - .offset:         192
        .size:           2
        .value_kind:     hidden_grid_dims
    .group_segment_fixed_size: 8192
    .kernarg_segment_align: 8
    .kernarg_segment_size: 384
    .language:       OpenCL C
    .language_version:
      - 2
      - 0
    .max_flat_workgroup_size: 1024
    .name:           _ZL30rocblas_trmm_outofplace_kernelIfLi32ELi2ELb1ELb1ELb1ELb1EfKffEv17rocblas_diagonal_iiT6_lPT7_lllS4_lllPT8_llli
    .private_segment_fixed_size: 0
    .sgpr_count:     56
    .sgpr_spill_count: 0
    .symbol:         _ZL30rocblas_trmm_outofplace_kernelIfLi32ELi2ELb1ELb1ELb1ELb1EfKffEv17rocblas_diagonal_iiT6_lPT7_lllS4_lllPT8_llli.kd
    .uniform_work_group_size: 1
    .uses_dynamic_stack: false
    .vgpr_count:     78
    .vgpr_spill_count: 0
    .wavefront_size: 32
  - .args:
      - .offset:         0
        .size:           4
        .value_kind:     by_value
      - .offset:         4
        .size:           4
        .value_kind:     by_value
      - .offset:         8
        .size:           4
        .value_kind:     by_value
      - .address_space:  global
        .offset:         16
        .size:           8
        .value_kind:     global_buffer
      - .offset:         24
        .size:           8
        .value_kind:     by_value
      - .address_space:  global
        .offset:         32
        .size:           8
        .value_kind:     global_buffer
      - .offset:         40
        .size:           8
        .value_kind:     by_value
      - .offset:         48
        .size:           8
        .value_kind:     by_value
      - .offset:         56
        .size:           8
        .value_kind:     by_value
      - .address_space:  global
        .offset:         64
        .size:           8
        .value_kind:     global_buffer
      - .offset:         72
        .size:           8
        .value_kind:     by_value
      - .offset:         80
        .size:           8
        .value_kind:     by_value
      - .offset:         88
        .size:           8
        .value_kind:     by_value
      - .address_space:  global
        .offset:         96
        .size:           8
        .value_kind:     global_buffer
      - .offset:         104
        .size:           8
        .value_kind:     by_value
      - .offset:         112
        .size:           8
        .value_kind:     by_value
      - .offset:         120
        .size:           8
        .value_kind:     by_value
      - .offset:         128
        .size:           4
        .value_kind:     by_value
      - .offset:         136
        .size:           4
        .value_kind:     hidden_block_count_x
      - .offset:         140
        .size:           4
        .value_kind:     hidden_block_count_y
      - .offset:         144
        .size:           4
        .value_kind:     hidden_block_count_z
      - .offset:         148
        .size:           2
        .value_kind:     hidden_group_size_x
      - .offset:         150
        .size:           2
        .value_kind:     hidden_group_size_y
      - .offset:         152
        .size:           2
        .value_kind:     hidden_group_size_z
      - .offset:         154
        .size:           2
        .value_kind:     hidden_remainder_x
      - .offset:         156
        .size:           2
        .value_kind:     hidden_remainder_y
      - .offset:         158
        .size:           2
        .value_kind:     hidden_remainder_z
      - .offset:         176
        .size:           8
        .value_kind:     hidden_global_offset_x
      - .offset:         184
        .size:           8
        .value_kind:     hidden_global_offset_y
      - .offset:         192
        .size:           8
        .value_kind:     hidden_global_offset_z
      - .offset:         200
        .size:           2
        .value_kind:     hidden_grid_dims
    .group_segment_fixed_size: 8192
    .kernarg_segment_align: 8
    .kernarg_segment_size: 392
    .language:       OpenCL C
    .language_version:
      - 2
      - 0
    .max_flat_workgroup_size: 1024
    .name:           _ZL30rocblas_trmm_outofplace_kernelIfLi32ELi2ELb0ELb0ELb0ELb0EPKfS0_fEv17rocblas_diagonal_iiT6_lPT7_lllS5_lllPT8_llli
    .private_segment_fixed_size: 0
    .sgpr_count:     65
    .sgpr_spill_count: 0
    .symbol:         _ZL30rocblas_trmm_outofplace_kernelIfLi32ELi2ELb0ELb0ELb0ELb0EPKfS0_fEv17rocblas_diagonal_iiT6_lPT7_lllS5_lllPT8_llli.kd
    .uniform_work_group_size: 1
    .uses_dynamic_stack: false
    .vgpr_count:     76
    .vgpr_spill_count: 0
    .wavefront_size: 32
  - .args:
      - .offset:         0
        .size:           4
        .value_kind:     by_value
      - .offset:         4
        .size:           4
        .value_kind:     by_value
      - .offset:         8
        .size:           4
        .value_kind:     by_value
      - .offset:         12
        .size:           4
        .value_kind:     by_value
      - .offset:         16
        .size:           8
        .value_kind:     by_value
      - .address_space:  global
        .offset:         24
        .size:           8
        .value_kind:     global_buffer
      - .offset:         32
        .size:           8
        .value_kind:     by_value
      - .offset:         40
        .size:           8
        .value_kind:     by_value
      - .offset:         48
        .size:           8
        .value_kind:     by_value
      - .address_space:  global
        .offset:         56
        .size:           8
        .value_kind:     global_buffer
      - .offset:         64
        .size:           8
        .value_kind:     by_value
      - .offset:         72
        .size:           8
        .value_kind:     by_value
      - .offset:         80
        .size:           8
        .value_kind:     by_value
      - .address_space:  global
        .offset:         88
        .size:           8
        .value_kind:     global_buffer
      - .offset:         96
        .size:           8
        .value_kind:     by_value
      - .offset:         104
        .size:           8
        .value_kind:     by_value
      - .offset:         112
        .size:           8
        .value_kind:     by_value
      - .offset:         120
        .size:           4
        .value_kind:     by_value
      - .offset:         128
        .size:           4
        .value_kind:     hidden_block_count_x
      - .offset:         132
        .size:           4
        .value_kind:     hidden_block_count_y
      - .offset:         136
        .size:           4
        .value_kind:     hidden_block_count_z
      - .offset:         140
        .size:           2
        .value_kind:     hidden_group_size_x
      - .offset:         142
        .size:           2
        .value_kind:     hidden_group_size_y
      - .offset:         144
        .size:           2
        .value_kind:     hidden_group_size_z
      - .offset:         146
        .size:           2
        .value_kind:     hidden_remainder_x
      - .offset:         148
        .size:           2
        .value_kind:     hidden_remainder_y
      - .offset:         150
        .size:           2
        .value_kind:     hidden_remainder_z
      - .offset:         168
        .size:           8
        .value_kind:     hidden_global_offset_x
      - .offset:         176
        .size:           8
        .value_kind:     hidden_global_offset_y
      - .offset:         184
        .size:           8
        .value_kind:     hidden_global_offset_z
      - .offset:         192
        .size:           2
        .value_kind:     hidden_grid_dims
    .group_segment_fixed_size: 8192
    .kernarg_segment_align: 8
    .kernarg_segment_size: 384
    .language:       OpenCL C
    .language_version:
      - 2
      - 0
    .max_flat_workgroup_size: 1024
    .name:           _ZL30rocblas_trmm_outofplace_kernelIfLi32ELi2ELb0ELb0ELb0ELb0EfKffEv17rocblas_diagonal_iiT6_lPT7_lllS4_lllPT8_llli
    .private_segment_fixed_size: 0
    .sgpr_count:     62
    .sgpr_spill_count: 0
    .symbol:         _ZL30rocblas_trmm_outofplace_kernelIfLi32ELi2ELb0ELb0ELb0ELb0EfKffEv17rocblas_diagonal_iiT6_lPT7_lllS4_lllPT8_llli.kd
    .uniform_work_group_size: 1
    .uses_dynamic_stack: false
    .vgpr_count:     75
    .vgpr_spill_count: 0
    .wavefront_size: 32
  - .args:
      - .offset:         0
        .size:           4
        .value_kind:     by_value
      - .offset:         4
        .size:           4
        .value_kind:     by_value
      - .offset:         8
        .size:           4
        .value_kind:     by_value
      - .address_space:  global
        .offset:         16
        .size:           8
        .value_kind:     global_buffer
      - .offset:         24
        .size:           8
        .value_kind:     by_value
      - .address_space:  global
        .offset:         32
        .size:           8
        .value_kind:     global_buffer
      - .offset:         40
        .size:           8
        .value_kind:     by_value
      - .offset:         48
        .size:           8
        .value_kind:     by_value
      - .offset:         56
        .size:           8
        .value_kind:     by_value
      - .address_space:  global
        .offset:         64
        .size:           8
        .value_kind:     global_buffer
      - .offset:         72
        .size:           8
        .value_kind:     by_value
      - .offset:         80
        .size:           8
        .value_kind:     by_value
      - .offset:         88
        .size:           8
        .value_kind:     by_value
      - .address_space:  global
        .offset:         96
        .size:           8
        .value_kind:     global_buffer
      - .offset:         104
        .size:           8
        .value_kind:     by_value
      - .offset:         112
        .size:           8
        .value_kind:     by_value
      - .offset:         120
        .size:           8
        .value_kind:     by_value
      - .offset:         128
        .size:           4
        .value_kind:     by_value
      - .offset:         136
        .size:           4
        .value_kind:     hidden_block_count_x
      - .offset:         140
        .size:           4
        .value_kind:     hidden_block_count_y
      - .offset:         144
        .size:           4
        .value_kind:     hidden_block_count_z
      - .offset:         148
        .size:           2
        .value_kind:     hidden_group_size_x
      - .offset:         150
        .size:           2
        .value_kind:     hidden_group_size_y
      - .offset:         152
        .size:           2
        .value_kind:     hidden_group_size_z
      - .offset:         154
        .size:           2
        .value_kind:     hidden_remainder_x
      - .offset:         156
        .size:           2
        .value_kind:     hidden_remainder_y
      - .offset:         158
        .size:           2
        .value_kind:     hidden_remainder_z
      - .offset:         176
        .size:           8
        .value_kind:     hidden_global_offset_x
      - .offset:         184
        .size:           8
        .value_kind:     hidden_global_offset_y
      - .offset:         192
        .size:           8
        .value_kind:     hidden_global_offset_z
      - .offset:         200
        .size:           2
        .value_kind:     hidden_grid_dims
    .group_segment_fixed_size: 8192
    .kernarg_segment_align: 8
    .kernarg_segment_size: 392
    .language:       OpenCL C
    .language_version:
      - 2
      - 0
    .max_flat_workgroup_size: 1024
    .name:           _ZL30rocblas_trmm_outofplace_kernelIfLi32ELi2ELb0ELb1ELb0ELb0EPKfS0_fEv17rocblas_diagonal_iiT6_lPT7_lllS5_lllPT8_llli
    .private_segment_fixed_size: 0
    .sgpr_count:     61
    .sgpr_spill_count: 0
    .symbol:         _ZL30rocblas_trmm_outofplace_kernelIfLi32ELi2ELb0ELb1ELb0ELb0EPKfS0_fEv17rocblas_diagonal_iiT6_lPT7_lllS5_lllPT8_llli.kd
    .uniform_work_group_size: 1
    .uses_dynamic_stack: false
    .vgpr_count:     78
    .vgpr_spill_count: 0
    .wavefront_size: 32
  - .args:
      - .offset:         0
        .size:           4
        .value_kind:     by_value
      - .offset:         4
        .size:           4
        .value_kind:     by_value
      - .offset:         8
        .size:           4
        .value_kind:     by_value
      - .offset:         12
        .size:           4
        .value_kind:     by_value
      - .offset:         16
        .size:           8
        .value_kind:     by_value
      - .address_space:  global
        .offset:         24
        .size:           8
        .value_kind:     global_buffer
      - .offset:         32
        .size:           8
        .value_kind:     by_value
      - .offset:         40
        .size:           8
        .value_kind:     by_value
      - .offset:         48
        .size:           8
        .value_kind:     by_value
      - .address_space:  global
        .offset:         56
        .size:           8
        .value_kind:     global_buffer
      - .offset:         64
        .size:           8
        .value_kind:     by_value
      - .offset:         72
        .size:           8
        .value_kind:     by_value
      - .offset:         80
        .size:           8
        .value_kind:     by_value
      - .address_space:  global
        .offset:         88
        .size:           8
        .value_kind:     global_buffer
      - .offset:         96
        .size:           8
        .value_kind:     by_value
      - .offset:         104
        .size:           8
        .value_kind:     by_value
      - .offset:         112
        .size:           8
        .value_kind:     by_value
      - .offset:         120
        .size:           4
        .value_kind:     by_value
      - .offset:         128
        .size:           4
        .value_kind:     hidden_block_count_x
      - .offset:         132
        .size:           4
        .value_kind:     hidden_block_count_y
      - .offset:         136
        .size:           4
        .value_kind:     hidden_block_count_z
      - .offset:         140
        .size:           2
        .value_kind:     hidden_group_size_x
      - .offset:         142
        .size:           2
        .value_kind:     hidden_group_size_y
      - .offset:         144
        .size:           2
        .value_kind:     hidden_group_size_z
      - .offset:         146
        .size:           2
        .value_kind:     hidden_remainder_x
      - .offset:         148
        .size:           2
        .value_kind:     hidden_remainder_y
      - .offset:         150
        .size:           2
        .value_kind:     hidden_remainder_z
      - .offset:         168
        .size:           8
        .value_kind:     hidden_global_offset_x
      - .offset:         176
        .size:           8
        .value_kind:     hidden_global_offset_y
      - .offset:         184
        .size:           8
        .value_kind:     hidden_global_offset_z
      - .offset:         192
        .size:           2
        .value_kind:     hidden_grid_dims
    .group_segment_fixed_size: 8192
    .kernarg_segment_align: 8
    .kernarg_segment_size: 384
    .language:       OpenCL C
    .language_version:
      - 2
      - 0
    .max_flat_workgroup_size: 1024
    .name:           _ZL30rocblas_trmm_outofplace_kernelIfLi32ELi2ELb0ELb1ELb0ELb0EfKffEv17rocblas_diagonal_iiT6_lPT7_lllS4_lllPT8_llli
    .private_segment_fixed_size: 0
    .sgpr_count:     58
    .sgpr_spill_count: 0
    .symbol:         _ZL30rocblas_trmm_outofplace_kernelIfLi32ELi2ELb0ELb1ELb0ELb0EfKffEv17rocblas_diagonal_iiT6_lPT7_lllS4_lllPT8_llli.kd
    .uniform_work_group_size: 1
    .uses_dynamic_stack: false
    .vgpr_count:     78
    .vgpr_spill_count: 0
    .wavefront_size: 32
  - .args:
      - .offset:         0
        .size:           4
        .value_kind:     by_value
      - .offset:         4
        .size:           4
        .value_kind:     by_value
      - .offset:         8
        .size:           4
        .value_kind:     by_value
      - .address_space:  global
        .offset:         16
        .size:           8
        .value_kind:     global_buffer
      - .offset:         24
        .size:           8
        .value_kind:     by_value
      - .address_space:  global
        .offset:         32
        .size:           8
        .value_kind:     global_buffer
      - .offset:         40
        .size:           8
        .value_kind:     by_value
      - .offset:         48
        .size:           8
        .value_kind:     by_value
      - .offset:         56
        .size:           8
        .value_kind:     by_value
      - .address_space:  global
        .offset:         64
        .size:           8
        .value_kind:     global_buffer
      - .offset:         72
        .size:           8
        .value_kind:     by_value
      - .offset:         80
        .size:           8
        .value_kind:     by_value
      - .offset:         88
        .size:           8
        .value_kind:     by_value
      - .address_space:  global
        .offset:         96
        .size:           8
        .value_kind:     global_buffer
      - .offset:         104
        .size:           8
        .value_kind:     by_value
      - .offset:         112
        .size:           8
        .value_kind:     by_value
      - .offset:         120
        .size:           8
        .value_kind:     by_value
      - .offset:         128
        .size:           4
        .value_kind:     by_value
      - .offset:         136
        .size:           4
        .value_kind:     hidden_block_count_x
      - .offset:         140
        .size:           4
        .value_kind:     hidden_block_count_y
      - .offset:         144
        .size:           4
        .value_kind:     hidden_block_count_z
      - .offset:         148
        .size:           2
        .value_kind:     hidden_group_size_x
      - .offset:         150
        .size:           2
        .value_kind:     hidden_group_size_y
      - .offset:         152
        .size:           2
        .value_kind:     hidden_group_size_z
      - .offset:         154
        .size:           2
        .value_kind:     hidden_remainder_x
      - .offset:         156
        .size:           2
        .value_kind:     hidden_remainder_y
      - .offset:         158
        .size:           2
        .value_kind:     hidden_remainder_z
      - .offset:         176
        .size:           8
        .value_kind:     hidden_global_offset_x
      - .offset:         184
        .size:           8
        .value_kind:     hidden_global_offset_y
      - .offset:         192
        .size:           8
        .value_kind:     hidden_global_offset_z
      - .offset:         200
        .size:           2
        .value_kind:     hidden_grid_dims
    .group_segment_fixed_size: 8192
    .kernarg_segment_align: 8
    .kernarg_segment_size: 392
    .language:       OpenCL C
    .language_version:
      - 2
      - 0
    .max_flat_workgroup_size: 1024
    .name:           _ZL30rocblas_trmm_outofplace_kernelIfLi32ELi2ELb0ELb0ELb1ELb0EPKfS0_fEv17rocblas_diagonal_iiT6_lPT7_lllS5_lllPT8_llli
    .private_segment_fixed_size: 0
    .sgpr_count:     55
    .sgpr_spill_count: 0
    .symbol:         _ZL30rocblas_trmm_outofplace_kernelIfLi32ELi2ELb0ELb0ELb1ELb0EPKfS0_fEv17rocblas_diagonal_iiT6_lPT7_lllS5_lllPT8_llli.kd
    .uniform_work_group_size: 1
    .uses_dynamic_stack: false
    .vgpr_count:     79
    .vgpr_spill_count: 0
    .wavefront_size: 32
  - .args:
      - .offset:         0
        .size:           4
        .value_kind:     by_value
      - .offset:         4
        .size:           4
        .value_kind:     by_value
      - .offset:         8
        .size:           4
        .value_kind:     by_value
      - .offset:         12
        .size:           4
        .value_kind:     by_value
      - .offset:         16
        .size:           8
        .value_kind:     by_value
      - .address_space:  global
        .offset:         24
        .size:           8
        .value_kind:     global_buffer
      - .offset:         32
        .size:           8
        .value_kind:     by_value
      - .offset:         40
        .size:           8
        .value_kind:     by_value
      - .offset:         48
        .size:           8
        .value_kind:     by_value
      - .address_space:  global
        .offset:         56
        .size:           8
        .value_kind:     global_buffer
      - .offset:         64
        .size:           8
        .value_kind:     by_value
      - .offset:         72
        .size:           8
        .value_kind:     by_value
      - .offset:         80
        .size:           8
        .value_kind:     by_value
      - .address_space:  global
        .offset:         88
        .size:           8
        .value_kind:     global_buffer
      - .offset:         96
        .size:           8
        .value_kind:     by_value
      - .offset:         104
        .size:           8
        .value_kind:     by_value
      - .offset:         112
        .size:           8
        .value_kind:     by_value
      - .offset:         120
        .size:           4
        .value_kind:     by_value
      - .offset:         128
        .size:           4
        .value_kind:     hidden_block_count_x
      - .offset:         132
        .size:           4
        .value_kind:     hidden_block_count_y
      - .offset:         136
        .size:           4
        .value_kind:     hidden_block_count_z
      - .offset:         140
        .size:           2
        .value_kind:     hidden_group_size_x
      - .offset:         142
        .size:           2
        .value_kind:     hidden_group_size_y
      - .offset:         144
        .size:           2
        .value_kind:     hidden_group_size_z
      - .offset:         146
        .size:           2
        .value_kind:     hidden_remainder_x
      - .offset:         148
        .size:           2
        .value_kind:     hidden_remainder_y
      - .offset:         150
        .size:           2
        .value_kind:     hidden_remainder_z
      - .offset:         168
        .size:           8
        .value_kind:     hidden_global_offset_x
      - .offset:         176
        .size:           8
        .value_kind:     hidden_global_offset_y
      - .offset:         184
        .size:           8
        .value_kind:     hidden_global_offset_z
      - .offset:         192
        .size:           2
        .value_kind:     hidden_grid_dims
    .group_segment_fixed_size: 8192
    .kernarg_segment_align: 8
    .kernarg_segment_size: 384
    .language:       OpenCL C
    .language_version:
      - 2
      - 0
    .max_flat_workgroup_size: 1024
    .name:           _ZL30rocblas_trmm_outofplace_kernelIfLi32ELi2ELb0ELb0ELb1ELb0EfKffEv17rocblas_diagonal_iiT6_lPT7_lllS4_lllPT8_llli
    .private_segment_fixed_size: 0
    .sgpr_count:     52
    .sgpr_spill_count: 0
    .symbol:         _ZL30rocblas_trmm_outofplace_kernelIfLi32ELi2ELb0ELb0ELb1ELb0EfKffEv17rocblas_diagonal_iiT6_lPT7_lllS4_lllPT8_llli.kd
    .uniform_work_group_size: 1
    .uses_dynamic_stack: false
    .vgpr_count:     79
    .vgpr_spill_count: 0
    .wavefront_size: 32
  - .args:
      - .offset:         0
        .size:           4
        .value_kind:     by_value
      - .offset:         4
        .size:           4
        .value_kind:     by_value
      - .offset:         8
        .size:           4
        .value_kind:     by_value
      - .address_space:  global
        .offset:         16
        .size:           8
        .value_kind:     global_buffer
      - .offset:         24
        .size:           8
        .value_kind:     by_value
      - .address_space:  global
        .offset:         32
        .size:           8
        .value_kind:     global_buffer
      - .offset:         40
        .size:           8
        .value_kind:     by_value
      - .offset:         48
        .size:           8
        .value_kind:     by_value
      - .offset:         56
        .size:           8
        .value_kind:     by_value
      - .address_space:  global
        .offset:         64
        .size:           8
        .value_kind:     global_buffer
      - .offset:         72
        .size:           8
        .value_kind:     by_value
      - .offset:         80
        .size:           8
        .value_kind:     by_value
      - .offset:         88
        .size:           8
        .value_kind:     by_value
      - .address_space:  global
        .offset:         96
        .size:           8
        .value_kind:     global_buffer
      - .offset:         104
        .size:           8
        .value_kind:     by_value
      - .offset:         112
        .size:           8
        .value_kind:     by_value
      - .offset:         120
        .size:           8
        .value_kind:     by_value
      - .offset:         128
        .size:           4
        .value_kind:     by_value
      - .offset:         136
        .size:           4
        .value_kind:     hidden_block_count_x
      - .offset:         140
        .size:           4
        .value_kind:     hidden_block_count_y
      - .offset:         144
        .size:           4
        .value_kind:     hidden_block_count_z
      - .offset:         148
        .size:           2
        .value_kind:     hidden_group_size_x
      - .offset:         150
        .size:           2
        .value_kind:     hidden_group_size_y
      - .offset:         152
        .size:           2
        .value_kind:     hidden_group_size_z
      - .offset:         154
        .size:           2
        .value_kind:     hidden_remainder_x
      - .offset:         156
        .size:           2
        .value_kind:     hidden_remainder_y
      - .offset:         158
        .size:           2
        .value_kind:     hidden_remainder_z
      - .offset:         176
        .size:           8
        .value_kind:     hidden_global_offset_x
      - .offset:         184
        .size:           8
        .value_kind:     hidden_global_offset_y
      - .offset:         192
        .size:           8
        .value_kind:     hidden_global_offset_z
      - .offset:         200
        .size:           2
        .value_kind:     hidden_grid_dims
    .group_segment_fixed_size: 8192
    .kernarg_segment_align: 8
    .kernarg_segment_size: 392
    .language:       OpenCL C
    .language_version:
      - 2
      - 0
    .max_flat_workgroup_size: 1024
    .name:           _ZL30rocblas_trmm_outofplace_kernelIfLi32ELi2ELb0ELb1ELb1ELb0EPKfS0_fEv17rocblas_diagonal_iiT6_lPT7_lllS5_lllPT8_llli
    .private_segment_fixed_size: 0
    .sgpr_count:     67
    .sgpr_spill_count: 0
    .symbol:         _ZL30rocblas_trmm_outofplace_kernelIfLi32ELi2ELb0ELb1ELb1ELb0EPKfS0_fEv17rocblas_diagonal_iiT6_lPT7_lllS5_lllPT8_llli.kd
    .uniform_work_group_size: 1
    .uses_dynamic_stack: false
    .vgpr_count:     78
    .vgpr_spill_count: 0
    .wavefront_size: 32
  - .args:
      - .offset:         0
        .size:           4
        .value_kind:     by_value
      - .offset:         4
        .size:           4
        .value_kind:     by_value
      - .offset:         8
        .size:           4
        .value_kind:     by_value
      - .offset:         12
        .size:           4
        .value_kind:     by_value
      - .offset:         16
        .size:           8
        .value_kind:     by_value
      - .address_space:  global
        .offset:         24
        .size:           8
        .value_kind:     global_buffer
      - .offset:         32
        .size:           8
        .value_kind:     by_value
      - .offset:         40
        .size:           8
        .value_kind:     by_value
      - .offset:         48
        .size:           8
        .value_kind:     by_value
      - .address_space:  global
        .offset:         56
        .size:           8
        .value_kind:     global_buffer
      - .offset:         64
        .size:           8
        .value_kind:     by_value
      - .offset:         72
        .size:           8
        .value_kind:     by_value
      - .offset:         80
        .size:           8
        .value_kind:     by_value
      - .address_space:  global
        .offset:         88
        .size:           8
        .value_kind:     global_buffer
      - .offset:         96
        .size:           8
        .value_kind:     by_value
      - .offset:         104
        .size:           8
        .value_kind:     by_value
      - .offset:         112
        .size:           8
        .value_kind:     by_value
      - .offset:         120
        .size:           4
        .value_kind:     by_value
      - .offset:         128
        .size:           4
        .value_kind:     hidden_block_count_x
      - .offset:         132
        .size:           4
        .value_kind:     hidden_block_count_y
      - .offset:         136
        .size:           4
        .value_kind:     hidden_block_count_z
      - .offset:         140
        .size:           2
        .value_kind:     hidden_group_size_x
      - .offset:         142
        .size:           2
        .value_kind:     hidden_group_size_y
      - .offset:         144
        .size:           2
        .value_kind:     hidden_group_size_z
      - .offset:         146
        .size:           2
        .value_kind:     hidden_remainder_x
      - .offset:         148
        .size:           2
        .value_kind:     hidden_remainder_y
      - .offset:         150
        .size:           2
        .value_kind:     hidden_remainder_z
      - .offset:         168
        .size:           8
        .value_kind:     hidden_global_offset_x
      - .offset:         176
        .size:           8
        .value_kind:     hidden_global_offset_y
      - .offset:         184
        .size:           8
        .value_kind:     hidden_global_offset_z
      - .offset:         192
        .size:           2
        .value_kind:     hidden_grid_dims
    .group_segment_fixed_size: 8192
    .kernarg_segment_align: 8
    .kernarg_segment_size: 384
    .language:       OpenCL C
    .language_version:
      - 2
      - 0
    .max_flat_workgroup_size: 1024
    .name:           _ZL30rocblas_trmm_outofplace_kernelIfLi32ELi2ELb0ELb1ELb1ELb0EfKffEv17rocblas_diagonal_iiT6_lPT7_lllS4_lllPT8_llli
    .private_segment_fixed_size: 0
    .sgpr_count:     64
    .sgpr_spill_count: 0
    .symbol:         _ZL30rocblas_trmm_outofplace_kernelIfLi32ELi2ELb0ELb1ELb1ELb0EfKffEv17rocblas_diagonal_iiT6_lPT7_lllS4_lllPT8_llli.kd
    .uniform_work_group_size: 1
    .uses_dynamic_stack: false
    .vgpr_count:     77
    .vgpr_spill_count: 0
    .wavefront_size: 32
  - .args:
      - .offset:         0
        .size:           4
        .value_kind:     by_value
      - .offset:         4
        .size:           4
        .value_kind:     by_value
      - .offset:         8
        .size:           4
        .value_kind:     by_value
      - .address_space:  global
        .offset:         16
        .size:           8
        .value_kind:     global_buffer
      - .offset:         24
        .size:           8
        .value_kind:     by_value
      - .address_space:  global
        .offset:         32
        .size:           8
        .value_kind:     global_buffer
      - .offset:         40
        .size:           8
        .value_kind:     by_value
      - .offset:         48
        .size:           8
        .value_kind:     by_value
      - .offset:         56
        .size:           8
        .value_kind:     by_value
      - .address_space:  global
        .offset:         64
        .size:           8
        .value_kind:     global_buffer
      - .offset:         72
        .size:           8
        .value_kind:     by_value
      - .offset:         80
        .size:           8
        .value_kind:     by_value
      - .offset:         88
        .size:           8
        .value_kind:     by_value
      - .address_space:  global
        .offset:         96
        .size:           8
        .value_kind:     global_buffer
      - .offset:         104
        .size:           8
        .value_kind:     by_value
      - .offset:         112
        .size:           8
        .value_kind:     by_value
      - .offset:         120
        .size:           8
        .value_kind:     by_value
      - .offset:         128
        .size:           4
        .value_kind:     by_value
      - .offset:         136
        .size:           4
        .value_kind:     hidden_block_count_x
      - .offset:         140
        .size:           4
        .value_kind:     hidden_block_count_y
      - .offset:         144
        .size:           4
        .value_kind:     hidden_block_count_z
      - .offset:         148
        .size:           2
        .value_kind:     hidden_group_size_x
      - .offset:         150
        .size:           2
        .value_kind:     hidden_group_size_y
      - .offset:         152
        .size:           2
        .value_kind:     hidden_group_size_z
      - .offset:         154
        .size:           2
        .value_kind:     hidden_remainder_x
      - .offset:         156
        .size:           2
        .value_kind:     hidden_remainder_y
      - .offset:         158
        .size:           2
        .value_kind:     hidden_remainder_z
      - .offset:         176
        .size:           8
        .value_kind:     hidden_global_offset_x
      - .offset:         184
        .size:           8
        .value_kind:     hidden_global_offset_y
      - .offset:         192
        .size:           8
        .value_kind:     hidden_global_offset_z
      - .offset:         200
        .size:           2
        .value_kind:     hidden_grid_dims
    .group_segment_fixed_size: 8192
    .kernarg_segment_align: 8
    .kernarg_segment_size: 392
    .language:       OpenCL C
    .language_version:
      - 2
      - 0
    .max_flat_workgroup_size: 1024
    .name:           _ZL30rocblas_trmm_outofplace_kernelIfLi32ELi2ELb0ELb0ELb1ELb1EPKfS0_fEv17rocblas_diagonal_iiT6_lPT7_lllS5_lllPT8_llli
    .private_segment_fixed_size: 0
    .sgpr_count:     55
    .sgpr_spill_count: 0
    .symbol:         _ZL30rocblas_trmm_outofplace_kernelIfLi32ELi2ELb0ELb0ELb1ELb1EPKfS0_fEv17rocblas_diagonal_iiT6_lPT7_lllS5_lllPT8_llli.kd
    .uniform_work_group_size: 1
    .uses_dynamic_stack: false
    .vgpr_count:     79
    .vgpr_spill_count: 0
    .wavefront_size: 32
  - .args:
      - .offset:         0
        .size:           4
        .value_kind:     by_value
      - .offset:         4
        .size:           4
        .value_kind:     by_value
      - .offset:         8
        .size:           4
        .value_kind:     by_value
      - .offset:         12
        .size:           4
        .value_kind:     by_value
      - .offset:         16
        .size:           8
        .value_kind:     by_value
      - .address_space:  global
        .offset:         24
        .size:           8
        .value_kind:     global_buffer
      - .offset:         32
        .size:           8
        .value_kind:     by_value
      - .offset:         40
        .size:           8
        .value_kind:     by_value
      - .offset:         48
        .size:           8
        .value_kind:     by_value
      - .address_space:  global
        .offset:         56
        .size:           8
        .value_kind:     global_buffer
      - .offset:         64
        .size:           8
        .value_kind:     by_value
      - .offset:         72
        .size:           8
        .value_kind:     by_value
      - .offset:         80
        .size:           8
        .value_kind:     by_value
      - .address_space:  global
        .offset:         88
        .size:           8
        .value_kind:     global_buffer
      - .offset:         96
        .size:           8
        .value_kind:     by_value
      - .offset:         104
        .size:           8
        .value_kind:     by_value
      - .offset:         112
        .size:           8
        .value_kind:     by_value
      - .offset:         120
        .size:           4
        .value_kind:     by_value
      - .offset:         128
        .size:           4
        .value_kind:     hidden_block_count_x
      - .offset:         132
        .size:           4
        .value_kind:     hidden_block_count_y
      - .offset:         136
        .size:           4
        .value_kind:     hidden_block_count_z
      - .offset:         140
        .size:           2
        .value_kind:     hidden_group_size_x
      - .offset:         142
        .size:           2
        .value_kind:     hidden_group_size_y
      - .offset:         144
        .size:           2
        .value_kind:     hidden_group_size_z
      - .offset:         146
        .size:           2
        .value_kind:     hidden_remainder_x
      - .offset:         148
        .size:           2
        .value_kind:     hidden_remainder_y
      - .offset:         150
        .size:           2
        .value_kind:     hidden_remainder_z
      - .offset:         168
        .size:           8
        .value_kind:     hidden_global_offset_x
      - .offset:         176
        .size:           8
        .value_kind:     hidden_global_offset_y
      - .offset:         184
        .size:           8
        .value_kind:     hidden_global_offset_z
      - .offset:         192
        .size:           2
        .value_kind:     hidden_grid_dims
    .group_segment_fixed_size: 8192
    .kernarg_segment_align: 8
    .kernarg_segment_size: 384
    .language:       OpenCL C
    .language_version:
      - 2
      - 0
    .max_flat_workgroup_size: 1024
    .name:           _ZL30rocblas_trmm_outofplace_kernelIfLi32ELi2ELb0ELb0ELb1ELb1EfKffEv17rocblas_diagonal_iiT6_lPT7_lllS4_lllPT8_llli
    .private_segment_fixed_size: 0
    .sgpr_count:     52
    .sgpr_spill_count: 0
    .symbol:         _ZL30rocblas_trmm_outofplace_kernelIfLi32ELi2ELb0ELb0ELb1ELb1EfKffEv17rocblas_diagonal_iiT6_lPT7_lllS4_lllPT8_llli.kd
    .uniform_work_group_size: 1
    .uses_dynamic_stack: false
    .vgpr_count:     79
    .vgpr_spill_count: 0
    .wavefront_size: 32
  - .args:
      - .offset:         0
        .size:           4
        .value_kind:     by_value
      - .offset:         4
        .size:           4
        .value_kind:     by_value
      - .offset:         8
        .size:           4
        .value_kind:     by_value
      - .address_space:  global
        .offset:         16
        .size:           8
        .value_kind:     global_buffer
      - .offset:         24
        .size:           8
        .value_kind:     by_value
      - .address_space:  global
        .offset:         32
        .size:           8
        .value_kind:     global_buffer
      - .offset:         40
        .size:           8
        .value_kind:     by_value
      - .offset:         48
        .size:           8
        .value_kind:     by_value
      - .offset:         56
        .size:           8
        .value_kind:     by_value
      - .address_space:  global
        .offset:         64
        .size:           8
        .value_kind:     global_buffer
      - .offset:         72
        .size:           8
        .value_kind:     by_value
      - .offset:         80
        .size:           8
        .value_kind:     by_value
      - .offset:         88
        .size:           8
        .value_kind:     by_value
      - .address_space:  global
        .offset:         96
        .size:           8
        .value_kind:     global_buffer
      - .offset:         104
        .size:           8
        .value_kind:     by_value
      - .offset:         112
        .size:           8
        .value_kind:     by_value
      - .offset:         120
        .size:           8
        .value_kind:     by_value
      - .offset:         128
        .size:           4
        .value_kind:     by_value
      - .offset:         136
        .size:           4
        .value_kind:     hidden_block_count_x
      - .offset:         140
        .size:           4
        .value_kind:     hidden_block_count_y
      - .offset:         144
        .size:           4
        .value_kind:     hidden_block_count_z
      - .offset:         148
        .size:           2
        .value_kind:     hidden_group_size_x
      - .offset:         150
        .size:           2
        .value_kind:     hidden_group_size_y
      - .offset:         152
        .size:           2
        .value_kind:     hidden_group_size_z
      - .offset:         154
        .size:           2
        .value_kind:     hidden_remainder_x
      - .offset:         156
        .size:           2
        .value_kind:     hidden_remainder_y
      - .offset:         158
        .size:           2
        .value_kind:     hidden_remainder_z
      - .offset:         176
        .size:           8
        .value_kind:     hidden_global_offset_x
      - .offset:         184
        .size:           8
        .value_kind:     hidden_global_offset_y
      - .offset:         192
        .size:           8
        .value_kind:     hidden_global_offset_z
      - .offset:         200
        .size:           2
        .value_kind:     hidden_grid_dims
    .group_segment_fixed_size: 8192
    .kernarg_segment_align: 8
    .kernarg_segment_size: 392
    .language:       OpenCL C
    .language_version:
      - 2
      - 0
    .max_flat_workgroup_size: 1024
    .name:           _ZL30rocblas_trmm_outofplace_kernelIfLi32ELi2ELb0ELb1ELb1ELb1EPKfS0_fEv17rocblas_diagonal_iiT6_lPT7_lllS5_lllPT8_llli
    .private_segment_fixed_size: 0
    .sgpr_count:     67
    .sgpr_spill_count: 0
    .symbol:         _ZL30rocblas_trmm_outofplace_kernelIfLi32ELi2ELb0ELb1ELb1ELb1EPKfS0_fEv17rocblas_diagonal_iiT6_lPT7_lllS5_lllPT8_llli.kd
    .uniform_work_group_size: 1
    .uses_dynamic_stack: false
    .vgpr_count:     78
    .vgpr_spill_count: 0
    .wavefront_size: 32
  - .args:
      - .offset:         0
        .size:           4
        .value_kind:     by_value
      - .offset:         4
        .size:           4
        .value_kind:     by_value
      - .offset:         8
        .size:           4
        .value_kind:     by_value
      - .offset:         12
        .size:           4
        .value_kind:     by_value
      - .offset:         16
        .size:           8
        .value_kind:     by_value
      - .address_space:  global
        .offset:         24
        .size:           8
        .value_kind:     global_buffer
      - .offset:         32
        .size:           8
        .value_kind:     by_value
      - .offset:         40
        .size:           8
        .value_kind:     by_value
      - .offset:         48
        .size:           8
        .value_kind:     by_value
      - .address_space:  global
        .offset:         56
        .size:           8
        .value_kind:     global_buffer
      - .offset:         64
        .size:           8
        .value_kind:     by_value
      - .offset:         72
        .size:           8
        .value_kind:     by_value
      - .offset:         80
        .size:           8
        .value_kind:     by_value
      - .address_space:  global
        .offset:         88
        .size:           8
        .value_kind:     global_buffer
      - .offset:         96
        .size:           8
        .value_kind:     by_value
      - .offset:         104
        .size:           8
        .value_kind:     by_value
      - .offset:         112
        .size:           8
        .value_kind:     by_value
      - .offset:         120
        .size:           4
        .value_kind:     by_value
      - .offset:         128
        .size:           4
        .value_kind:     hidden_block_count_x
      - .offset:         132
        .size:           4
        .value_kind:     hidden_block_count_y
      - .offset:         136
        .size:           4
        .value_kind:     hidden_block_count_z
      - .offset:         140
        .size:           2
        .value_kind:     hidden_group_size_x
      - .offset:         142
        .size:           2
        .value_kind:     hidden_group_size_y
      - .offset:         144
        .size:           2
        .value_kind:     hidden_group_size_z
      - .offset:         146
        .size:           2
        .value_kind:     hidden_remainder_x
      - .offset:         148
        .size:           2
        .value_kind:     hidden_remainder_y
      - .offset:         150
        .size:           2
        .value_kind:     hidden_remainder_z
      - .offset:         168
        .size:           8
        .value_kind:     hidden_global_offset_x
      - .offset:         176
        .size:           8
        .value_kind:     hidden_global_offset_y
      - .offset:         184
        .size:           8
        .value_kind:     hidden_global_offset_z
      - .offset:         192
        .size:           2
        .value_kind:     hidden_grid_dims
    .group_segment_fixed_size: 8192
    .kernarg_segment_align: 8
    .kernarg_segment_size: 384
    .language:       OpenCL C
    .language_version:
      - 2
      - 0
    .max_flat_workgroup_size: 1024
    .name:           _ZL30rocblas_trmm_outofplace_kernelIfLi32ELi2ELb0ELb1ELb1ELb1EfKffEv17rocblas_diagonal_iiT6_lPT7_lllS4_lllPT8_llli
    .private_segment_fixed_size: 0
    .sgpr_count:     64
    .sgpr_spill_count: 0
    .symbol:         _ZL30rocblas_trmm_outofplace_kernelIfLi32ELi2ELb0ELb1ELb1ELb1EfKffEv17rocblas_diagonal_iiT6_lPT7_lllS4_lllPT8_llli.kd
    .uniform_work_group_size: 1
    .uses_dynamic_stack: false
    .vgpr_count:     77
    .vgpr_spill_count: 0
    .wavefront_size: 32
  - .args:
      - .offset:         0
        .size:           4
        .value_kind:     by_value
      - .offset:         4
        .size:           4
        .value_kind:     by_value
      - .offset:         8
        .size:           4
        .value_kind:     by_value
      - .offset:         12
        .size:           4
        .value_kind:     by_value
      - .address_space:  global
        .offset:         16
        .size:           8
        .value_kind:     global_buffer
      - .offset:         24
        .size:           8
        .value_kind:     by_value
      - .address_space:  global
        .offset:         32
        .size:           8
        .value_kind:     global_buffer
      - .offset:         40
        .size:           8
        .value_kind:     by_value
      - .offset:         48
        .size:           8
        .value_kind:     by_value
      - .address_space:  global
        .offset:         56
        .size:           8
        .value_kind:     global_buffer
      - .offset:         64
        .size:           8
        .value_kind:     by_value
      - .offset:         72
        .size:           8
        .value_kind:     by_value
      - .address_space:  global
        .offset:         80
        .size:           8
        .value_kind:     global_buffer
      - .offset:         88
        .size:           8
        .value_kind:     by_value
      - .offset:         96
        .size:           8
        .value_kind:     by_value
      - .offset:         104
        .size:           4
        .value_kind:     by_value
    .group_segment_fixed_size: 8192
    .kernarg_segment_align: 8
    .kernarg_segment_size: 108
    .language:       OpenCL C
    .language_version:
      - 2
      - 0
    .max_flat_workgroup_size: 1024
    .name:           _ZL23rocblas_trmm_lNx_kernelILi32EfPKfS0_fEv13rocblas_fill_17rocblas_diagonal_iiT1_lPT2_llS6_llPT3_lli
    .private_segment_fixed_size: 0
    .sgpr_count:     38
    .sgpr_spill_count: 0
    .symbol:         _ZL23rocblas_trmm_lNx_kernelILi32EfPKfS0_fEv13rocblas_fill_17rocblas_diagonal_iiT1_lPT2_llS6_llPT3_lli.kd
    .uniform_work_group_size: 1
    .uses_dynamic_stack: false
    .vgpr_count:     37
    .vgpr_spill_count: 0
    .wavefront_size: 32
  - .args:
      - .offset:         0
        .size:           4
        .value_kind:     by_value
      - .offset:         4
        .size:           4
        .value_kind:     by_value
      - .offset:         8
        .size:           4
        .value_kind:     by_value
      - .offset:         12
        .size:           4
        .value_kind:     by_value
      - .offset:         16
        .size:           4
        .value_kind:     by_value
      - .offset:         24
        .size:           8
        .value_kind:     by_value
      - .address_space:  global
        .offset:         32
        .size:           8
        .value_kind:     global_buffer
      - .offset:         40
        .size:           8
        .value_kind:     by_value
      - .offset:         48
        .size:           8
        .value_kind:     by_value
      - .address_space:  global
        .offset:         56
        .size:           8
        .value_kind:     global_buffer
      - .offset:         64
        .size:           8
        .value_kind:     by_value
      - .offset:         72
        .size:           8
        .value_kind:     by_value
      - .address_space:  global
        .offset:         80
        .size:           8
        .value_kind:     global_buffer
      - .offset:         88
        .size:           8
        .value_kind:     by_value
      - .offset:         96
        .size:           8
        .value_kind:     by_value
      - .offset:         104
        .size:           4
        .value_kind:     by_value
    .group_segment_fixed_size: 8192
    .kernarg_segment_align: 8
    .kernarg_segment_size: 108
    .language:       OpenCL C
    .language_version:
      - 2
      - 0
    .max_flat_workgroup_size: 1024
    .name:           _ZL23rocblas_trmm_lNx_kernelILi32EffKffEv13rocblas_fill_17rocblas_diagonal_iiT1_lPT2_llS5_llPT3_lli
    .private_segment_fixed_size: 0
    .sgpr_count:     34
    .sgpr_spill_count: 0
    .symbol:         _ZL23rocblas_trmm_lNx_kernelILi32EffKffEv13rocblas_fill_17rocblas_diagonal_iiT1_lPT2_llS5_llPT3_lli.kd
    .uniform_work_group_size: 1
    .uses_dynamic_stack: false
    .vgpr_count:     36
    .vgpr_spill_count: 0
    .wavefront_size: 32
  - .args:
      - .offset:         0
        .size:           4
        .value_kind:     by_value
      - .offset:         4
        .size:           4
        .value_kind:     by_value
      - .offset:         8
        .size:           4
        .value_kind:     by_value
      - .offset:         12
        .size:           4
        .value_kind:     by_value
      - .address_space:  global
        .offset:         16
        .size:           8
        .value_kind:     global_buffer
      - .offset:         24
        .size:           8
        .value_kind:     by_value
      - .address_space:  global
        .offset:         32
        .size:           8
        .value_kind:     global_buffer
      - .offset:         40
        .size:           8
        .value_kind:     by_value
      - .offset:         48
        .size:           8
        .value_kind:     by_value
      - .address_space:  global
        .offset:         56
        .size:           8
        .value_kind:     global_buffer
      - .offset:         64
        .size:           8
        .value_kind:     by_value
      - .offset:         72
        .size:           8
        .value_kind:     by_value
      - .address_space:  global
        .offset:         80
        .size:           8
        .value_kind:     global_buffer
      - .offset:         88
        .size:           8
        .value_kind:     by_value
      - .offset:         96
        .size:           8
        .value_kind:     by_value
      - .offset:         104
        .size:           4
        .value_kind:     by_value
    .group_segment_fixed_size: 8192
    .kernarg_segment_align: 8
    .kernarg_segment_size: 108
    .language:       OpenCL C
    .language_version:
      - 2
      - 0
    .max_flat_workgroup_size: 1024
    .name:           _ZL23rocblas_trmm_lTx_kernelILi32ELb0EfPKfS0_fEv13rocblas_fill_17rocblas_diagonal_iiT2_lPT3_llS6_llPT4_lli
    .private_segment_fixed_size: 0
    .sgpr_count:     38
    .sgpr_spill_count: 0
    .symbol:         _ZL23rocblas_trmm_lTx_kernelILi32ELb0EfPKfS0_fEv13rocblas_fill_17rocblas_diagonal_iiT2_lPT3_llS6_llPT4_lli.kd
    .uniform_work_group_size: 1
    .uses_dynamic_stack: false
    .vgpr_count:     38
    .vgpr_spill_count: 0
    .wavefront_size: 32
  - .args:
      - .offset:         0
        .size:           4
        .value_kind:     by_value
      - .offset:         4
        .size:           4
        .value_kind:     by_value
      - .offset:         8
        .size:           4
        .value_kind:     by_value
      - .offset:         12
        .size:           4
        .value_kind:     by_value
      - .offset:         16
        .size:           4
        .value_kind:     by_value
      - .offset:         24
        .size:           8
        .value_kind:     by_value
      - .address_space:  global
        .offset:         32
        .size:           8
        .value_kind:     global_buffer
      - .offset:         40
        .size:           8
        .value_kind:     by_value
      - .offset:         48
        .size:           8
        .value_kind:     by_value
      - .address_space:  global
        .offset:         56
        .size:           8
        .value_kind:     global_buffer
      - .offset:         64
        .size:           8
        .value_kind:     by_value
      - .offset:         72
        .size:           8
        .value_kind:     by_value
      - .address_space:  global
        .offset:         80
        .size:           8
        .value_kind:     global_buffer
      - .offset:         88
        .size:           8
        .value_kind:     by_value
      - .offset:         96
        .size:           8
        .value_kind:     by_value
      - .offset:         104
        .size:           4
        .value_kind:     by_value
    .group_segment_fixed_size: 8192
    .kernarg_segment_align: 8
    .kernarg_segment_size: 108
    .language:       OpenCL C
    .language_version:
      - 2
      - 0
    .max_flat_workgroup_size: 1024
    .name:           _ZL23rocblas_trmm_lTx_kernelILi32ELb0EffKffEv13rocblas_fill_17rocblas_diagonal_iiT2_lPT3_llS5_llPT4_lli
    .private_segment_fixed_size: 0
    .sgpr_count:     33
    .sgpr_spill_count: 0
    .symbol:         _ZL23rocblas_trmm_lTx_kernelILi32ELb0EffKffEv13rocblas_fill_17rocblas_diagonal_iiT2_lPT3_llS5_llPT4_lli.kd
    .uniform_work_group_size: 1
    .uses_dynamic_stack: false
    .vgpr_count:     37
    .vgpr_spill_count: 0
    .wavefront_size: 32
  - .args:
      - .offset:         0
        .size:           4
        .value_kind:     by_value
      - .offset:         4
        .size:           4
        .value_kind:     by_value
      - .offset:         8
        .size:           4
        .value_kind:     by_value
      - .offset:         12
        .size:           4
        .value_kind:     by_value
      - .address_space:  global
        .offset:         16
        .size:           8
        .value_kind:     global_buffer
      - .offset:         24
        .size:           8
        .value_kind:     by_value
      - .address_space:  global
        .offset:         32
        .size:           8
        .value_kind:     global_buffer
      - .offset:         40
        .size:           8
        .value_kind:     by_value
      - .offset:         48
        .size:           8
        .value_kind:     by_value
      - .address_space:  global
        .offset:         56
        .size:           8
        .value_kind:     global_buffer
      - .offset:         64
        .size:           8
        .value_kind:     by_value
      - .offset:         72
        .size:           8
        .value_kind:     by_value
      - .address_space:  global
        .offset:         80
        .size:           8
        .value_kind:     global_buffer
      - .offset:         88
        .size:           8
        .value_kind:     by_value
      - .offset:         96
        .size:           8
        .value_kind:     by_value
      - .offset:         104
        .size:           4
        .value_kind:     by_value
    .group_segment_fixed_size: 8192
    .kernarg_segment_align: 8
    .kernarg_segment_size: 108
    .language:       OpenCL C
    .language_version:
      - 2
      - 0
    .max_flat_workgroup_size: 1024
    .name:           _ZL23rocblas_trmm_lTx_kernelILi32ELb1EfPKfS0_fEv13rocblas_fill_17rocblas_diagonal_iiT2_lPT3_llS6_llPT4_lli
    .private_segment_fixed_size: 0
    .sgpr_count:     38
    .sgpr_spill_count: 0
    .symbol:         _ZL23rocblas_trmm_lTx_kernelILi32ELb1EfPKfS0_fEv13rocblas_fill_17rocblas_diagonal_iiT2_lPT3_llS6_llPT4_lli.kd
    .uniform_work_group_size: 1
    .uses_dynamic_stack: false
    .vgpr_count:     38
    .vgpr_spill_count: 0
    .wavefront_size: 32
  - .args:
      - .offset:         0
        .size:           4
        .value_kind:     by_value
      - .offset:         4
        .size:           4
        .value_kind:     by_value
      - .offset:         8
        .size:           4
        .value_kind:     by_value
      - .offset:         12
        .size:           4
        .value_kind:     by_value
      - .offset:         16
        .size:           4
        .value_kind:     by_value
      - .offset:         24
        .size:           8
        .value_kind:     by_value
      - .address_space:  global
        .offset:         32
        .size:           8
        .value_kind:     global_buffer
      - .offset:         40
        .size:           8
        .value_kind:     by_value
      - .offset:         48
        .size:           8
        .value_kind:     by_value
      - .address_space:  global
        .offset:         56
        .size:           8
        .value_kind:     global_buffer
      - .offset:         64
        .size:           8
        .value_kind:     by_value
      - .offset:         72
        .size:           8
        .value_kind:     by_value
      - .address_space:  global
        .offset:         80
        .size:           8
        .value_kind:     global_buffer
      - .offset:         88
        .size:           8
        .value_kind:     by_value
      - .offset:         96
        .size:           8
        .value_kind:     by_value
      - .offset:         104
        .size:           4
        .value_kind:     by_value
    .group_segment_fixed_size: 8192
    .kernarg_segment_align: 8
    .kernarg_segment_size: 108
    .language:       OpenCL C
    .language_version:
      - 2
      - 0
    .max_flat_workgroup_size: 1024
    .name:           _ZL23rocblas_trmm_lTx_kernelILi32ELb1EffKffEv13rocblas_fill_17rocblas_diagonal_iiT2_lPT3_llS5_llPT4_lli
    .private_segment_fixed_size: 0
    .sgpr_count:     33
    .sgpr_spill_count: 0
    .symbol:         _ZL23rocblas_trmm_lTx_kernelILi32ELb1EffKffEv13rocblas_fill_17rocblas_diagonal_iiT2_lPT3_llS5_llPT4_lli.kd
    .uniform_work_group_size: 1
    .uses_dynamic_stack: false
    .vgpr_count:     37
    .vgpr_spill_count: 0
    .wavefront_size: 32
  - .args:
      - .offset:         0
        .size:           4
        .value_kind:     by_value
      - .offset:         4
        .size:           4
        .value_kind:     by_value
      - .offset:         8
        .size:           4
        .value_kind:     by_value
      - .offset:         12
        .size:           4
        .value_kind:     by_value
      - .address_space:  global
        .offset:         16
        .size:           8
        .value_kind:     global_buffer
      - .offset:         24
        .size:           8
        .value_kind:     by_value
      - .address_space:  global
        .offset:         32
        .size:           8
        .value_kind:     global_buffer
      - .offset:         40
        .size:           8
        .value_kind:     by_value
      - .offset:         48
        .size:           8
        .value_kind:     by_value
      - .address_space:  global
        .offset:         56
        .size:           8
        .value_kind:     global_buffer
      - .offset:         64
        .size:           8
        .value_kind:     by_value
      - .offset:         72
        .size:           8
        .value_kind:     by_value
      - .address_space:  global
        .offset:         80
        .size:           8
        .value_kind:     global_buffer
      - .offset:         88
        .size:           8
        .value_kind:     by_value
      - .offset:         96
        .size:           8
        .value_kind:     by_value
      - .offset:         104
        .size:           4
        .value_kind:     by_value
    .group_segment_fixed_size: 8192
    .kernarg_segment_align: 8
    .kernarg_segment_size: 108
    .language:       OpenCL C
    .language_version:
      - 2
      - 0
    .max_flat_workgroup_size: 1024
    .name:           _ZL23rocblas_trmm_rNx_kernelILi32EfPKfS0_fEv13rocblas_fill_17rocblas_diagonal_iiT1_lPT2_llS6_llPT3_lli
    .private_segment_fixed_size: 0
    .sgpr_count:     38
    .sgpr_spill_count: 0
    .symbol:         _ZL23rocblas_trmm_rNx_kernelILi32EfPKfS0_fEv13rocblas_fill_17rocblas_diagonal_iiT1_lPT2_llS6_llPT3_lli.kd
    .uniform_work_group_size: 1
    .uses_dynamic_stack: false
    .vgpr_count:     37
    .vgpr_spill_count: 0
    .wavefront_size: 32
  - .args:
      - .offset:         0
        .size:           4
        .value_kind:     by_value
      - .offset:         4
        .size:           4
        .value_kind:     by_value
      - .offset:         8
        .size:           4
        .value_kind:     by_value
      - .offset:         12
        .size:           4
        .value_kind:     by_value
      - .offset:         16
        .size:           4
        .value_kind:     by_value
      - .offset:         24
        .size:           8
        .value_kind:     by_value
      - .address_space:  global
        .offset:         32
        .size:           8
        .value_kind:     global_buffer
      - .offset:         40
        .size:           8
        .value_kind:     by_value
      - .offset:         48
        .size:           8
        .value_kind:     by_value
      - .address_space:  global
        .offset:         56
        .size:           8
        .value_kind:     global_buffer
      - .offset:         64
        .size:           8
        .value_kind:     by_value
      - .offset:         72
        .size:           8
        .value_kind:     by_value
      - .address_space:  global
        .offset:         80
        .size:           8
        .value_kind:     global_buffer
      - .offset:         88
        .size:           8
        .value_kind:     by_value
      - .offset:         96
        .size:           8
        .value_kind:     by_value
      - .offset:         104
        .size:           4
        .value_kind:     by_value
    .group_segment_fixed_size: 8192
    .kernarg_segment_align: 8
    .kernarg_segment_size: 108
    .language:       OpenCL C
    .language_version:
      - 2
      - 0
    .max_flat_workgroup_size: 1024
    .name:           _ZL23rocblas_trmm_rNx_kernelILi32EffKffEv13rocblas_fill_17rocblas_diagonal_iiT1_lPT2_llS5_llPT3_lli
    .private_segment_fixed_size: 0
    .sgpr_count:     33
    .sgpr_spill_count: 0
    .symbol:         _ZL23rocblas_trmm_rNx_kernelILi32EffKffEv13rocblas_fill_17rocblas_diagonal_iiT1_lPT2_llS5_llPT3_lli.kd
    .uniform_work_group_size: 1
    .uses_dynamic_stack: false
    .vgpr_count:     36
    .vgpr_spill_count: 0
    .wavefront_size: 32
  - .args:
      - .offset:         0
        .size:           4
        .value_kind:     by_value
      - .offset:         4
        .size:           4
        .value_kind:     by_value
      - .offset:         8
        .size:           4
        .value_kind:     by_value
      - .offset:         12
        .size:           4
        .value_kind:     by_value
      - .address_space:  global
        .offset:         16
        .size:           8
        .value_kind:     global_buffer
      - .offset:         24
        .size:           8
        .value_kind:     by_value
      - .address_space:  global
        .offset:         32
        .size:           8
        .value_kind:     global_buffer
      - .offset:         40
        .size:           8
        .value_kind:     by_value
      - .offset:         48
        .size:           8
        .value_kind:     by_value
      - .address_space:  global
        .offset:         56
        .size:           8
        .value_kind:     global_buffer
      - .offset:         64
        .size:           8
        .value_kind:     by_value
      - .offset:         72
        .size:           8
        .value_kind:     by_value
      - .address_space:  global
        .offset:         80
        .size:           8
        .value_kind:     global_buffer
      - .offset:         88
        .size:           8
        .value_kind:     by_value
      - .offset:         96
        .size:           8
        .value_kind:     by_value
      - .offset:         104
        .size:           4
        .value_kind:     by_value
    .group_segment_fixed_size: 8192
    .kernarg_segment_align: 8
    .kernarg_segment_size: 108
    .language:       OpenCL C
    .language_version:
      - 2
      - 0
    .max_flat_workgroup_size: 1024
    .name:           _ZL23rocblas_trmm_rTx_kernelILi32ELb0EfPKfS0_fEv13rocblas_fill_17rocblas_diagonal_iiT2_lPT3_llS6_llPT4_lli
    .private_segment_fixed_size: 0
    .sgpr_count:     38
    .sgpr_spill_count: 0
    .symbol:         _ZL23rocblas_trmm_rTx_kernelILi32ELb0EfPKfS0_fEv13rocblas_fill_17rocblas_diagonal_iiT2_lPT3_llS6_llPT4_lli.kd
    .uniform_work_group_size: 1
    .uses_dynamic_stack: false
    .vgpr_count:     36
    .vgpr_spill_count: 0
    .wavefront_size: 32
  - .args:
      - .offset:         0
        .size:           4
        .value_kind:     by_value
      - .offset:         4
        .size:           4
        .value_kind:     by_value
      - .offset:         8
        .size:           4
        .value_kind:     by_value
      - .offset:         12
        .size:           4
        .value_kind:     by_value
      - .offset:         16
        .size:           4
        .value_kind:     by_value
      - .offset:         24
        .size:           8
        .value_kind:     by_value
      - .address_space:  global
        .offset:         32
        .size:           8
        .value_kind:     global_buffer
      - .offset:         40
        .size:           8
        .value_kind:     by_value
      - .offset:         48
        .size:           8
        .value_kind:     by_value
      - .address_space:  global
        .offset:         56
        .size:           8
        .value_kind:     global_buffer
      - .offset:         64
        .size:           8
        .value_kind:     by_value
      - .offset:         72
        .size:           8
        .value_kind:     by_value
      - .address_space:  global
        .offset:         80
        .size:           8
        .value_kind:     global_buffer
      - .offset:         88
        .size:           8
        .value_kind:     by_value
      - .offset:         96
        .size:           8
        .value_kind:     by_value
      - .offset:         104
        .size:           4
        .value_kind:     by_value
    .group_segment_fixed_size: 8192
    .kernarg_segment_align: 8
    .kernarg_segment_size: 108
    .language:       OpenCL C
    .language_version:
      - 2
      - 0
    .max_flat_workgroup_size: 1024
    .name:           _ZL23rocblas_trmm_rTx_kernelILi32ELb0EffKffEv13rocblas_fill_17rocblas_diagonal_iiT2_lPT3_llS5_llPT4_lli
    .private_segment_fixed_size: 0
    .sgpr_count:     33
    .sgpr_spill_count: 0
    .symbol:         _ZL23rocblas_trmm_rTx_kernelILi32ELb0EffKffEv13rocblas_fill_17rocblas_diagonal_iiT2_lPT3_llS5_llPT4_lli.kd
    .uniform_work_group_size: 1
    .uses_dynamic_stack: false
    .vgpr_count:     35
    .vgpr_spill_count: 0
    .wavefront_size: 32
  - .args:
      - .offset:         0
        .size:           4
        .value_kind:     by_value
      - .offset:         4
        .size:           4
        .value_kind:     by_value
      - .offset:         8
        .size:           4
        .value_kind:     by_value
      - .offset:         12
        .size:           4
        .value_kind:     by_value
      - .address_space:  global
        .offset:         16
        .size:           8
        .value_kind:     global_buffer
      - .offset:         24
        .size:           8
        .value_kind:     by_value
      - .address_space:  global
        .offset:         32
        .size:           8
        .value_kind:     global_buffer
      - .offset:         40
        .size:           8
        .value_kind:     by_value
      - .offset:         48
        .size:           8
        .value_kind:     by_value
      - .address_space:  global
        .offset:         56
        .size:           8
        .value_kind:     global_buffer
      - .offset:         64
        .size:           8
        .value_kind:     by_value
      - .offset:         72
        .size:           8
        .value_kind:     by_value
      - .address_space:  global
        .offset:         80
        .size:           8
        .value_kind:     global_buffer
      - .offset:         88
        .size:           8
        .value_kind:     by_value
      - .offset:         96
        .size:           8
        .value_kind:     by_value
      - .offset:         104
        .size:           4
        .value_kind:     by_value
    .group_segment_fixed_size: 8192
    .kernarg_segment_align: 8
    .kernarg_segment_size: 108
    .language:       OpenCL C
    .language_version:
      - 2
      - 0
    .max_flat_workgroup_size: 1024
    .name:           _ZL23rocblas_trmm_rTx_kernelILi32ELb1EfPKfS0_fEv13rocblas_fill_17rocblas_diagonal_iiT2_lPT3_llS6_llPT4_lli
    .private_segment_fixed_size: 0
    .sgpr_count:     38
    .sgpr_spill_count: 0
    .symbol:         _ZL23rocblas_trmm_rTx_kernelILi32ELb1EfPKfS0_fEv13rocblas_fill_17rocblas_diagonal_iiT2_lPT3_llS6_llPT4_lli.kd
    .uniform_work_group_size: 1
    .uses_dynamic_stack: false
    .vgpr_count:     36
    .vgpr_spill_count: 0
    .wavefront_size: 32
  - .args:
      - .offset:         0
        .size:           4
        .value_kind:     by_value
      - .offset:         4
        .size:           4
        .value_kind:     by_value
      - .offset:         8
        .size:           4
        .value_kind:     by_value
      - .offset:         12
        .size:           4
        .value_kind:     by_value
      - .offset:         16
        .size:           4
        .value_kind:     by_value
      - .offset:         24
        .size:           8
        .value_kind:     by_value
      - .address_space:  global
        .offset:         32
        .size:           8
        .value_kind:     global_buffer
      - .offset:         40
        .size:           8
        .value_kind:     by_value
      - .offset:         48
        .size:           8
        .value_kind:     by_value
      - .address_space:  global
        .offset:         56
        .size:           8
        .value_kind:     global_buffer
      - .offset:         64
        .size:           8
        .value_kind:     by_value
      - .offset:         72
        .size:           8
        .value_kind:     by_value
      - .address_space:  global
        .offset:         80
        .size:           8
        .value_kind:     global_buffer
      - .offset:         88
        .size:           8
        .value_kind:     by_value
      - .offset:         96
        .size:           8
        .value_kind:     by_value
      - .offset:         104
        .size:           4
        .value_kind:     by_value
    .group_segment_fixed_size: 8192
    .kernarg_segment_align: 8
    .kernarg_segment_size: 108
    .language:       OpenCL C
    .language_version:
      - 2
      - 0
    .max_flat_workgroup_size: 1024
    .name:           _ZL23rocblas_trmm_rTx_kernelILi32ELb1EffKffEv13rocblas_fill_17rocblas_diagonal_iiT2_lPT3_llS5_llPT4_lli
    .private_segment_fixed_size: 0
    .sgpr_count:     33
    .sgpr_spill_count: 0
    .symbol:         _ZL23rocblas_trmm_rTx_kernelILi32ELb1EffKffEv13rocblas_fill_17rocblas_diagonal_iiT2_lPT3_llS5_llPT4_lli.kd
    .uniform_work_group_size: 1
    .uses_dynamic_stack: false
    .vgpr_count:     35
    .vgpr_spill_count: 0
    .wavefront_size: 32
  - .args:
      - .offset:         0
        .size:           4
        .value_kind:     by_value
      - .offset:         4
        .size:           4
        .value_kind:     by_value
      - .offset:         8
        .size:           4
        .value_kind:     by_value
      - .address_space:  global
        .offset:         16
        .size:           8
        .value_kind:     global_buffer
      - .offset:         24
        .size:           8
        .value_kind:     by_value
      - .address_space:  global
        .offset:         32
        .size:           8
        .value_kind:     global_buffer
      - .offset:         40
        .size:           8
        .value_kind:     by_value
      - .offset:         48
        .size:           8
        .value_kind:     by_value
      - .offset:         56
        .size:           8
        .value_kind:     by_value
      - .address_space:  global
        .offset:         64
        .size:           8
        .value_kind:     global_buffer
      - .offset:         72
        .size:           8
        .value_kind:     by_value
      - .offset:         80
        .size:           8
        .value_kind:     by_value
      - .offset:         88
        .size:           8
        .value_kind:     by_value
      - .address_space:  global
        .offset:         96
        .size:           8
        .value_kind:     global_buffer
      - .offset:         104
        .size:           8
        .value_kind:     by_value
      - .offset:         112
        .size:           8
        .value_kind:     by_value
      - .offset:         120
        .size:           8
        .value_kind:     by_value
      - .offset:         128
        .size:           4
        .value_kind:     by_value
      - .offset:         136
        .size:           4
        .value_kind:     hidden_block_count_x
      - .offset:         140
        .size:           4
        .value_kind:     hidden_block_count_y
      - .offset:         144
        .size:           4
        .value_kind:     hidden_block_count_z
      - .offset:         148
        .size:           2
        .value_kind:     hidden_group_size_x
      - .offset:         150
        .size:           2
        .value_kind:     hidden_group_size_y
      - .offset:         152
        .size:           2
        .value_kind:     hidden_group_size_z
      - .offset:         154
        .size:           2
        .value_kind:     hidden_remainder_x
      - .offset:         156
        .size:           2
        .value_kind:     hidden_remainder_y
      - .offset:         158
        .size:           2
        .value_kind:     hidden_remainder_z
      - .offset:         176
        .size:           8
        .value_kind:     hidden_global_offset_x
      - .offset:         184
        .size:           8
        .value_kind:     hidden_global_offset_y
      - .offset:         192
        .size:           8
        .value_kind:     hidden_global_offset_z
      - .offset:         200
        .size:           2
        .value_kind:     hidden_grid_dims
    .group_segment_fixed_size: 16384
    .kernarg_segment_align: 8
    .kernarg_segment_size: 392
    .language:       OpenCL C
    .language_version:
      - 2
      - 0
    .max_flat_workgroup_size: 1024
    .name:           _ZL30rocblas_trmm_outofplace_kernelIdLi32ELi2ELb1ELb0ELb0ELb0EPKdS0_dEv17rocblas_diagonal_iiT6_lPT7_lllS5_lllPT8_llli
    .private_segment_fixed_size: 0
    .sgpr_count:     59
    .sgpr_spill_count: 0
    .symbol:         _ZL30rocblas_trmm_outofplace_kernelIdLi32ELi2ELb1ELb0ELb0ELb0EPKdS0_dEv17rocblas_diagonal_iiT6_lPT7_lllS5_lllPT8_llli.kd
    .uniform_work_group_size: 1
    .uses_dynamic_stack: false
    .vgpr_count:     88
    .vgpr_spill_count: 0
    .wavefront_size: 32
  - .args:
      - .offset:         0
        .size:           4
        .value_kind:     by_value
      - .offset:         4
        .size:           4
        .value_kind:     by_value
      - .offset:         8
        .size:           4
        .value_kind:     by_value
      - .offset:         16
        .size:           8
        .value_kind:     by_value
      - .offset:         24
        .size:           8
        .value_kind:     by_value
      - .address_space:  global
        .offset:         32
        .size:           8
        .value_kind:     global_buffer
      - .offset:         40
        .size:           8
        .value_kind:     by_value
      - .offset:         48
        .size:           8
        .value_kind:     by_value
      - .offset:         56
        .size:           8
        .value_kind:     by_value
      - .address_space:  global
        .offset:         64
        .size:           8
        .value_kind:     global_buffer
      - .offset:         72
        .size:           8
        .value_kind:     by_value
      - .offset:         80
        .size:           8
        .value_kind:     by_value
      - .offset:         88
        .size:           8
        .value_kind:     by_value
      - .address_space:  global
        .offset:         96
        .size:           8
        .value_kind:     global_buffer
      - .offset:         104
        .size:           8
        .value_kind:     by_value
      - .offset:         112
        .size:           8
        .value_kind:     by_value
      - .offset:         120
        .size:           8
        .value_kind:     by_value
      - .offset:         128
        .size:           4
        .value_kind:     by_value
      - .offset:         136
        .size:           4
        .value_kind:     hidden_block_count_x
      - .offset:         140
        .size:           4
        .value_kind:     hidden_block_count_y
      - .offset:         144
        .size:           4
        .value_kind:     hidden_block_count_z
      - .offset:         148
        .size:           2
        .value_kind:     hidden_group_size_x
      - .offset:         150
        .size:           2
        .value_kind:     hidden_group_size_y
      - .offset:         152
        .size:           2
        .value_kind:     hidden_group_size_z
      - .offset:         154
        .size:           2
        .value_kind:     hidden_remainder_x
      - .offset:         156
        .size:           2
        .value_kind:     hidden_remainder_y
      - .offset:         158
        .size:           2
        .value_kind:     hidden_remainder_z
      - .offset:         176
        .size:           8
        .value_kind:     hidden_global_offset_x
      - .offset:         184
        .size:           8
        .value_kind:     hidden_global_offset_y
      - .offset:         192
        .size:           8
        .value_kind:     hidden_global_offset_z
      - .offset:         200
        .size:           2
        .value_kind:     hidden_grid_dims
    .group_segment_fixed_size: 16384
    .kernarg_segment_align: 8
    .kernarg_segment_size: 392
    .language:       OpenCL C
    .language_version:
      - 2
      - 0
    .max_flat_workgroup_size: 1024
    .name:           _ZL30rocblas_trmm_outofplace_kernelIdLi32ELi2ELb1ELb0ELb0ELb0EdKddEv17rocblas_diagonal_iiT6_lPT7_lllS4_lllPT8_llli
    .private_segment_fixed_size: 0
    .sgpr_count:     57
    .sgpr_spill_count: 0
    .symbol:         _ZL30rocblas_trmm_outofplace_kernelIdLi32ELi2ELb1ELb0ELb0ELb0EdKddEv17rocblas_diagonal_iiT6_lPT7_lllS4_lllPT8_llli.kd
    .uniform_work_group_size: 1
    .uses_dynamic_stack: false
    .vgpr_count:     82
    .vgpr_spill_count: 0
    .wavefront_size: 32
  - .args:
      - .offset:         0
        .size:           4
        .value_kind:     by_value
      - .offset:         4
        .size:           4
        .value_kind:     by_value
      - .offset:         8
        .size:           4
        .value_kind:     by_value
      - .address_space:  global
        .offset:         16
        .size:           8
        .value_kind:     global_buffer
      - .offset:         24
        .size:           8
        .value_kind:     by_value
      - .address_space:  global
        .offset:         32
        .size:           8
        .value_kind:     global_buffer
      - .offset:         40
        .size:           8
        .value_kind:     by_value
      - .offset:         48
        .size:           8
        .value_kind:     by_value
      - .offset:         56
        .size:           8
        .value_kind:     by_value
      - .address_space:  global
        .offset:         64
        .size:           8
        .value_kind:     global_buffer
      - .offset:         72
        .size:           8
        .value_kind:     by_value
      - .offset:         80
        .size:           8
        .value_kind:     by_value
      - .offset:         88
        .size:           8
        .value_kind:     by_value
      - .address_space:  global
        .offset:         96
        .size:           8
        .value_kind:     global_buffer
      - .offset:         104
        .size:           8
        .value_kind:     by_value
      - .offset:         112
        .size:           8
        .value_kind:     by_value
      - .offset:         120
        .size:           8
        .value_kind:     by_value
      - .offset:         128
        .size:           4
        .value_kind:     by_value
      - .offset:         136
        .size:           4
        .value_kind:     hidden_block_count_x
      - .offset:         140
        .size:           4
        .value_kind:     hidden_block_count_y
      - .offset:         144
        .size:           4
        .value_kind:     hidden_block_count_z
      - .offset:         148
        .size:           2
        .value_kind:     hidden_group_size_x
      - .offset:         150
        .size:           2
        .value_kind:     hidden_group_size_y
      - .offset:         152
        .size:           2
        .value_kind:     hidden_group_size_z
      - .offset:         154
        .size:           2
        .value_kind:     hidden_remainder_x
      - .offset:         156
        .size:           2
        .value_kind:     hidden_remainder_y
      - .offset:         158
        .size:           2
        .value_kind:     hidden_remainder_z
      - .offset:         176
        .size:           8
        .value_kind:     hidden_global_offset_x
      - .offset:         184
        .size:           8
        .value_kind:     hidden_global_offset_y
      - .offset:         192
        .size:           8
        .value_kind:     hidden_global_offset_z
      - .offset:         200
        .size:           2
        .value_kind:     hidden_grid_dims
    .group_segment_fixed_size: 16384
    .kernarg_segment_align: 8
    .kernarg_segment_size: 392
    .language:       OpenCL C
    .language_version:
      - 2
      - 0
    .max_flat_workgroup_size: 1024
    .name:           _ZL30rocblas_trmm_outofplace_kernelIdLi32ELi2ELb1ELb1ELb0ELb0EPKdS0_dEv17rocblas_diagonal_iiT6_lPT7_lllS5_lllPT8_llli
    .private_segment_fixed_size: 0
    .sgpr_count:     63
    .sgpr_spill_count: 0
    .symbol:         _ZL30rocblas_trmm_outofplace_kernelIdLi32ELi2ELb1ELb1ELb0ELb0EPKdS0_dEv17rocblas_diagonal_iiT6_lPT7_lllS5_lllPT8_llli.kd
    .uniform_work_group_size: 1
    .uses_dynamic_stack: false
    .vgpr_count:     82
    .vgpr_spill_count: 0
    .wavefront_size: 32
  - .args:
      - .offset:         0
        .size:           4
        .value_kind:     by_value
      - .offset:         4
        .size:           4
        .value_kind:     by_value
      - .offset:         8
        .size:           4
        .value_kind:     by_value
      - .offset:         16
        .size:           8
        .value_kind:     by_value
      - .offset:         24
        .size:           8
        .value_kind:     by_value
      - .address_space:  global
        .offset:         32
        .size:           8
        .value_kind:     global_buffer
      - .offset:         40
        .size:           8
        .value_kind:     by_value
      - .offset:         48
        .size:           8
        .value_kind:     by_value
      - .offset:         56
        .size:           8
        .value_kind:     by_value
      - .address_space:  global
        .offset:         64
        .size:           8
        .value_kind:     global_buffer
      - .offset:         72
        .size:           8
        .value_kind:     by_value
      - .offset:         80
        .size:           8
        .value_kind:     by_value
      - .offset:         88
        .size:           8
        .value_kind:     by_value
      - .address_space:  global
        .offset:         96
        .size:           8
        .value_kind:     global_buffer
      - .offset:         104
        .size:           8
        .value_kind:     by_value
      - .offset:         112
        .size:           8
        .value_kind:     by_value
      - .offset:         120
        .size:           8
        .value_kind:     by_value
      - .offset:         128
        .size:           4
        .value_kind:     by_value
      - .offset:         136
        .size:           4
        .value_kind:     hidden_block_count_x
      - .offset:         140
        .size:           4
        .value_kind:     hidden_block_count_y
      - .offset:         144
        .size:           4
        .value_kind:     hidden_block_count_z
      - .offset:         148
        .size:           2
        .value_kind:     hidden_group_size_x
      - .offset:         150
        .size:           2
        .value_kind:     hidden_group_size_y
      - .offset:         152
        .size:           2
        .value_kind:     hidden_group_size_z
      - .offset:         154
        .size:           2
        .value_kind:     hidden_remainder_x
      - .offset:         156
        .size:           2
        .value_kind:     hidden_remainder_y
      - .offset:         158
        .size:           2
        .value_kind:     hidden_remainder_z
      - .offset:         176
        .size:           8
        .value_kind:     hidden_global_offset_x
      - .offset:         184
        .size:           8
        .value_kind:     hidden_global_offset_y
      - .offset:         192
        .size:           8
        .value_kind:     hidden_global_offset_z
      - .offset:         200
        .size:           2
        .value_kind:     hidden_grid_dims
    .group_segment_fixed_size: 16384
    .kernarg_segment_align: 8
    .kernarg_segment_size: 392
    .language:       OpenCL C
    .language_version:
      - 2
      - 0
    .max_flat_workgroup_size: 1024
    .name:           _ZL30rocblas_trmm_outofplace_kernelIdLi32ELi2ELb1ELb1ELb0ELb0EdKddEv17rocblas_diagonal_iiT6_lPT7_lllS4_lllPT8_llli
    .private_segment_fixed_size: 0
    .sgpr_count:     61
    .sgpr_spill_count: 0
    .symbol:         _ZL30rocblas_trmm_outofplace_kernelIdLi32ELi2ELb1ELb1ELb0ELb0EdKddEv17rocblas_diagonal_iiT6_lPT7_lllS4_lllPT8_llli.kd
    .uniform_work_group_size: 1
    .uses_dynamic_stack: false
    .vgpr_count:     82
    .vgpr_spill_count: 0
    .wavefront_size: 32
  - .args:
      - .offset:         0
        .size:           4
        .value_kind:     by_value
      - .offset:         4
        .size:           4
        .value_kind:     by_value
      - .offset:         8
        .size:           4
        .value_kind:     by_value
      - .address_space:  global
        .offset:         16
        .size:           8
        .value_kind:     global_buffer
      - .offset:         24
        .size:           8
        .value_kind:     by_value
      - .address_space:  global
        .offset:         32
        .size:           8
        .value_kind:     global_buffer
      - .offset:         40
        .size:           8
        .value_kind:     by_value
      - .offset:         48
        .size:           8
        .value_kind:     by_value
      - .offset:         56
        .size:           8
        .value_kind:     by_value
      - .address_space:  global
        .offset:         64
        .size:           8
        .value_kind:     global_buffer
      - .offset:         72
        .size:           8
        .value_kind:     by_value
      - .offset:         80
        .size:           8
        .value_kind:     by_value
      - .offset:         88
        .size:           8
        .value_kind:     by_value
      - .address_space:  global
        .offset:         96
        .size:           8
        .value_kind:     global_buffer
      - .offset:         104
        .size:           8
        .value_kind:     by_value
      - .offset:         112
        .size:           8
        .value_kind:     by_value
      - .offset:         120
        .size:           8
        .value_kind:     by_value
      - .offset:         128
        .size:           4
        .value_kind:     by_value
      - .offset:         136
        .size:           4
        .value_kind:     hidden_block_count_x
      - .offset:         140
        .size:           4
        .value_kind:     hidden_block_count_y
      - .offset:         144
        .size:           4
        .value_kind:     hidden_block_count_z
      - .offset:         148
        .size:           2
        .value_kind:     hidden_group_size_x
      - .offset:         150
        .size:           2
        .value_kind:     hidden_group_size_y
      - .offset:         152
        .size:           2
        .value_kind:     hidden_group_size_z
      - .offset:         154
        .size:           2
        .value_kind:     hidden_remainder_x
      - .offset:         156
        .size:           2
        .value_kind:     hidden_remainder_y
      - .offset:         158
        .size:           2
        .value_kind:     hidden_remainder_z
      - .offset:         176
        .size:           8
        .value_kind:     hidden_global_offset_x
      - .offset:         184
        .size:           8
        .value_kind:     hidden_global_offset_y
      - .offset:         192
        .size:           8
        .value_kind:     hidden_global_offset_z
      - .offset:         200
        .size:           2
        .value_kind:     hidden_grid_dims
    .group_segment_fixed_size: 16384
    .kernarg_segment_align: 8
    .kernarg_segment_size: 392
    .language:       OpenCL C
    .language_version:
      - 2
      - 0
    .max_flat_workgroup_size: 1024
    .name:           _ZL30rocblas_trmm_outofplace_kernelIdLi32ELi2ELb1ELb0ELb1ELb0EPKdS0_dEv17rocblas_diagonal_iiT6_lPT7_lllS5_lllPT8_llli
    .private_segment_fixed_size: 0
    .sgpr_count:     59
    .sgpr_spill_count: 0
    .symbol:         _ZL30rocblas_trmm_outofplace_kernelIdLi32ELi2ELb1ELb0ELb1ELb0EPKdS0_dEv17rocblas_diagonal_iiT6_lPT7_lllS5_lllPT8_llli.kd
    .uniform_work_group_size: 1
    .uses_dynamic_stack: false
    .vgpr_count:     80
    .vgpr_spill_count: 0
    .wavefront_size: 32
  - .args:
      - .offset:         0
        .size:           4
        .value_kind:     by_value
      - .offset:         4
        .size:           4
        .value_kind:     by_value
      - .offset:         8
        .size:           4
        .value_kind:     by_value
      - .offset:         16
        .size:           8
        .value_kind:     by_value
      - .offset:         24
        .size:           8
        .value_kind:     by_value
      - .address_space:  global
        .offset:         32
        .size:           8
        .value_kind:     global_buffer
      - .offset:         40
        .size:           8
        .value_kind:     by_value
      - .offset:         48
        .size:           8
        .value_kind:     by_value
      - .offset:         56
        .size:           8
        .value_kind:     by_value
      - .address_space:  global
        .offset:         64
        .size:           8
        .value_kind:     global_buffer
      - .offset:         72
        .size:           8
        .value_kind:     by_value
      - .offset:         80
        .size:           8
        .value_kind:     by_value
      - .offset:         88
        .size:           8
        .value_kind:     by_value
      - .address_space:  global
        .offset:         96
        .size:           8
        .value_kind:     global_buffer
      - .offset:         104
        .size:           8
        .value_kind:     by_value
      - .offset:         112
        .size:           8
        .value_kind:     by_value
      - .offset:         120
        .size:           8
        .value_kind:     by_value
      - .offset:         128
        .size:           4
        .value_kind:     by_value
      - .offset:         136
        .size:           4
        .value_kind:     hidden_block_count_x
      - .offset:         140
        .size:           4
        .value_kind:     hidden_block_count_y
      - .offset:         144
        .size:           4
        .value_kind:     hidden_block_count_z
      - .offset:         148
        .size:           2
        .value_kind:     hidden_group_size_x
      - .offset:         150
        .size:           2
        .value_kind:     hidden_group_size_y
      - .offset:         152
        .size:           2
        .value_kind:     hidden_group_size_z
      - .offset:         154
        .size:           2
        .value_kind:     hidden_remainder_x
      - .offset:         156
        .size:           2
        .value_kind:     hidden_remainder_y
      - .offset:         158
        .size:           2
        .value_kind:     hidden_remainder_z
      - .offset:         176
        .size:           8
        .value_kind:     hidden_global_offset_x
      - .offset:         184
        .size:           8
        .value_kind:     hidden_global_offset_y
      - .offset:         192
        .size:           8
        .value_kind:     hidden_global_offset_z
      - .offset:         200
        .size:           2
        .value_kind:     hidden_grid_dims
    .group_segment_fixed_size: 16384
    .kernarg_segment_align: 8
    .kernarg_segment_size: 392
    .language:       OpenCL C
    .language_version:
      - 2
      - 0
    .max_flat_workgroup_size: 1024
    .name:           _ZL30rocblas_trmm_outofplace_kernelIdLi32ELi2ELb1ELb0ELb1ELb0EdKddEv17rocblas_diagonal_iiT6_lPT7_lllS4_lllPT8_llli
    .private_segment_fixed_size: 0
    .sgpr_count:     57
    .sgpr_spill_count: 0
    .symbol:         _ZL30rocblas_trmm_outofplace_kernelIdLi32ELi2ELb1ELb0ELb1ELb0EdKddEv17rocblas_diagonal_iiT6_lPT7_lllS4_lllPT8_llli.kd
    .uniform_work_group_size: 1
    .uses_dynamic_stack: false
    .vgpr_count:     80
    .vgpr_spill_count: 0
    .wavefront_size: 32
  - .args:
      - .offset:         0
        .size:           4
        .value_kind:     by_value
      - .offset:         4
        .size:           4
        .value_kind:     by_value
      - .offset:         8
        .size:           4
        .value_kind:     by_value
      - .address_space:  global
        .offset:         16
        .size:           8
        .value_kind:     global_buffer
      - .offset:         24
        .size:           8
        .value_kind:     by_value
      - .address_space:  global
        .offset:         32
        .size:           8
        .value_kind:     global_buffer
      - .offset:         40
        .size:           8
        .value_kind:     by_value
      - .offset:         48
        .size:           8
        .value_kind:     by_value
      - .offset:         56
        .size:           8
        .value_kind:     by_value
      - .address_space:  global
        .offset:         64
        .size:           8
        .value_kind:     global_buffer
      - .offset:         72
        .size:           8
        .value_kind:     by_value
      - .offset:         80
        .size:           8
        .value_kind:     by_value
      - .offset:         88
        .size:           8
        .value_kind:     by_value
      - .address_space:  global
        .offset:         96
        .size:           8
        .value_kind:     global_buffer
      - .offset:         104
        .size:           8
        .value_kind:     by_value
      - .offset:         112
        .size:           8
        .value_kind:     by_value
      - .offset:         120
        .size:           8
        .value_kind:     by_value
      - .offset:         128
        .size:           4
        .value_kind:     by_value
      - .offset:         136
        .size:           4
        .value_kind:     hidden_block_count_x
      - .offset:         140
        .size:           4
        .value_kind:     hidden_block_count_y
      - .offset:         144
        .size:           4
        .value_kind:     hidden_block_count_z
      - .offset:         148
        .size:           2
        .value_kind:     hidden_group_size_x
      - .offset:         150
        .size:           2
        .value_kind:     hidden_group_size_y
      - .offset:         152
        .size:           2
        .value_kind:     hidden_group_size_z
      - .offset:         154
        .size:           2
        .value_kind:     hidden_remainder_x
      - .offset:         156
        .size:           2
        .value_kind:     hidden_remainder_y
      - .offset:         158
        .size:           2
        .value_kind:     hidden_remainder_z
      - .offset:         176
        .size:           8
        .value_kind:     hidden_global_offset_x
      - .offset:         184
        .size:           8
        .value_kind:     hidden_global_offset_y
      - .offset:         192
        .size:           8
        .value_kind:     hidden_global_offset_z
      - .offset:         200
        .size:           2
        .value_kind:     hidden_grid_dims
    .group_segment_fixed_size: 16384
    .kernarg_segment_align: 8
    .kernarg_segment_size: 392
    .language:       OpenCL C
    .language_version:
      - 2
      - 0
    .max_flat_workgroup_size: 1024
    .name:           _ZL30rocblas_trmm_outofplace_kernelIdLi32ELi2ELb1ELb1ELb1ELb0EPKdS0_dEv17rocblas_diagonal_iiT6_lPT7_lllS5_lllPT8_llli
    .private_segment_fixed_size: 0
    .sgpr_count:     59
    .sgpr_spill_count: 0
    .symbol:         _ZL30rocblas_trmm_outofplace_kernelIdLi32ELi2ELb1ELb1ELb1ELb0EPKdS0_dEv17rocblas_diagonal_iiT6_lPT7_lllS5_lllPT8_llli.kd
    .uniform_work_group_size: 1
    .uses_dynamic_stack: false
    .vgpr_count:     80
    .vgpr_spill_count: 0
    .wavefront_size: 32
  - .args:
      - .offset:         0
        .size:           4
        .value_kind:     by_value
      - .offset:         4
        .size:           4
        .value_kind:     by_value
      - .offset:         8
        .size:           4
        .value_kind:     by_value
      - .offset:         16
        .size:           8
        .value_kind:     by_value
      - .offset:         24
        .size:           8
        .value_kind:     by_value
      - .address_space:  global
        .offset:         32
        .size:           8
        .value_kind:     global_buffer
      - .offset:         40
        .size:           8
        .value_kind:     by_value
      - .offset:         48
        .size:           8
        .value_kind:     by_value
      - .offset:         56
        .size:           8
        .value_kind:     by_value
      - .address_space:  global
        .offset:         64
        .size:           8
        .value_kind:     global_buffer
      - .offset:         72
        .size:           8
        .value_kind:     by_value
      - .offset:         80
        .size:           8
        .value_kind:     by_value
      - .offset:         88
        .size:           8
        .value_kind:     by_value
      - .address_space:  global
        .offset:         96
        .size:           8
        .value_kind:     global_buffer
      - .offset:         104
        .size:           8
        .value_kind:     by_value
      - .offset:         112
        .size:           8
        .value_kind:     by_value
      - .offset:         120
        .size:           8
        .value_kind:     by_value
      - .offset:         128
        .size:           4
        .value_kind:     by_value
      - .offset:         136
        .size:           4
        .value_kind:     hidden_block_count_x
      - .offset:         140
        .size:           4
        .value_kind:     hidden_block_count_y
      - .offset:         144
        .size:           4
        .value_kind:     hidden_block_count_z
      - .offset:         148
        .size:           2
        .value_kind:     hidden_group_size_x
      - .offset:         150
        .size:           2
        .value_kind:     hidden_group_size_y
      - .offset:         152
        .size:           2
        .value_kind:     hidden_group_size_z
      - .offset:         154
        .size:           2
        .value_kind:     hidden_remainder_x
      - .offset:         156
        .size:           2
        .value_kind:     hidden_remainder_y
      - .offset:         158
        .size:           2
        .value_kind:     hidden_remainder_z
      - .offset:         176
        .size:           8
        .value_kind:     hidden_global_offset_x
      - .offset:         184
        .size:           8
        .value_kind:     hidden_global_offset_y
      - .offset:         192
        .size:           8
        .value_kind:     hidden_global_offset_z
      - .offset:         200
        .size:           2
        .value_kind:     hidden_grid_dims
    .group_segment_fixed_size: 16384
    .kernarg_segment_align: 8
    .kernarg_segment_size: 392
    .language:       OpenCL C
    .language_version:
      - 2
      - 0
    .max_flat_workgroup_size: 1024
    .name:           _ZL30rocblas_trmm_outofplace_kernelIdLi32ELi2ELb1ELb1ELb1ELb0EdKddEv17rocblas_diagonal_iiT6_lPT7_lllS4_lllPT8_llli
    .private_segment_fixed_size: 0
    .sgpr_count:     57
    .sgpr_spill_count: 0
    .symbol:         _ZL30rocblas_trmm_outofplace_kernelIdLi32ELi2ELb1ELb1ELb1ELb0EdKddEv17rocblas_diagonal_iiT6_lPT7_lllS4_lllPT8_llli.kd
    .uniform_work_group_size: 1
    .uses_dynamic_stack: false
    .vgpr_count:     78
    .vgpr_spill_count: 0
    .wavefront_size: 32
  - .args:
      - .offset:         0
        .size:           4
        .value_kind:     by_value
      - .offset:         4
        .size:           4
        .value_kind:     by_value
      - .offset:         8
        .size:           4
        .value_kind:     by_value
      - .address_space:  global
        .offset:         16
        .size:           8
        .value_kind:     global_buffer
      - .offset:         24
        .size:           8
        .value_kind:     by_value
      - .address_space:  global
        .offset:         32
        .size:           8
        .value_kind:     global_buffer
      - .offset:         40
        .size:           8
        .value_kind:     by_value
      - .offset:         48
        .size:           8
        .value_kind:     by_value
      - .offset:         56
        .size:           8
        .value_kind:     by_value
      - .address_space:  global
        .offset:         64
        .size:           8
        .value_kind:     global_buffer
      - .offset:         72
        .size:           8
        .value_kind:     by_value
      - .offset:         80
        .size:           8
        .value_kind:     by_value
      - .offset:         88
        .size:           8
        .value_kind:     by_value
      - .address_space:  global
        .offset:         96
        .size:           8
        .value_kind:     global_buffer
      - .offset:         104
        .size:           8
        .value_kind:     by_value
      - .offset:         112
        .size:           8
        .value_kind:     by_value
      - .offset:         120
        .size:           8
        .value_kind:     by_value
      - .offset:         128
        .size:           4
        .value_kind:     by_value
      - .offset:         136
        .size:           4
        .value_kind:     hidden_block_count_x
      - .offset:         140
        .size:           4
        .value_kind:     hidden_block_count_y
      - .offset:         144
        .size:           4
        .value_kind:     hidden_block_count_z
      - .offset:         148
        .size:           2
        .value_kind:     hidden_group_size_x
      - .offset:         150
        .size:           2
        .value_kind:     hidden_group_size_y
      - .offset:         152
        .size:           2
        .value_kind:     hidden_group_size_z
      - .offset:         154
        .size:           2
        .value_kind:     hidden_remainder_x
      - .offset:         156
        .size:           2
        .value_kind:     hidden_remainder_y
      - .offset:         158
        .size:           2
        .value_kind:     hidden_remainder_z
      - .offset:         176
        .size:           8
        .value_kind:     hidden_global_offset_x
      - .offset:         184
        .size:           8
        .value_kind:     hidden_global_offset_y
      - .offset:         192
        .size:           8
        .value_kind:     hidden_global_offset_z
      - .offset:         200
        .size:           2
        .value_kind:     hidden_grid_dims
    .group_segment_fixed_size: 16384
    .kernarg_segment_align: 8
    .kernarg_segment_size: 392
    .language:       OpenCL C
    .language_version:
      - 2
      - 0
    .max_flat_workgroup_size: 1024
    .name:           _ZL30rocblas_trmm_outofplace_kernelIdLi32ELi2ELb1ELb0ELb1ELb1EPKdS0_dEv17rocblas_diagonal_iiT6_lPT7_lllS5_lllPT8_llli
    .private_segment_fixed_size: 0
    .sgpr_count:     59
    .sgpr_spill_count: 0
    .symbol:         _ZL30rocblas_trmm_outofplace_kernelIdLi32ELi2ELb1ELb0ELb1ELb1EPKdS0_dEv17rocblas_diagonal_iiT6_lPT7_lllS5_lllPT8_llli.kd
    .uniform_work_group_size: 1
    .uses_dynamic_stack: false
    .vgpr_count:     80
    .vgpr_spill_count: 0
    .wavefront_size: 32
  - .args:
      - .offset:         0
        .size:           4
        .value_kind:     by_value
      - .offset:         4
        .size:           4
        .value_kind:     by_value
      - .offset:         8
        .size:           4
        .value_kind:     by_value
      - .offset:         16
        .size:           8
        .value_kind:     by_value
      - .offset:         24
        .size:           8
        .value_kind:     by_value
      - .address_space:  global
        .offset:         32
        .size:           8
        .value_kind:     global_buffer
      - .offset:         40
        .size:           8
        .value_kind:     by_value
      - .offset:         48
        .size:           8
        .value_kind:     by_value
      - .offset:         56
        .size:           8
        .value_kind:     by_value
      - .address_space:  global
        .offset:         64
        .size:           8
        .value_kind:     global_buffer
      - .offset:         72
        .size:           8
        .value_kind:     by_value
      - .offset:         80
        .size:           8
        .value_kind:     by_value
      - .offset:         88
        .size:           8
        .value_kind:     by_value
      - .address_space:  global
        .offset:         96
        .size:           8
        .value_kind:     global_buffer
      - .offset:         104
        .size:           8
        .value_kind:     by_value
      - .offset:         112
        .size:           8
        .value_kind:     by_value
      - .offset:         120
        .size:           8
        .value_kind:     by_value
      - .offset:         128
        .size:           4
        .value_kind:     by_value
      - .offset:         136
        .size:           4
        .value_kind:     hidden_block_count_x
      - .offset:         140
        .size:           4
        .value_kind:     hidden_block_count_y
      - .offset:         144
        .size:           4
        .value_kind:     hidden_block_count_z
      - .offset:         148
        .size:           2
        .value_kind:     hidden_group_size_x
      - .offset:         150
        .size:           2
        .value_kind:     hidden_group_size_y
      - .offset:         152
        .size:           2
        .value_kind:     hidden_group_size_z
      - .offset:         154
        .size:           2
        .value_kind:     hidden_remainder_x
      - .offset:         156
        .size:           2
        .value_kind:     hidden_remainder_y
      - .offset:         158
        .size:           2
        .value_kind:     hidden_remainder_z
      - .offset:         176
        .size:           8
        .value_kind:     hidden_global_offset_x
      - .offset:         184
        .size:           8
        .value_kind:     hidden_global_offset_y
      - .offset:         192
        .size:           8
        .value_kind:     hidden_global_offset_z
      - .offset:         200
        .size:           2
        .value_kind:     hidden_grid_dims
    .group_segment_fixed_size: 16384
    .kernarg_segment_align: 8
    .kernarg_segment_size: 392
    .language:       OpenCL C
    .language_version:
      - 2
      - 0
    .max_flat_workgroup_size: 1024
    .name:           _ZL30rocblas_trmm_outofplace_kernelIdLi32ELi2ELb1ELb0ELb1ELb1EdKddEv17rocblas_diagonal_iiT6_lPT7_lllS4_lllPT8_llli
    .private_segment_fixed_size: 0
    .sgpr_count:     57
    .sgpr_spill_count: 0
    .symbol:         _ZL30rocblas_trmm_outofplace_kernelIdLi32ELi2ELb1ELb0ELb1ELb1EdKddEv17rocblas_diagonal_iiT6_lPT7_lllS4_lllPT8_llli.kd
    .uniform_work_group_size: 1
    .uses_dynamic_stack: false
    .vgpr_count:     80
    .vgpr_spill_count: 0
    .wavefront_size: 32
  - .args:
      - .offset:         0
        .size:           4
        .value_kind:     by_value
      - .offset:         4
        .size:           4
        .value_kind:     by_value
      - .offset:         8
        .size:           4
        .value_kind:     by_value
      - .address_space:  global
        .offset:         16
        .size:           8
        .value_kind:     global_buffer
      - .offset:         24
        .size:           8
        .value_kind:     by_value
      - .address_space:  global
        .offset:         32
        .size:           8
        .value_kind:     global_buffer
      - .offset:         40
        .size:           8
        .value_kind:     by_value
      - .offset:         48
        .size:           8
        .value_kind:     by_value
      - .offset:         56
        .size:           8
        .value_kind:     by_value
      - .address_space:  global
        .offset:         64
        .size:           8
        .value_kind:     global_buffer
      - .offset:         72
        .size:           8
        .value_kind:     by_value
      - .offset:         80
        .size:           8
        .value_kind:     by_value
      - .offset:         88
        .size:           8
        .value_kind:     by_value
      - .address_space:  global
        .offset:         96
        .size:           8
        .value_kind:     global_buffer
      - .offset:         104
        .size:           8
        .value_kind:     by_value
      - .offset:         112
        .size:           8
        .value_kind:     by_value
      - .offset:         120
        .size:           8
        .value_kind:     by_value
      - .offset:         128
        .size:           4
        .value_kind:     by_value
      - .offset:         136
        .size:           4
        .value_kind:     hidden_block_count_x
      - .offset:         140
        .size:           4
        .value_kind:     hidden_block_count_y
      - .offset:         144
        .size:           4
        .value_kind:     hidden_block_count_z
      - .offset:         148
        .size:           2
        .value_kind:     hidden_group_size_x
      - .offset:         150
        .size:           2
        .value_kind:     hidden_group_size_y
      - .offset:         152
        .size:           2
        .value_kind:     hidden_group_size_z
      - .offset:         154
        .size:           2
        .value_kind:     hidden_remainder_x
      - .offset:         156
        .size:           2
        .value_kind:     hidden_remainder_y
      - .offset:         158
        .size:           2
        .value_kind:     hidden_remainder_z
      - .offset:         176
        .size:           8
        .value_kind:     hidden_global_offset_x
      - .offset:         184
        .size:           8
        .value_kind:     hidden_global_offset_y
      - .offset:         192
        .size:           8
        .value_kind:     hidden_global_offset_z
      - .offset:         200
        .size:           2
        .value_kind:     hidden_grid_dims
    .group_segment_fixed_size: 16384
    .kernarg_segment_align: 8
    .kernarg_segment_size: 392
    .language:       OpenCL C
    .language_version:
      - 2
      - 0
    .max_flat_workgroup_size: 1024
    .name:           _ZL30rocblas_trmm_outofplace_kernelIdLi32ELi2ELb1ELb1ELb1ELb1EPKdS0_dEv17rocblas_diagonal_iiT6_lPT7_lllS5_lllPT8_llli
    .private_segment_fixed_size: 0
    .sgpr_count:     59
    .sgpr_spill_count: 0
    .symbol:         _ZL30rocblas_trmm_outofplace_kernelIdLi32ELi2ELb1ELb1ELb1ELb1EPKdS0_dEv17rocblas_diagonal_iiT6_lPT7_lllS5_lllPT8_llli.kd
    .uniform_work_group_size: 1
    .uses_dynamic_stack: false
    .vgpr_count:     80
    .vgpr_spill_count: 0
    .wavefront_size: 32
  - .args:
      - .offset:         0
        .size:           4
        .value_kind:     by_value
      - .offset:         4
        .size:           4
        .value_kind:     by_value
      - .offset:         8
        .size:           4
        .value_kind:     by_value
      - .offset:         16
        .size:           8
        .value_kind:     by_value
      - .offset:         24
        .size:           8
        .value_kind:     by_value
      - .address_space:  global
        .offset:         32
        .size:           8
        .value_kind:     global_buffer
      - .offset:         40
        .size:           8
        .value_kind:     by_value
      - .offset:         48
        .size:           8
        .value_kind:     by_value
      - .offset:         56
        .size:           8
        .value_kind:     by_value
      - .address_space:  global
        .offset:         64
        .size:           8
        .value_kind:     global_buffer
      - .offset:         72
        .size:           8
        .value_kind:     by_value
      - .offset:         80
        .size:           8
        .value_kind:     by_value
      - .offset:         88
        .size:           8
        .value_kind:     by_value
      - .address_space:  global
        .offset:         96
        .size:           8
        .value_kind:     global_buffer
      - .offset:         104
        .size:           8
        .value_kind:     by_value
      - .offset:         112
        .size:           8
        .value_kind:     by_value
      - .offset:         120
        .size:           8
        .value_kind:     by_value
      - .offset:         128
        .size:           4
        .value_kind:     by_value
      - .offset:         136
        .size:           4
        .value_kind:     hidden_block_count_x
      - .offset:         140
        .size:           4
        .value_kind:     hidden_block_count_y
      - .offset:         144
        .size:           4
        .value_kind:     hidden_block_count_z
      - .offset:         148
        .size:           2
        .value_kind:     hidden_group_size_x
      - .offset:         150
        .size:           2
        .value_kind:     hidden_group_size_y
      - .offset:         152
        .size:           2
        .value_kind:     hidden_group_size_z
      - .offset:         154
        .size:           2
        .value_kind:     hidden_remainder_x
      - .offset:         156
        .size:           2
        .value_kind:     hidden_remainder_y
      - .offset:         158
        .size:           2
        .value_kind:     hidden_remainder_z
      - .offset:         176
        .size:           8
        .value_kind:     hidden_global_offset_x
      - .offset:         184
        .size:           8
        .value_kind:     hidden_global_offset_y
      - .offset:         192
        .size:           8
        .value_kind:     hidden_global_offset_z
      - .offset:         200
        .size:           2
        .value_kind:     hidden_grid_dims
    .group_segment_fixed_size: 16384
    .kernarg_segment_align: 8
    .kernarg_segment_size: 392
    .language:       OpenCL C
    .language_version:
      - 2
      - 0
    .max_flat_workgroup_size: 1024
    .name:           _ZL30rocblas_trmm_outofplace_kernelIdLi32ELi2ELb1ELb1ELb1ELb1EdKddEv17rocblas_diagonal_iiT6_lPT7_lllS4_lllPT8_llli
    .private_segment_fixed_size: 0
    .sgpr_count:     57
    .sgpr_spill_count: 0
    .symbol:         _ZL30rocblas_trmm_outofplace_kernelIdLi32ELi2ELb1ELb1ELb1ELb1EdKddEv17rocblas_diagonal_iiT6_lPT7_lllS4_lllPT8_llli.kd
    .uniform_work_group_size: 1
    .uses_dynamic_stack: false
    .vgpr_count:     78
    .vgpr_spill_count: 0
    .wavefront_size: 32
  - .args:
      - .offset:         0
        .size:           4
        .value_kind:     by_value
      - .offset:         4
        .size:           4
        .value_kind:     by_value
      - .offset:         8
        .size:           4
        .value_kind:     by_value
      - .address_space:  global
        .offset:         16
        .size:           8
        .value_kind:     global_buffer
      - .offset:         24
        .size:           8
        .value_kind:     by_value
      - .address_space:  global
        .offset:         32
        .size:           8
        .value_kind:     global_buffer
      - .offset:         40
        .size:           8
        .value_kind:     by_value
      - .offset:         48
        .size:           8
        .value_kind:     by_value
      - .offset:         56
        .size:           8
        .value_kind:     by_value
      - .address_space:  global
        .offset:         64
        .size:           8
        .value_kind:     global_buffer
      - .offset:         72
        .size:           8
        .value_kind:     by_value
      - .offset:         80
        .size:           8
        .value_kind:     by_value
      - .offset:         88
        .size:           8
        .value_kind:     by_value
      - .address_space:  global
        .offset:         96
        .size:           8
        .value_kind:     global_buffer
      - .offset:         104
        .size:           8
        .value_kind:     by_value
      - .offset:         112
        .size:           8
        .value_kind:     by_value
      - .offset:         120
        .size:           8
        .value_kind:     by_value
      - .offset:         128
        .size:           4
        .value_kind:     by_value
      - .offset:         136
        .size:           4
        .value_kind:     hidden_block_count_x
      - .offset:         140
        .size:           4
        .value_kind:     hidden_block_count_y
      - .offset:         144
        .size:           4
        .value_kind:     hidden_block_count_z
      - .offset:         148
        .size:           2
        .value_kind:     hidden_group_size_x
      - .offset:         150
        .size:           2
        .value_kind:     hidden_group_size_y
      - .offset:         152
        .size:           2
        .value_kind:     hidden_group_size_z
      - .offset:         154
        .size:           2
        .value_kind:     hidden_remainder_x
      - .offset:         156
        .size:           2
        .value_kind:     hidden_remainder_y
      - .offset:         158
        .size:           2
        .value_kind:     hidden_remainder_z
      - .offset:         176
        .size:           8
        .value_kind:     hidden_global_offset_x
      - .offset:         184
        .size:           8
        .value_kind:     hidden_global_offset_y
      - .offset:         192
        .size:           8
        .value_kind:     hidden_global_offset_z
      - .offset:         200
        .size:           2
        .value_kind:     hidden_grid_dims
    .group_segment_fixed_size: 16384
    .kernarg_segment_align: 8
    .kernarg_segment_size: 392
    .language:       OpenCL C
    .language_version:
      - 2
      - 0
    .max_flat_workgroup_size: 1024
    .name:           _ZL30rocblas_trmm_outofplace_kernelIdLi32ELi2ELb0ELb0ELb0ELb0EPKdS0_dEv17rocblas_diagonal_iiT6_lPT7_lllS5_lllPT8_llli
    .private_segment_fixed_size: 0
    .sgpr_count:     65
    .sgpr_spill_count: 0
    .symbol:         _ZL30rocblas_trmm_outofplace_kernelIdLi32ELi2ELb0ELb0ELb0ELb0EPKdS0_dEv17rocblas_diagonal_iiT6_lPT7_lllS5_lllPT8_llli.kd
    .uniform_work_group_size: 1
    .uses_dynamic_stack: false
    .vgpr_count:     82
    .vgpr_spill_count: 0
    .wavefront_size: 32
  - .args:
      - .offset:         0
        .size:           4
        .value_kind:     by_value
      - .offset:         4
        .size:           4
        .value_kind:     by_value
      - .offset:         8
        .size:           4
        .value_kind:     by_value
      - .offset:         16
        .size:           8
        .value_kind:     by_value
      - .offset:         24
        .size:           8
        .value_kind:     by_value
      - .address_space:  global
        .offset:         32
        .size:           8
        .value_kind:     global_buffer
      - .offset:         40
        .size:           8
        .value_kind:     by_value
      - .offset:         48
        .size:           8
        .value_kind:     by_value
      - .offset:         56
        .size:           8
        .value_kind:     by_value
      - .address_space:  global
        .offset:         64
        .size:           8
        .value_kind:     global_buffer
      - .offset:         72
        .size:           8
        .value_kind:     by_value
      - .offset:         80
        .size:           8
        .value_kind:     by_value
      - .offset:         88
        .size:           8
        .value_kind:     by_value
      - .address_space:  global
        .offset:         96
        .size:           8
        .value_kind:     global_buffer
      - .offset:         104
        .size:           8
        .value_kind:     by_value
      - .offset:         112
        .size:           8
        .value_kind:     by_value
      - .offset:         120
        .size:           8
        .value_kind:     by_value
      - .offset:         128
        .size:           4
        .value_kind:     by_value
      - .offset:         136
        .size:           4
        .value_kind:     hidden_block_count_x
      - .offset:         140
        .size:           4
        .value_kind:     hidden_block_count_y
      - .offset:         144
        .size:           4
        .value_kind:     hidden_block_count_z
      - .offset:         148
        .size:           2
        .value_kind:     hidden_group_size_x
      - .offset:         150
        .size:           2
        .value_kind:     hidden_group_size_y
      - .offset:         152
        .size:           2
        .value_kind:     hidden_group_size_z
      - .offset:         154
        .size:           2
        .value_kind:     hidden_remainder_x
      - .offset:         156
        .size:           2
        .value_kind:     hidden_remainder_y
      - .offset:         158
        .size:           2
        .value_kind:     hidden_remainder_z
      - .offset:         176
        .size:           8
        .value_kind:     hidden_global_offset_x
      - .offset:         184
        .size:           8
        .value_kind:     hidden_global_offset_y
      - .offset:         192
        .size:           8
        .value_kind:     hidden_global_offset_z
      - .offset:         200
        .size:           2
        .value_kind:     hidden_grid_dims
    .group_segment_fixed_size: 16384
    .kernarg_segment_align: 8
    .kernarg_segment_size: 392
    .language:       OpenCL C
    .language_version:
      - 2
      - 0
    .max_flat_workgroup_size: 1024
    .name:           _ZL30rocblas_trmm_outofplace_kernelIdLi32ELi2ELb0ELb0ELb0ELb0EdKddEv17rocblas_diagonal_iiT6_lPT7_lllS4_lllPT8_llli
    .private_segment_fixed_size: 0
    .sgpr_count:     63
    .sgpr_spill_count: 0
    .symbol:         _ZL30rocblas_trmm_outofplace_kernelIdLi32ELi2ELb0ELb0ELb0ELb0EdKddEv17rocblas_diagonal_iiT6_lPT7_lllS4_lllPT8_llli.kd
    .uniform_work_group_size: 1
    .uses_dynamic_stack: false
    .vgpr_count:     80
    .vgpr_spill_count: 0
    .wavefront_size: 32
  - .args:
      - .offset:         0
        .size:           4
        .value_kind:     by_value
      - .offset:         4
        .size:           4
        .value_kind:     by_value
      - .offset:         8
        .size:           4
        .value_kind:     by_value
      - .address_space:  global
        .offset:         16
        .size:           8
        .value_kind:     global_buffer
      - .offset:         24
        .size:           8
        .value_kind:     by_value
      - .address_space:  global
        .offset:         32
        .size:           8
        .value_kind:     global_buffer
      - .offset:         40
        .size:           8
        .value_kind:     by_value
      - .offset:         48
        .size:           8
        .value_kind:     by_value
      - .offset:         56
        .size:           8
        .value_kind:     by_value
      - .address_space:  global
        .offset:         64
        .size:           8
        .value_kind:     global_buffer
      - .offset:         72
        .size:           8
        .value_kind:     by_value
      - .offset:         80
        .size:           8
        .value_kind:     by_value
      - .offset:         88
        .size:           8
        .value_kind:     by_value
      - .address_space:  global
        .offset:         96
        .size:           8
        .value_kind:     global_buffer
      - .offset:         104
        .size:           8
        .value_kind:     by_value
      - .offset:         112
        .size:           8
        .value_kind:     by_value
      - .offset:         120
        .size:           8
        .value_kind:     by_value
      - .offset:         128
        .size:           4
        .value_kind:     by_value
      - .offset:         136
        .size:           4
        .value_kind:     hidden_block_count_x
      - .offset:         140
        .size:           4
        .value_kind:     hidden_block_count_y
      - .offset:         144
        .size:           4
        .value_kind:     hidden_block_count_z
      - .offset:         148
        .size:           2
        .value_kind:     hidden_group_size_x
      - .offset:         150
        .size:           2
        .value_kind:     hidden_group_size_y
      - .offset:         152
        .size:           2
        .value_kind:     hidden_group_size_z
      - .offset:         154
        .size:           2
        .value_kind:     hidden_remainder_x
      - .offset:         156
        .size:           2
        .value_kind:     hidden_remainder_y
      - .offset:         158
        .size:           2
        .value_kind:     hidden_remainder_z
      - .offset:         176
        .size:           8
        .value_kind:     hidden_global_offset_x
      - .offset:         184
        .size:           8
        .value_kind:     hidden_global_offset_y
      - .offset:         192
        .size:           8
        .value_kind:     hidden_global_offset_z
      - .offset:         200
        .size:           2
        .value_kind:     hidden_grid_dims
    .group_segment_fixed_size: 16384
    .kernarg_segment_align: 8
    .kernarg_segment_size: 392
    .language:       OpenCL C
    .language_version:
      - 2
      - 0
    .max_flat_workgroup_size: 1024
    .name:           _ZL30rocblas_trmm_outofplace_kernelIdLi32ELi2ELb0ELb1ELb0ELb0EPKdS0_dEv17rocblas_diagonal_iiT6_lPT7_lllS5_lllPT8_llli
    .private_segment_fixed_size: 0
    .sgpr_count:     61
    .sgpr_spill_count: 0
    .symbol:         _ZL30rocblas_trmm_outofplace_kernelIdLi32ELi2ELb0ELb1ELb0ELb0EPKdS0_dEv17rocblas_diagonal_iiT6_lPT7_lllS5_lllPT8_llli.kd
    .uniform_work_group_size: 1
    .uses_dynamic_stack: false
    .vgpr_count:     82
    .vgpr_spill_count: 0
    .wavefront_size: 32
  - .args:
      - .offset:         0
        .size:           4
        .value_kind:     by_value
      - .offset:         4
        .size:           4
        .value_kind:     by_value
      - .offset:         8
        .size:           4
        .value_kind:     by_value
      - .offset:         16
        .size:           8
        .value_kind:     by_value
      - .offset:         24
        .size:           8
        .value_kind:     by_value
      - .address_space:  global
        .offset:         32
        .size:           8
        .value_kind:     global_buffer
      - .offset:         40
        .size:           8
        .value_kind:     by_value
      - .offset:         48
        .size:           8
        .value_kind:     by_value
      - .offset:         56
        .size:           8
        .value_kind:     by_value
      - .address_space:  global
        .offset:         64
        .size:           8
        .value_kind:     global_buffer
      - .offset:         72
        .size:           8
        .value_kind:     by_value
      - .offset:         80
        .size:           8
        .value_kind:     by_value
      - .offset:         88
        .size:           8
        .value_kind:     by_value
      - .address_space:  global
        .offset:         96
        .size:           8
        .value_kind:     global_buffer
      - .offset:         104
        .size:           8
        .value_kind:     by_value
      - .offset:         112
        .size:           8
        .value_kind:     by_value
      - .offset:         120
        .size:           8
        .value_kind:     by_value
      - .offset:         128
        .size:           4
        .value_kind:     by_value
      - .offset:         136
        .size:           4
        .value_kind:     hidden_block_count_x
      - .offset:         140
        .size:           4
        .value_kind:     hidden_block_count_y
      - .offset:         144
        .size:           4
        .value_kind:     hidden_block_count_z
      - .offset:         148
        .size:           2
        .value_kind:     hidden_group_size_x
      - .offset:         150
        .size:           2
        .value_kind:     hidden_group_size_y
      - .offset:         152
        .size:           2
        .value_kind:     hidden_group_size_z
      - .offset:         154
        .size:           2
        .value_kind:     hidden_remainder_x
      - .offset:         156
        .size:           2
        .value_kind:     hidden_remainder_y
      - .offset:         158
        .size:           2
        .value_kind:     hidden_remainder_z
      - .offset:         176
        .size:           8
        .value_kind:     hidden_global_offset_x
      - .offset:         184
        .size:           8
        .value_kind:     hidden_global_offset_y
      - .offset:         192
        .size:           8
        .value_kind:     hidden_global_offset_z
      - .offset:         200
        .size:           2
        .value_kind:     hidden_grid_dims
    .group_segment_fixed_size: 16384
    .kernarg_segment_align: 8
    .kernarg_segment_size: 392
    .language:       OpenCL C
    .language_version:
      - 2
      - 0
    .max_flat_workgroup_size: 1024
    .name:           _ZL30rocblas_trmm_outofplace_kernelIdLi32ELi2ELb0ELb1ELb0ELb0EdKddEv17rocblas_diagonal_iiT6_lPT7_lllS4_lllPT8_llli
    .private_segment_fixed_size: 0
    .sgpr_count:     59
    .sgpr_spill_count: 0
    .symbol:         _ZL30rocblas_trmm_outofplace_kernelIdLi32ELi2ELb0ELb1ELb0ELb0EdKddEv17rocblas_diagonal_iiT6_lPT7_lllS4_lllPT8_llli.kd
    .uniform_work_group_size: 1
    .uses_dynamic_stack: false
    .vgpr_count:     82
    .vgpr_spill_count: 0
    .wavefront_size: 32
  - .args:
      - .offset:         0
        .size:           4
        .value_kind:     by_value
      - .offset:         4
        .size:           4
        .value_kind:     by_value
      - .offset:         8
        .size:           4
        .value_kind:     by_value
      - .address_space:  global
        .offset:         16
        .size:           8
        .value_kind:     global_buffer
      - .offset:         24
        .size:           8
        .value_kind:     by_value
      - .address_space:  global
        .offset:         32
        .size:           8
        .value_kind:     global_buffer
      - .offset:         40
        .size:           8
        .value_kind:     by_value
      - .offset:         48
        .size:           8
        .value_kind:     by_value
      - .offset:         56
        .size:           8
        .value_kind:     by_value
      - .address_space:  global
        .offset:         64
        .size:           8
        .value_kind:     global_buffer
      - .offset:         72
        .size:           8
        .value_kind:     by_value
      - .offset:         80
        .size:           8
        .value_kind:     by_value
      - .offset:         88
        .size:           8
        .value_kind:     by_value
      - .address_space:  global
        .offset:         96
        .size:           8
        .value_kind:     global_buffer
      - .offset:         104
        .size:           8
        .value_kind:     by_value
      - .offset:         112
        .size:           8
        .value_kind:     by_value
      - .offset:         120
        .size:           8
        .value_kind:     by_value
      - .offset:         128
        .size:           4
        .value_kind:     by_value
      - .offset:         136
        .size:           4
        .value_kind:     hidden_block_count_x
      - .offset:         140
        .size:           4
        .value_kind:     hidden_block_count_y
      - .offset:         144
        .size:           4
        .value_kind:     hidden_block_count_z
      - .offset:         148
        .size:           2
        .value_kind:     hidden_group_size_x
      - .offset:         150
        .size:           2
        .value_kind:     hidden_group_size_y
      - .offset:         152
        .size:           2
        .value_kind:     hidden_group_size_z
      - .offset:         154
        .size:           2
        .value_kind:     hidden_remainder_x
      - .offset:         156
        .size:           2
        .value_kind:     hidden_remainder_y
      - .offset:         158
        .size:           2
        .value_kind:     hidden_remainder_z
      - .offset:         176
        .size:           8
        .value_kind:     hidden_global_offset_x
      - .offset:         184
        .size:           8
        .value_kind:     hidden_global_offset_y
      - .offset:         192
        .size:           8
        .value_kind:     hidden_global_offset_z
      - .offset:         200
        .size:           2
        .value_kind:     hidden_grid_dims
    .group_segment_fixed_size: 16384
    .kernarg_segment_align: 8
    .kernarg_segment_size: 392
    .language:       OpenCL C
    .language_version:
      - 2
      - 0
    .max_flat_workgroup_size: 1024
    .name:           _ZL30rocblas_trmm_outofplace_kernelIdLi32ELi2ELb0ELb0ELb1ELb0EPKdS0_dEv17rocblas_diagonal_iiT6_lPT7_lllS5_lllPT8_llli
    .private_segment_fixed_size: 0
    .sgpr_count:     55
    .sgpr_spill_count: 0
    .symbol:         _ZL30rocblas_trmm_outofplace_kernelIdLi32ELi2ELb0ELb0ELb1ELb0EPKdS0_dEv17rocblas_diagonal_iiT6_lPT7_lllS5_lllPT8_llli.kd
    .uniform_work_group_size: 1
    .uses_dynamic_stack: false
    .vgpr_count:     90
    .vgpr_spill_count: 0
    .wavefront_size: 32
  - .args:
      - .offset:         0
        .size:           4
        .value_kind:     by_value
      - .offset:         4
        .size:           4
        .value_kind:     by_value
      - .offset:         8
        .size:           4
        .value_kind:     by_value
      - .offset:         16
        .size:           8
        .value_kind:     by_value
      - .offset:         24
        .size:           8
        .value_kind:     by_value
      - .address_space:  global
        .offset:         32
        .size:           8
        .value_kind:     global_buffer
      - .offset:         40
        .size:           8
        .value_kind:     by_value
      - .offset:         48
        .size:           8
        .value_kind:     by_value
      - .offset:         56
        .size:           8
        .value_kind:     by_value
      - .address_space:  global
        .offset:         64
        .size:           8
        .value_kind:     global_buffer
      - .offset:         72
        .size:           8
        .value_kind:     by_value
      - .offset:         80
        .size:           8
        .value_kind:     by_value
      - .offset:         88
        .size:           8
        .value_kind:     by_value
      - .address_space:  global
        .offset:         96
        .size:           8
        .value_kind:     global_buffer
      - .offset:         104
        .size:           8
        .value_kind:     by_value
      - .offset:         112
        .size:           8
        .value_kind:     by_value
      - .offset:         120
        .size:           8
        .value_kind:     by_value
      - .offset:         128
        .size:           4
        .value_kind:     by_value
      - .offset:         136
        .size:           4
        .value_kind:     hidden_block_count_x
      - .offset:         140
        .size:           4
        .value_kind:     hidden_block_count_y
      - .offset:         144
        .size:           4
        .value_kind:     hidden_block_count_z
      - .offset:         148
        .size:           2
        .value_kind:     hidden_group_size_x
      - .offset:         150
        .size:           2
        .value_kind:     hidden_group_size_y
      - .offset:         152
        .size:           2
        .value_kind:     hidden_group_size_z
      - .offset:         154
        .size:           2
        .value_kind:     hidden_remainder_x
      - .offset:         156
        .size:           2
        .value_kind:     hidden_remainder_y
      - .offset:         158
        .size:           2
        .value_kind:     hidden_remainder_z
      - .offset:         176
        .size:           8
        .value_kind:     hidden_global_offset_x
      - .offset:         184
        .size:           8
        .value_kind:     hidden_global_offset_y
      - .offset:         192
        .size:           8
        .value_kind:     hidden_global_offset_z
      - .offset:         200
        .size:           2
        .value_kind:     hidden_grid_dims
    .group_segment_fixed_size: 16384
    .kernarg_segment_align: 8
    .kernarg_segment_size: 392
    .language:       OpenCL C
    .language_version:
      - 2
      - 0
    .max_flat_workgroup_size: 1024
    .name:           _ZL30rocblas_trmm_outofplace_kernelIdLi32ELi2ELb0ELb0ELb1ELb0EdKddEv17rocblas_diagonal_iiT6_lPT7_lllS4_lllPT8_llli
    .private_segment_fixed_size: 0
    .sgpr_count:     53
    .sgpr_spill_count: 0
    .symbol:         _ZL30rocblas_trmm_outofplace_kernelIdLi32ELi2ELb0ELb0ELb1ELb0EdKddEv17rocblas_diagonal_iiT6_lPT7_lllS4_lllPT8_llli.kd
    .uniform_work_group_size: 1
    .uses_dynamic_stack: false
    .vgpr_count:     82
    .vgpr_spill_count: 0
    .wavefront_size: 32
  - .args:
      - .offset:         0
        .size:           4
        .value_kind:     by_value
      - .offset:         4
        .size:           4
        .value_kind:     by_value
      - .offset:         8
        .size:           4
        .value_kind:     by_value
      - .address_space:  global
        .offset:         16
        .size:           8
        .value_kind:     global_buffer
      - .offset:         24
        .size:           8
        .value_kind:     by_value
      - .address_space:  global
        .offset:         32
        .size:           8
        .value_kind:     global_buffer
      - .offset:         40
        .size:           8
        .value_kind:     by_value
      - .offset:         48
        .size:           8
        .value_kind:     by_value
      - .offset:         56
        .size:           8
        .value_kind:     by_value
      - .address_space:  global
        .offset:         64
        .size:           8
        .value_kind:     global_buffer
      - .offset:         72
        .size:           8
        .value_kind:     by_value
      - .offset:         80
        .size:           8
        .value_kind:     by_value
      - .offset:         88
        .size:           8
        .value_kind:     by_value
      - .address_space:  global
        .offset:         96
        .size:           8
        .value_kind:     global_buffer
      - .offset:         104
        .size:           8
        .value_kind:     by_value
      - .offset:         112
        .size:           8
        .value_kind:     by_value
      - .offset:         120
        .size:           8
        .value_kind:     by_value
      - .offset:         128
        .size:           4
        .value_kind:     by_value
      - .offset:         136
        .size:           4
        .value_kind:     hidden_block_count_x
      - .offset:         140
        .size:           4
        .value_kind:     hidden_block_count_y
      - .offset:         144
        .size:           4
        .value_kind:     hidden_block_count_z
      - .offset:         148
        .size:           2
        .value_kind:     hidden_group_size_x
      - .offset:         150
        .size:           2
        .value_kind:     hidden_group_size_y
      - .offset:         152
        .size:           2
        .value_kind:     hidden_group_size_z
      - .offset:         154
        .size:           2
        .value_kind:     hidden_remainder_x
      - .offset:         156
        .size:           2
        .value_kind:     hidden_remainder_y
      - .offset:         158
        .size:           2
        .value_kind:     hidden_remainder_z
      - .offset:         176
        .size:           8
        .value_kind:     hidden_global_offset_x
      - .offset:         184
        .size:           8
        .value_kind:     hidden_global_offset_y
      - .offset:         192
        .size:           8
        .value_kind:     hidden_global_offset_z
      - .offset:         200
        .size:           2
        .value_kind:     hidden_grid_dims
    .group_segment_fixed_size: 16384
    .kernarg_segment_align: 8
    .kernarg_segment_size: 392
    .language:       OpenCL C
    .language_version:
      - 2
      - 0
    .max_flat_workgroup_size: 1024
    .name:           _ZL30rocblas_trmm_outofplace_kernelIdLi32ELi2ELb0ELb1ELb1ELb0EPKdS0_dEv17rocblas_diagonal_iiT6_lPT7_lllS5_lllPT8_llli
    .private_segment_fixed_size: 0
    .sgpr_count:     67
    .sgpr_spill_count: 0
    .symbol:         _ZL30rocblas_trmm_outofplace_kernelIdLi32ELi2ELb0ELb1ELb1ELb0EPKdS0_dEv17rocblas_diagonal_iiT6_lPT7_lllS5_lllPT8_llli.kd
    .uniform_work_group_size: 1
    .uses_dynamic_stack: false
    .vgpr_count:     80
    .vgpr_spill_count: 0
    .wavefront_size: 32
  - .args:
      - .offset:         0
        .size:           4
        .value_kind:     by_value
      - .offset:         4
        .size:           4
        .value_kind:     by_value
      - .offset:         8
        .size:           4
        .value_kind:     by_value
      - .offset:         16
        .size:           8
        .value_kind:     by_value
      - .offset:         24
        .size:           8
        .value_kind:     by_value
      - .address_space:  global
        .offset:         32
        .size:           8
        .value_kind:     global_buffer
      - .offset:         40
        .size:           8
        .value_kind:     by_value
      - .offset:         48
        .size:           8
        .value_kind:     by_value
      - .offset:         56
        .size:           8
        .value_kind:     by_value
      - .address_space:  global
        .offset:         64
        .size:           8
        .value_kind:     global_buffer
      - .offset:         72
        .size:           8
        .value_kind:     by_value
      - .offset:         80
        .size:           8
        .value_kind:     by_value
      - .offset:         88
        .size:           8
        .value_kind:     by_value
      - .address_space:  global
        .offset:         96
        .size:           8
        .value_kind:     global_buffer
      - .offset:         104
        .size:           8
        .value_kind:     by_value
      - .offset:         112
        .size:           8
        .value_kind:     by_value
      - .offset:         120
        .size:           8
        .value_kind:     by_value
      - .offset:         128
        .size:           4
        .value_kind:     by_value
      - .offset:         136
        .size:           4
        .value_kind:     hidden_block_count_x
      - .offset:         140
        .size:           4
        .value_kind:     hidden_block_count_y
      - .offset:         144
        .size:           4
        .value_kind:     hidden_block_count_z
      - .offset:         148
        .size:           2
        .value_kind:     hidden_group_size_x
      - .offset:         150
        .size:           2
        .value_kind:     hidden_group_size_y
      - .offset:         152
        .size:           2
        .value_kind:     hidden_group_size_z
      - .offset:         154
        .size:           2
        .value_kind:     hidden_remainder_x
      - .offset:         156
        .size:           2
        .value_kind:     hidden_remainder_y
      - .offset:         158
        .size:           2
        .value_kind:     hidden_remainder_z
      - .offset:         176
        .size:           8
        .value_kind:     hidden_global_offset_x
      - .offset:         184
        .size:           8
        .value_kind:     hidden_global_offset_y
      - .offset:         192
        .size:           8
        .value_kind:     hidden_global_offset_z
      - .offset:         200
        .size:           2
        .value_kind:     hidden_grid_dims
    .group_segment_fixed_size: 16384
    .kernarg_segment_align: 8
    .kernarg_segment_size: 392
    .language:       OpenCL C
    .language_version:
      - 2
      - 0
    .max_flat_workgroup_size: 1024
    .name:           _ZL30rocblas_trmm_outofplace_kernelIdLi32ELi2ELb0ELb1ELb1ELb0EdKddEv17rocblas_diagonal_iiT6_lPT7_lllS4_lllPT8_llli
    .private_segment_fixed_size: 0
    .sgpr_count:     65
    .sgpr_spill_count: 0
    .symbol:         _ZL30rocblas_trmm_outofplace_kernelIdLi32ELi2ELb0ELb1ELb1ELb0EdKddEv17rocblas_diagonal_iiT6_lPT7_lllS4_lllPT8_llli.kd
    .uniform_work_group_size: 1
    .uses_dynamic_stack: false
    .vgpr_count:     78
    .vgpr_spill_count: 0
    .wavefront_size: 32
  - .args:
      - .offset:         0
        .size:           4
        .value_kind:     by_value
      - .offset:         4
        .size:           4
        .value_kind:     by_value
      - .offset:         8
        .size:           4
        .value_kind:     by_value
      - .address_space:  global
        .offset:         16
        .size:           8
        .value_kind:     global_buffer
      - .offset:         24
        .size:           8
        .value_kind:     by_value
      - .address_space:  global
        .offset:         32
        .size:           8
        .value_kind:     global_buffer
      - .offset:         40
        .size:           8
        .value_kind:     by_value
      - .offset:         48
        .size:           8
        .value_kind:     by_value
      - .offset:         56
        .size:           8
        .value_kind:     by_value
      - .address_space:  global
        .offset:         64
        .size:           8
        .value_kind:     global_buffer
      - .offset:         72
        .size:           8
        .value_kind:     by_value
      - .offset:         80
        .size:           8
        .value_kind:     by_value
      - .offset:         88
        .size:           8
        .value_kind:     by_value
      - .address_space:  global
        .offset:         96
        .size:           8
        .value_kind:     global_buffer
      - .offset:         104
        .size:           8
        .value_kind:     by_value
      - .offset:         112
        .size:           8
        .value_kind:     by_value
      - .offset:         120
        .size:           8
        .value_kind:     by_value
      - .offset:         128
        .size:           4
        .value_kind:     by_value
      - .offset:         136
        .size:           4
        .value_kind:     hidden_block_count_x
      - .offset:         140
        .size:           4
        .value_kind:     hidden_block_count_y
      - .offset:         144
        .size:           4
        .value_kind:     hidden_block_count_z
      - .offset:         148
        .size:           2
        .value_kind:     hidden_group_size_x
      - .offset:         150
        .size:           2
        .value_kind:     hidden_group_size_y
      - .offset:         152
        .size:           2
        .value_kind:     hidden_group_size_z
      - .offset:         154
        .size:           2
        .value_kind:     hidden_remainder_x
      - .offset:         156
        .size:           2
        .value_kind:     hidden_remainder_y
      - .offset:         158
        .size:           2
        .value_kind:     hidden_remainder_z
      - .offset:         176
        .size:           8
        .value_kind:     hidden_global_offset_x
      - .offset:         184
        .size:           8
        .value_kind:     hidden_global_offset_y
      - .offset:         192
        .size:           8
        .value_kind:     hidden_global_offset_z
      - .offset:         200
        .size:           2
        .value_kind:     hidden_grid_dims
    .group_segment_fixed_size: 16384
    .kernarg_segment_align: 8
    .kernarg_segment_size: 392
    .language:       OpenCL C
    .language_version:
      - 2
      - 0
    .max_flat_workgroup_size: 1024
    .name:           _ZL30rocblas_trmm_outofplace_kernelIdLi32ELi2ELb0ELb0ELb1ELb1EPKdS0_dEv17rocblas_diagonal_iiT6_lPT7_lllS5_lllPT8_llli
    .private_segment_fixed_size: 0
    .sgpr_count:     55
    .sgpr_spill_count: 0
    .symbol:         _ZL30rocblas_trmm_outofplace_kernelIdLi32ELi2ELb0ELb0ELb1ELb1EPKdS0_dEv17rocblas_diagonal_iiT6_lPT7_lllS5_lllPT8_llli.kd
    .uniform_work_group_size: 1
    .uses_dynamic_stack: false
    .vgpr_count:     90
    .vgpr_spill_count: 0
    .wavefront_size: 32
  - .args:
      - .offset:         0
        .size:           4
        .value_kind:     by_value
      - .offset:         4
        .size:           4
        .value_kind:     by_value
      - .offset:         8
        .size:           4
        .value_kind:     by_value
      - .offset:         16
        .size:           8
        .value_kind:     by_value
      - .offset:         24
        .size:           8
        .value_kind:     by_value
      - .address_space:  global
        .offset:         32
        .size:           8
        .value_kind:     global_buffer
      - .offset:         40
        .size:           8
        .value_kind:     by_value
      - .offset:         48
        .size:           8
        .value_kind:     by_value
      - .offset:         56
        .size:           8
        .value_kind:     by_value
      - .address_space:  global
        .offset:         64
        .size:           8
        .value_kind:     global_buffer
      - .offset:         72
        .size:           8
        .value_kind:     by_value
      - .offset:         80
        .size:           8
        .value_kind:     by_value
      - .offset:         88
        .size:           8
        .value_kind:     by_value
      - .address_space:  global
        .offset:         96
        .size:           8
        .value_kind:     global_buffer
      - .offset:         104
        .size:           8
        .value_kind:     by_value
      - .offset:         112
        .size:           8
        .value_kind:     by_value
      - .offset:         120
        .size:           8
        .value_kind:     by_value
      - .offset:         128
        .size:           4
        .value_kind:     by_value
      - .offset:         136
        .size:           4
        .value_kind:     hidden_block_count_x
      - .offset:         140
        .size:           4
        .value_kind:     hidden_block_count_y
      - .offset:         144
        .size:           4
        .value_kind:     hidden_block_count_z
      - .offset:         148
        .size:           2
        .value_kind:     hidden_group_size_x
      - .offset:         150
        .size:           2
        .value_kind:     hidden_group_size_y
      - .offset:         152
        .size:           2
        .value_kind:     hidden_group_size_z
      - .offset:         154
        .size:           2
        .value_kind:     hidden_remainder_x
      - .offset:         156
        .size:           2
        .value_kind:     hidden_remainder_y
      - .offset:         158
        .size:           2
        .value_kind:     hidden_remainder_z
      - .offset:         176
        .size:           8
        .value_kind:     hidden_global_offset_x
      - .offset:         184
        .size:           8
        .value_kind:     hidden_global_offset_y
      - .offset:         192
        .size:           8
        .value_kind:     hidden_global_offset_z
      - .offset:         200
        .size:           2
        .value_kind:     hidden_grid_dims
    .group_segment_fixed_size: 16384
    .kernarg_segment_align: 8
    .kernarg_segment_size: 392
    .language:       OpenCL C
    .language_version:
      - 2
      - 0
    .max_flat_workgroup_size: 1024
    .name:           _ZL30rocblas_trmm_outofplace_kernelIdLi32ELi2ELb0ELb0ELb1ELb1EdKddEv17rocblas_diagonal_iiT6_lPT7_lllS4_lllPT8_llli
    .private_segment_fixed_size: 0
    .sgpr_count:     53
    .sgpr_spill_count: 0
    .symbol:         _ZL30rocblas_trmm_outofplace_kernelIdLi32ELi2ELb0ELb0ELb1ELb1EdKddEv17rocblas_diagonal_iiT6_lPT7_lllS4_lllPT8_llli.kd
    .uniform_work_group_size: 1
    .uses_dynamic_stack: false
    .vgpr_count:     82
    .vgpr_spill_count: 0
    .wavefront_size: 32
  - .args:
      - .offset:         0
        .size:           4
        .value_kind:     by_value
      - .offset:         4
        .size:           4
        .value_kind:     by_value
      - .offset:         8
        .size:           4
        .value_kind:     by_value
      - .address_space:  global
        .offset:         16
        .size:           8
        .value_kind:     global_buffer
      - .offset:         24
        .size:           8
        .value_kind:     by_value
      - .address_space:  global
        .offset:         32
        .size:           8
        .value_kind:     global_buffer
      - .offset:         40
        .size:           8
        .value_kind:     by_value
      - .offset:         48
        .size:           8
        .value_kind:     by_value
      - .offset:         56
        .size:           8
        .value_kind:     by_value
      - .address_space:  global
        .offset:         64
        .size:           8
        .value_kind:     global_buffer
      - .offset:         72
        .size:           8
        .value_kind:     by_value
      - .offset:         80
        .size:           8
        .value_kind:     by_value
      - .offset:         88
        .size:           8
        .value_kind:     by_value
      - .address_space:  global
        .offset:         96
        .size:           8
        .value_kind:     global_buffer
      - .offset:         104
        .size:           8
        .value_kind:     by_value
      - .offset:         112
        .size:           8
        .value_kind:     by_value
      - .offset:         120
        .size:           8
        .value_kind:     by_value
      - .offset:         128
        .size:           4
        .value_kind:     by_value
      - .offset:         136
        .size:           4
        .value_kind:     hidden_block_count_x
      - .offset:         140
        .size:           4
        .value_kind:     hidden_block_count_y
      - .offset:         144
        .size:           4
        .value_kind:     hidden_block_count_z
      - .offset:         148
        .size:           2
        .value_kind:     hidden_group_size_x
      - .offset:         150
        .size:           2
        .value_kind:     hidden_group_size_y
      - .offset:         152
        .size:           2
        .value_kind:     hidden_group_size_z
      - .offset:         154
        .size:           2
        .value_kind:     hidden_remainder_x
      - .offset:         156
        .size:           2
        .value_kind:     hidden_remainder_y
      - .offset:         158
        .size:           2
        .value_kind:     hidden_remainder_z
      - .offset:         176
        .size:           8
        .value_kind:     hidden_global_offset_x
      - .offset:         184
        .size:           8
        .value_kind:     hidden_global_offset_y
      - .offset:         192
        .size:           8
        .value_kind:     hidden_global_offset_z
      - .offset:         200
        .size:           2
        .value_kind:     hidden_grid_dims
    .group_segment_fixed_size: 16384
    .kernarg_segment_align: 8
    .kernarg_segment_size: 392
    .language:       OpenCL C
    .language_version:
      - 2
      - 0
    .max_flat_workgroup_size: 1024
    .name:           _ZL30rocblas_trmm_outofplace_kernelIdLi32ELi2ELb0ELb1ELb1ELb1EPKdS0_dEv17rocblas_diagonal_iiT6_lPT7_lllS5_lllPT8_llli
    .private_segment_fixed_size: 0
    .sgpr_count:     67
    .sgpr_spill_count: 0
    .symbol:         _ZL30rocblas_trmm_outofplace_kernelIdLi32ELi2ELb0ELb1ELb1ELb1EPKdS0_dEv17rocblas_diagonal_iiT6_lPT7_lllS5_lllPT8_llli.kd
    .uniform_work_group_size: 1
    .uses_dynamic_stack: false
    .vgpr_count:     80
    .vgpr_spill_count: 0
    .wavefront_size: 32
  - .args:
      - .offset:         0
        .size:           4
        .value_kind:     by_value
      - .offset:         4
        .size:           4
        .value_kind:     by_value
      - .offset:         8
        .size:           4
        .value_kind:     by_value
      - .offset:         16
        .size:           8
        .value_kind:     by_value
      - .offset:         24
        .size:           8
        .value_kind:     by_value
      - .address_space:  global
        .offset:         32
        .size:           8
        .value_kind:     global_buffer
      - .offset:         40
        .size:           8
        .value_kind:     by_value
      - .offset:         48
        .size:           8
        .value_kind:     by_value
      - .offset:         56
        .size:           8
        .value_kind:     by_value
      - .address_space:  global
        .offset:         64
        .size:           8
        .value_kind:     global_buffer
      - .offset:         72
        .size:           8
        .value_kind:     by_value
      - .offset:         80
        .size:           8
        .value_kind:     by_value
      - .offset:         88
        .size:           8
        .value_kind:     by_value
      - .address_space:  global
        .offset:         96
        .size:           8
        .value_kind:     global_buffer
      - .offset:         104
        .size:           8
        .value_kind:     by_value
      - .offset:         112
        .size:           8
        .value_kind:     by_value
      - .offset:         120
        .size:           8
        .value_kind:     by_value
      - .offset:         128
        .size:           4
        .value_kind:     by_value
      - .offset:         136
        .size:           4
        .value_kind:     hidden_block_count_x
      - .offset:         140
        .size:           4
        .value_kind:     hidden_block_count_y
      - .offset:         144
        .size:           4
        .value_kind:     hidden_block_count_z
      - .offset:         148
        .size:           2
        .value_kind:     hidden_group_size_x
      - .offset:         150
        .size:           2
        .value_kind:     hidden_group_size_y
      - .offset:         152
        .size:           2
        .value_kind:     hidden_group_size_z
      - .offset:         154
        .size:           2
        .value_kind:     hidden_remainder_x
      - .offset:         156
        .size:           2
        .value_kind:     hidden_remainder_y
      - .offset:         158
        .size:           2
        .value_kind:     hidden_remainder_z
      - .offset:         176
        .size:           8
        .value_kind:     hidden_global_offset_x
      - .offset:         184
        .size:           8
        .value_kind:     hidden_global_offset_y
      - .offset:         192
        .size:           8
        .value_kind:     hidden_global_offset_z
      - .offset:         200
        .size:           2
        .value_kind:     hidden_grid_dims
    .group_segment_fixed_size: 16384
    .kernarg_segment_align: 8
    .kernarg_segment_size: 392
    .language:       OpenCL C
    .language_version:
      - 2
      - 0
    .max_flat_workgroup_size: 1024
    .name:           _ZL30rocblas_trmm_outofplace_kernelIdLi32ELi2ELb0ELb1ELb1ELb1EdKddEv17rocblas_diagonal_iiT6_lPT7_lllS4_lllPT8_llli
    .private_segment_fixed_size: 0
    .sgpr_count:     65
    .sgpr_spill_count: 0
    .symbol:         _ZL30rocblas_trmm_outofplace_kernelIdLi32ELi2ELb0ELb1ELb1ELb1EdKddEv17rocblas_diagonal_iiT6_lPT7_lllS4_lllPT8_llli.kd
    .uniform_work_group_size: 1
    .uses_dynamic_stack: false
    .vgpr_count:     78
    .vgpr_spill_count: 0
    .wavefront_size: 32
  - .args:
      - .offset:         0
        .size:           4
        .value_kind:     by_value
      - .offset:         4
        .size:           4
        .value_kind:     by_value
      - .offset:         8
        .size:           4
        .value_kind:     by_value
      - .offset:         12
        .size:           4
        .value_kind:     by_value
      - .address_space:  global
        .offset:         16
        .size:           8
        .value_kind:     global_buffer
      - .offset:         24
        .size:           8
        .value_kind:     by_value
      - .address_space:  global
        .offset:         32
        .size:           8
        .value_kind:     global_buffer
      - .offset:         40
        .size:           8
        .value_kind:     by_value
      - .offset:         48
        .size:           8
        .value_kind:     by_value
      - .address_space:  global
        .offset:         56
        .size:           8
        .value_kind:     global_buffer
      - .offset:         64
        .size:           8
        .value_kind:     by_value
      - .offset:         72
        .size:           8
        .value_kind:     by_value
      - .address_space:  global
        .offset:         80
        .size:           8
        .value_kind:     global_buffer
      - .offset:         88
        .size:           8
        .value_kind:     by_value
      - .offset:         96
        .size:           8
        .value_kind:     by_value
      - .offset:         104
        .size:           4
        .value_kind:     by_value
    .group_segment_fixed_size: 16384
    .kernarg_segment_align: 8
    .kernarg_segment_size: 108
    .language:       OpenCL C
    .language_version:
      - 2
      - 0
    .max_flat_workgroup_size: 1024
    .name:           _ZL23rocblas_trmm_lNx_kernelILi32EdPKdS0_dEv13rocblas_fill_17rocblas_diagonal_iiT1_lPT2_llS6_llPT3_lli
    .private_segment_fixed_size: 0
    .sgpr_count:     38
    .sgpr_spill_count: 0
    .symbol:         _ZL23rocblas_trmm_lNx_kernelILi32EdPKdS0_dEv13rocblas_fill_17rocblas_diagonal_iiT1_lPT2_llS6_llPT3_lli.kd
    .uniform_work_group_size: 1
    .uses_dynamic_stack: false
    .vgpr_count:     34
    .vgpr_spill_count: 0
    .wavefront_size: 32
  - .args:
      - .offset:         0
        .size:           4
        .value_kind:     by_value
      - .offset:         4
        .size:           4
        .value_kind:     by_value
      - .offset:         8
        .size:           4
        .value_kind:     by_value
      - .offset:         12
        .size:           4
        .value_kind:     by_value
      - .offset:         16
        .size:           8
        .value_kind:     by_value
      - .offset:         24
        .size:           8
        .value_kind:     by_value
      - .address_space:  global
        .offset:         32
        .size:           8
        .value_kind:     global_buffer
      - .offset:         40
        .size:           8
        .value_kind:     by_value
      - .offset:         48
        .size:           8
        .value_kind:     by_value
      - .address_space:  global
        .offset:         56
        .size:           8
        .value_kind:     global_buffer
      - .offset:         64
        .size:           8
        .value_kind:     by_value
      - .offset:         72
        .size:           8
        .value_kind:     by_value
      - .address_space:  global
        .offset:         80
        .size:           8
        .value_kind:     global_buffer
      - .offset:         88
        .size:           8
        .value_kind:     by_value
      - .offset:         96
        .size:           8
        .value_kind:     by_value
      - .offset:         104
        .size:           4
        .value_kind:     by_value
    .group_segment_fixed_size: 16384
    .kernarg_segment_align: 8
    .kernarg_segment_size: 108
    .language:       OpenCL C
    .language_version:
      - 2
      - 0
    .max_flat_workgroup_size: 1024
    .name:           _ZL23rocblas_trmm_lNx_kernelILi32EddKddEv13rocblas_fill_17rocblas_diagonal_iiT1_lPT2_llS5_llPT3_lli
    .private_segment_fixed_size: 0
    .sgpr_count:     36
    .sgpr_spill_count: 0
    .symbol:         _ZL23rocblas_trmm_lNx_kernelILi32EddKddEv13rocblas_fill_17rocblas_diagonal_iiT1_lPT2_llS5_llPT3_lli.kd
    .uniform_work_group_size: 1
    .uses_dynamic_stack: false
    .vgpr_count:     32
    .vgpr_spill_count: 0
    .wavefront_size: 32
  - .args:
      - .offset:         0
        .size:           4
        .value_kind:     by_value
      - .offset:         4
        .size:           4
        .value_kind:     by_value
      - .offset:         8
        .size:           4
        .value_kind:     by_value
      - .offset:         12
        .size:           4
        .value_kind:     by_value
      - .address_space:  global
        .offset:         16
        .size:           8
        .value_kind:     global_buffer
      - .offset:         24
        .size:           8
        .value_kind:     by_value
      - .address_space:  global
        .offset:         32
        .size:           8
        .value_kind:     global_buffer
      - .offset:         40
        .size:           8
        .value_kind:     by_value
      - .offset:         48
        .size:           8
        .value_kind:     by_value
      - .address_space:  global
        .offset:         56
        .size:           8
        .value_kind:     global_buffer
      - .offset:         64
        .size:           8
        .value_kind:     by_value
      - .offset:         72
        .size:           8
        .value_kind:     by_value
      - .address_space:  global
        .offset:         80
        .size:           8
        .value_kind:     global_buffer
      - .offset:         88
        .size:           8
        .value_kind:     by_value
      - .offset:         96
        .size:           8
        .value_kind:     by_value
      - .offset:         104
        .size:           4
        .value_kind:     by_value
    .group_segment_fixed_size: 16384
    .kernarg_segment_align: 8
    .kernarg_segment_size: 108
    .language:       OpenCL C
    .language_version:
      - 2
      - 0
    .max_flat_workgroup_size: 1024
    .name:           _ZL23rocblas_trmm_lTx_kernelILi32ELb0EdPKdS0_dEv13rocblas_fill_17rocblas_diagonal_iiT2_lPT3_llS6_llPT4_lli
    .private_segment_fixed_size: 0
    .sgpr_count:     38
    .sgpr_spill_count: 0
    .symbol:         _ZL23rocblas_trmm_lTx_kernelILi32ELb0EdPKdS0_dEv13rocblas_fill_17rocblas_diagonal_iiT2_lPT3_llS6_llPT4_lli.kd
    .uniform_work_group_size: 1
    .uses_dynamic_stack: false
    .vgpr_count:     36
    .vgpr_spill_count: 0
    .wavefront_size: 32
  - .args:
      - .offset:         0
        .size:           4
        .value_kind:     by_value
      - .offset:         4
        .size:           4
        .value_kind:     by_value
      - .offset:         8
        .size:           4
        .value_kind:     by_value
      - .offset:         12
        .size:           4
        .value_kind:     by_value
      - .offset:         16
        .size:           8
        .value_kind:     by_value
      - .offset:         24
        .size:           8
        .value_kind:     by_value
      - .address_space:  global
        .offset:         32
        .size:           8
        .value_kind:     global_buffer
      - .offset:         40
        .size:           8
        .value_kind:     by_value
      - .offset:         48
        .size:           8
        .value_kind:     by_value
      - .address_space:  global
        .offset:         56
        .size:           8
        .value_kind:     global_buffer
      - .offset:         64
        .size:           8
        .value_kind:     by_value
      - .offset:         72
        .size:           8
        .value_kind:     by_value
      - .address_space:  global
        .offset:         80
        .size:           8
        .value_kind:     global_buffer
      - .offset:         88
        .size:           8
        .value_kind:     by_value
      - .offset:         96
        .size:           8
        .value_kind:     by_value
      - .offset:         104
        .size:           4
        .value_kind:     by_value
    .group_segment_fixed_size: 16384
    .kernarg_segment_align: 8
    .kernarg_segment_size: 108
    .language:       OpenCL C
    .language_version:
      - 2
      - 0
    .max_flat_workgroup_size: 1024
    .name:           _ZL23rocblas_trmm_lTx_kernelILi32ELb0EddKddEv13rocblas_fill_17rocblas_diagonal_iiT2_lPT3_llS5_llPT4_lli
    .private_segment_fixed_size: 0
    .sgpr_count:     36
    .sgpr_spill_count: 0
    .symbol:         _ZL23rocblas_trmm_lTx_kernelILi32ELb0EddKddEv13rocblas_fill_17rocblas_diagonal_iiT2_lPT3_llS5_llPT4_lli.kd
    .uniform_work_group_size: 1
    .uses_dynamic_stack: false
    .vgpr_count:     32
    .vgpr_spill_count: 0
    .wavefront_size: 32
  - .args:
      - .offset:         0
        .size:           4
        .value_kind:     by_value
      - .offset:         4
        .size:           4
        .value_kind:     by_value
      - .offset:         8
        .size:           4
        .value_kind:     by_value
      - .offset:         12
        .size:           4
        .value_kind:     by_value
      - .address_space:  global
        .offset:         16
        .size:           8
        .value_kind:     global_buffer
      - .offset:         24
        .size:           8
        .value_kind:     by_value
      - .address_space:  global
        .offset:         32
        .size:           8
        .value_kind:     global_buffer
      - .offset:         40
        .size:           8
        .value_kind:     by_value
      - .offset:         48
        .size:           8
        .value_kind:     by_value
      - .address_space:  global
        .offset:         56
        .size:           8
        .value_kind:     global_buffer
      - .offset:         64
        .size:           8
        .value_kind:     by_value
      - .offset:         72
        .size:           8
        .value_kind:     by_value
      - .address_space:  global
        .offset:         80
        .size:           8
        .value_kind:     global_buffer
      - .offset:         88
        .size:           8
        .value_kind:     by_value
      - .offset:         96
        .size:           8
        .value_kind:     by_value
      - .offset:         104
        .size:           4
        .value_kind:     by_value
    .group_segment_fixed_size: 16384
    .kernarg_segment_align: 8
    .kernarg_segment_size: 108
    .language:       OpenCL C
    .language_version:
      - 2
      - 0
    .max_flat_workgroup_size: 1024
    .name:           _ZL23rocblas_trmm_lTx_kernelILi32ELb1EdPKdS0_dEv13rocblas_fill_17rocblas_diagonal_iiT2_lPT3_llS6_llPT4_lli
    .private_segment_fixed_size: 0
    .sgpr_count:     38
    .sgpr_spill_count: 0
    .symbol:         _ZL23rocblas_trmm_lTx_kernelILi32ELb1EdPKdS0_dEv13rocblas_fill_17rocblas_diagonal_iiT2_lPT3_llS6_llPT4_lli.kd
    .uniform_work_group_size: 1
    .uses_dynamic_stack: false
    .vgpr_count:     36
    .vgpr_spill_count: 0
    .wavefront_size: 32
  - .args:
      - .offset:         0
        .size:           4
        .value_kind:     by_value
      - .offset:         4
        .size:           4
        .value_kind:     by_value
      - .offset:         8
        .size:           4
        .value_kind:     by_value
      - .offset:         12
        .size:           4
        .value_kind:     by_value
      - .offset:         16
        .size:           8
        .value_kind:     by_value
      - .offset:         24
        .size:           8
        .value_kind:     by_value
      - .address_space:  global
        .offset:         32
        .size:           8
        .value_kind:     global_buffer
      - .offset:         40
        .size:           8
        .value_kind:     by_value
      - .offset:         48
        .size:           8
        .value_kind:     by_value
      - .address_space:  global
        .offset:         56
        .size:           8
        .value_kind:     global_buffer
      - .offset:         64
        .size:           8
        .value_kind:     by_value
      - .offset:         72
        .size:           8
        .value_kind:     by_value
      - .address_space:  global
        .offset:         80
        .size:           8
        .value_kind:     global_buffer
      - .offset:         88
        .size:           8
        .value_kind:     by_value
      - .offset:         96
        .size:           8
        .value_kind:     by_value
      - .offset:         104
        .size:           4
        .value_kind:     by_value
    .group_segment_fixed_size: 16384
    .kernarg_segment_align: 8
    .kernarg_segment_size: 108
    .language:       OpenCL C
    .language_version:
      - 2
      - 0
    .max_flat_workgroup_size: 1024
    .name:           _ZL23rocblas_trmm_lTx_kernelILi32ELb1EddKddEv13rocblas_fill_17rocblas_diagonal_iiT2_lPT3_llS5_llPT4_lli
    .private_segment_fixed_size: 0
    .sgpr_count:     36
    .sgpr_spill_count: 0
    .symbol:         _ZL23rocblas_trmm_lTx_kernelILi32ELb1EddKddEv13rocblas_fill_17rocblas_diagonal_iiT2_lPT3_llS5_llPT4_lli.kd
    .uniform_work_group_size: 1
    .uses_dynamic_stack: false
    .vgpr_count:     32
    .vgpr_spill_count: 0
    .wavefront_size: 32
  - .args:
      - .offset:         0
        .size:           4
        .value_kind:     by_value
      - .offset:         4
        .size:           4
        .value_kind:     by_value
      - .offset:         8
        .size:           4
        .value_kind:     by_value
      - .offset:         12
        .size:           4
        .value_kind:     by_value
      - .address_space:  global
        .offset:         16
        .size:           8
        .value_kind:     global_buffer
      - .offset:         24
        .size:           8
        .value_kind:     by_value
      - .address_space:  global
        .offset:         32
        .size:           8
        .value_kind:     global_buffer
      - .offset:         40
        .size:           8
        .value_kind:     by_value
      - .offset:         48
        .size:           8
        .value_kind:     by_value
      - .address_space:  global
        .offset:         56
        .size:           8
        .value_kind:     global_buffer
      - .offset:         64
        .size:           8
        .value_kind:     by_value
      - .offset:         72
        .size:           8
        .value_kind:     by_value
      - .address_space:  global
        .offset:         80
        .size:           8
        .value_kind:     global_buffer
      - .offset:         88
        .size:           8
        .value_kind:     by_value
      - .offset:         96
        .size:           8
        .value_kind:     by_value
      - .offset:         104
        .size:           4
        .value_kind:     by_value
    .group_segment_fixed_size: 16384
    .kernarg_segment_align: 8
    .kernarg_segment_size: 108
    .language:       OpenCL C
    .language_version:
      - 2
      - 0
    .max_flat_workgroup_size: 1024
    .name:           _ZL23rocblas_trmm_rNx_kernelILi32EdPKdS0_dEv13rocblas_fill_17rocblas_diagonal_iiT1_lPT2_llS6_llPT3_lli
    .private_segment_fixed_size: 0
    .sgpr_count:     38
    .sgpr_spill_count: 0
    .symbol:         _ZL23rocblas_trmm_rNx_kernelILi32EdPKdS0_dEv13rocblas_fill_17rocblas_diagonal_iiT1_lPT2_llS6_llPT3_lli.kd
    .uniform_work_group_size: 1
    .uses_dynamic_stack: false
    .vgpr_count:     34
    .vgpr_spill_count: 0
    .wavefront_size: 32
  - .args:
      - .offset:         0
        .size:           4
        .value_kind:     by_value
      - .offset:         4
        .size:           4
        .value_kind:     by_value
      - .offset:         8
        .size:           4
        .value_kind:     by_value
      - .offset:         12
        .size:           4
        .value_kind:     by_value
      - .offset:         16
        .size:           8
        .value_kind:     by_value
      - .offset:         24
        .size:           8
        .value_kind:     by_value
      - .address_space:  global
        .offset:         32
        .size:           8
        .value_kind:     global_buffer
      - .offset:         40
        .size:           8
        .value_kind:     by_value
      - .offset:         48
        .size:           8
        .value_kind:     by_value
      - .address_space:  global
        .offset:         56
        .size:           8
        .value_kind:     global_buffer
      - .offset:         64
        .size:           8
        .value_kind:     by_value
      - .offset:         72
        .size:           8
        .value_kind:     by_value
      - .address_space:  global
        .offset:         80
        .size:           8
        .value_kind:     global_buffer
      - .offset:         88
        .size:           8
        .value_kind:     by_value
      - .offset:         96
        .size:           8
        .value_kind:     by_value
      - .offset:         104
        .size:           4
        .value_kind:     by_value
    .group_segment_fixed_size: 16384
    .kernarg_segment_align: 8
    .kernarg_segment_size: 108
    .language:       OpenCL C
    .language_version:
      - 2
      - 0
    .max_flat_workgroup_size: 1024
    .name:           _ZL23rocblas_trmm_rNx_kernelILi32EddKddEv13rocblas_fill_17rocblas_diagonal_iiT1_lPT2_llS5_llPT3_lli
    .private_segment_fixed_size: 0
    .sgpr_count:     36
    .sgpr_spill_count: 0
    .symbol:         _ZL23rocblas_trmm_rNx_kernelILi32EddKddEv13rocblas_fill_17rocblas_diagonal_iiT1_lPT2_llS5_llPT3_lli.kd
    .uniform_work_group_size: 1
    .uses_dynamic_stack: false
    .vgpr_count:     32
    .vgpr_spill_count: 0
    .wavefront_size: 32
  - .args:
      - .offset:         0
        .size:           4
        .value_kind:     by_value
      - .offset:         4
        .size:           4
        .value_kind:     by_value
      - .offset:         8
        .size:           4
        .value_kind:     by_value
      - .offset:         12
        .size:           4
        .value_kind:     by_value
      - .address_space:  global
        .offset:         16
        .size:           8
        .value_kind:     global_buffer
      - .offset:         24
        .size:           8
        .value_kind:     by_value
      - .address_space:  global
        .offset:         32
        .size:           8
        .value_kind:     global_buffer
      - .offset:         40
        .size:           8
        .value_kind:     by_value
      - .offset:         48
        .size:           8
        .value_kind:     by_value
      - .address_space:  global
        .offset:         56
        .size:           8
        .value_kind:     global_buffer
      - .offset:         64
        .size:           8
        .value_kind:     by_value
      - .offset:         72
        .size:           8
        .value_kind:     by_value
      - .address_space:  global
        .offset:         80
        .size:           8
        .value_kind:     global_buffer
      - .offset:         88
        .size:           8
        .value_kind:     by_value
      - .offset:         96
        .size:           8
        .value_kind:     by_value
      - .offset:         104
        .size:           4
        .value_kind:     by_value
    .group_segment_fixed_size: 16384
    .kernarg_segment_align: 8
    .kernarg_segment_size: 108
    .language:       OpenCL C
    .language_version:
      - 2
      - 0
    .max_flat_workgroup_size: 1024
    .name:           _ZL23rocblas_trmm_rTx_kernelILi32ELb0EdPKdS0_dEv13rocblas_fill_17rocblas_diagonal_iiT2_lPT3_llS6_llPT4_lli
    .private_segment_fixed_size: 0
    .sgpr_count:     38
    .sgpr_spill_count: 0
    .symbol:         _ZL23rocblas_trmm_rTx_kernelILi32ELb0EdPKdS0_dEv13rocblas_fill_17rocblas_diagonal_iiT2_lPT3_llS6_llPT4_lli.kd
    .uniform_work_group_size: 1
    .uses_dynamic_stack: false
    .vgpr_count:     34
    .vgpr_spill_count: 0
    .wavefront_size: 32
  - .args:
      - .offset:         0
        .size:           4
        .value_kind:     by_value
      - .offset:         4
        .size:           4
        .value_kind:     by_value
      - .offset:         8
        .size:           4
        .value_kind:     by_value
      - .offset:         12
        .size:           4
        .value_kind:     by_value
      - .offset:         16
        .size:           8
        .value_kind:     by_value
      - .offset:         24
        .size:           8
        .value_kind:     by_value
      - .address_space:  global
        .offset:         32
        .size:           8
        .value_kind:     global_buffer
      - .offset:         40
        .size:           8
        .value_kind:     by_value
      - .offset:         48
        .size:           8
        .value_kind:     by_value
      - .address_space:  global
        .offset:         56
        .size:           8
        .value_kind:     global_buffer
      - .offset:         64
        .size:           8
        .value_kind:     by_value
      - .offset:         72
        .size:           8
        .value_kind:     by_value
      - .address_space:  global
        .offset:         80
        .size:           8
        .value_kind:     global_buffer
      - .offset:         88
        .size:           8
        .value_kind:     by_value
      - .offset:         96
        .size:           8
        .value_kind:     by_value
      - .offset:         104
        .size:           4
        .value_kind:     by_value
    .group_segment_fixed_size: 16384
    .kernarg_segment_align: 8
    .kernarg_segment_size: 108
    .language:       OpenCL C
    .language_version:
      - 2
      - 0
    .max_flat_workgroup_size: 1024
    .name:           _ZL23rocblas_trmm_rTx_kernelILi32ELb0EddKddEv13rocblas_fill_17rocblas_diagonal_iiT2_lPT3_llS5_llPT4_lli
    .private_segment_fixed_size: 0
    .sgpr_count:     36
    .sgpr_spill_count: 0
    .symbol:         _ZL23rocblas_trmm_rTx_kernelILi32ELb0EddKddEv13rocblas_fill_17rocblas_diagonal_iiT2_lPT3_llS5_llPT4_lli.kd
    .uniform_work_group_size: 1
    .uses_dynamic_stack: false
    .vgpr_count:     30
    .vgpr_spill_count: 0
    .wavefront_size: 32
  - .args:
      - .offset:         0
        .size:           4
        .value_kind:     by_value
      - .offset:         4
        .size:           4
        .value_kind:     by_value
      - .offset:         8
        .size:           4
        .value_kind:     by_value
      - .offset:         12
        .size:           4
        .value_kind:     by_value
      - .address_space:  global
        .offset:         16
        .size:           8
        .value_kind:     global_buffer
      - .offset:         24
        .size:           8
        .value_kind:     by_value
      - .address_space:  global
        .offset:         32
        .size:           8
        .value_kind:     global_buffer
      - .offset:         40
        .size:           8
        .value_kind:     by_value
      - .offset:         48
        .size:           8
        .value_kind:     by_value
      - .address_space:  global
        .offset:         56
        .size:           8
        .value_kind:     global_buffer
      - .offset:         64
        .size:           8
        .value_kind:     by_value
      - .offset:         72
        .size:           8
        .value_kind:     by_value
      - .address_space:  global
        .offset:         80
        .size:           8
        .value_kind:     global_buffer
      - .offset:         88
        .size:           8
        .value_kind:     by_value
      - .offset:         96
        .size:           8
        .value_kind:     by_value
      - .offset:         104
        .size:           4
        .value_kind:     by_value
    .group_segment_fixed_size: 16384
    .kernarg_segment_align: 8
    .kernarg_segment_size: 108
    .language:       OpenCL C
    .language_version:
      - 2
      - 0
    .max_flat_workgroup_size: 1024
    .name:           _ZL23rocblas_trmm_rTx_kernelILi32ELb1EdPKdS0_dEv13rocblas_fill_17rocblas_diagonal_iiT2_lPT3_llS6_llPT4_lli
    .private_segment_fixed_size: 0
    .sgpr_count:     38
    .sgpr_spill_count: 0
    .symbol:         _ZL23rocblas_trmm_rTx_kernelILi32ELb1EdPKdS0_dEv13rocblas_fill_17rocblas_diagonal_iiT2_lPT3_llS6_llPT4_lli.kd
    .uniform_work_group_size: 1
    .uses_dynamic_stack: false
    .vgpr_count:     34
    .vgpr_spill_count: 0
    .wavefront_size: 32
  - .args:
      - .offset:         0
        .size:           4
        .value_kind:     by_value
      - .offset:         4
        .size:           4
        .value_kind:     by_value
      - .offset:         8
        .size:           4
        .value_kind:     by_value
      - .offset:         12
        .size:           4
        .value_kind:     by_value
      - .offset:         16
        .size:           8
        .value_kind:     by_value
      - .offset:         24
        .size:           8
        .value_kind:     by_value
      - .address_space:  global
        .offset:         32
        .size:           8
        .value_kind:     global_buffer
      - .offset:         40
        .size:           8
        .value_kind:     by_value
      - .offset:         48
        .size:           8
        .value_kind:     by_value
      - .address_space:  global
        .offset:         56
        .size:           8
        .value_kind:     global_buffer
      - .offset:         64
        .size:           8
        .value_kind:     by_value
      - .offset:         72
        .size:           8
        .value_kind:     by_value
      - .address_space:  global
        .offset:         80
        .size:           8
        .value_kind:     global_buffer
      - .offset:         88
        .size:           8
        .value_kind:     by_value
      - .offset:         96
        .size:           8
        .value_kind:     by_value
      - .offset:         104
        .size:           4
        .value_kind:     by_value
    .group_segment_fixed_size: 16384
    .kernarg_segment_align: 8
    .kernarg_segment_size: 108
    .language:       OpenCL C
    .language_version:
      - 2
      - 0
    .max_flat_workgroup_size: 1024
    .name:           _ZL23rocblas_trmm_rTx_kernelILi32ELb1EddKddEv13rocblas_fill_17rocblas_diagonal_iiT2_lPT3_llS5_llPT4_lli
    .private_segment_fixed_size: 0
    .sgpr_count:     36
    .sgpr_spill_count: 0
    .symbol:         _ZL23rocblas_trmm_rTx_kernelILi32ELb1EddKddEv13rocblas_fill_17rocblas_diagonal_iiT2_lPT3_llS5_llPT4_lli.kd
    .uniform_work_group_size: 1
    .uses_dynamic_stack: false
    .vgpr_count:     30
    .vgpr_spill_count: 0
    .wavefront_size: 32
  - .args:
      - .offset:         0
        .size:           4
        .value_kind:     by_value
      - .offset:         4
        .size:           4
        .value_kind:     by_value
      - .offset:         8
        .size:           4
        .value_kind:     by_value
      - .address_space:  global
        .offset:         16
        .size:           8
        .value_kind:     global_buffer
      - .offset:         24
        .size:           8
        .value_kind:     by_value
      - .address_space:  global
        .offset:         32
        .size:           8
        .value_kind:     global_buffer
      - .offset:         40
        .size:           8
        .value_kind:     by_value
      - .offset:         48
        .size:           8
        .value_kind:     by_value
      - .offset:         56
        .size:           8
        .value_kind:     by_value
      - .address_space:  global
        .offset:         64
        .size:           8
        .value_kind:     global_buffer
      - .offset:         72
        .size:           8
        .value_kind:     by_value
      - .offset:         80
        .size:           8
        .value_kind:     by_value
      - .offset:         88
        .size:           8
        .value_kind:     by_value
      - .address_space:  global
        .offset:         96
        .size:           8
        .value_kind:     global_buffer
      - .offset:         104
        .size:           8
        .value_kind:     by_value
      - .offset:         112
        .size:           8
        .value_kind:     by_value
      - .offset:         120
        .size:           8
        .value_kind:     by_value
      - .offset:         128
        .size:           4
        .value_kind:     by_value
      - .offset:         136
        .size:           4
        .value_kind:     hidden_block_count_x
      - .offset:         140
        .size:           4
        .value_kind:     hidden_block_count_y
      - .offset:         144
        .size:           4
        .value_kind:     hidden_block_count_z
      - .offset:         148
        .size:           2
        .value_kind:     hidden_group_size_x
      - .offset:         150
        .size:           2
        .value_kind:     hidden_group_size_y
      - .offset:         152
        .size:           2
        .value_kind:     hidden_group_size_z
      - .offset:         154
        .size:           2
        .value_kind:     hidden_remainder_x
      - .offset:         156
        .size:           2
        .value_kind:     hidden_remainder_y
      - .offset:         158
        .size:           2
        .value_kind:     hidden_remainder_z
      - .offset:         176
        .size:           8
        .value_kind:     hidden_global_offset_x
      - .offset:         184
        .size:           8
        .value_kind:     hidden_global_offset_y
      - .offset:         192
        .size:           8
        .value_kind:     hidden_global_offset_z
      - .offset:         200
        .size:           2
        .value_kind:     hidden_grid_dims
    .group_segment_fixed_size: 16384
    .kernarg_segment_align: 8
    .kernarg_segment_size: 392
    .language:       OpenCL C
    .language_version:
      - 2
      - 0
    .max_flat_workgroup_size: 1024
    .name:           _ZL30rocblas_trmm_outofplace_kernelI19rocblas_complex_numIfELi32ELi2ELb1ELb0ELb0ELb0EPKS1_S2_S1_Ev17rocblas_diagonal_iiT6_lPT7_lllS7_lllPT8_llli
    .private_segment_fixed_size: 0
    .sgpr_count:     64
    .sgpr_spill_count: 0
    .symbol:         _ZL30rocblas_trmm_outofplace_kernelI19rocblas_complex_numIfELi32ELi2ELb1ELb0ELb0ELb0EPKS1_S2_S1_Ev17rocblas_diagonal_iiT6_lPT7_lllS7_lllPT8_llli.kd
    .uniform_work_group_size: 1
    .uses_dynamic_stack: false
    .vgpr_count:     87
    .vgpr_spill_count: 0
    .wavefront_size: 32
  - .args:
      - .offset:         0
        .size:           4
        .value_kind:     by_value
      - .offset:         4
        .size:           4
        .value_kind:     by_value
      - .offset:         8
        .size:           4
        .value_kind:     by_value
      - .offset:         12
        .size:           8
        .value_kind:     by_value
      - .offset:         24
        .size:           8
        .value_kind:     by_value
      - .address_space:  global
        .offset:         32
        .size:           8
        .value_kind:     global_buffer
      - .offset:         40
        .size:           8
        .value_kind:     by_value
      - .offset:         48
        .size:           8
        .value_kind:     by_value
      - .offset:         56
        .size:           8
        .value_kind:     by_value
      - .address_space:  global
        .offset:         64
        .size:           8
        .value_kind:     global_buffer
      - .offset:         72
        .size:           8
        .value_kind:     by_value
      - .offset:         80
        .size:           8
        .value_kind:     by_value
      - .offset:         88
        .size:           8
        .value_kind:     by_value
      - .address_space:  global
        .offset:         96
        .size:           8
        .value_kind:     global_buffer
      - .offset:         104
        .size:           8
        .value_kind:     by_value
      - .offset:         112
        .size:           8
        .value_kind:     by_value
      - .offset:         120
        .size:           8
        .value_kind:     by_value
      - .offset:         128
        .size:           4
        .value_kind:     by_value
      - .offset:         136
        .size:           4
        .value_kind:     hidden_block_count_x
      - .offset:         140
        .size:           4
        .value_kind:     hidden_block_count_y
      - .offset:         144
        .size:           4
        .value_kind:     hidden_block_count_z
      - .offset:         148
        .size:           2
        .value_kind:     hidden_group_size_x
      - .offset:         150
        .size:           2
        .value_kind:     hidden_group_size_y
      - .offset:         152
        .size:           2
        .value_kind:     hidden_group_size_z
      - .offset:         154
        .size:           2
        .value_kind:     hidden_remainder_x
      - .offset:         156
        .size:           2
        .value_kind:     hidden_remainder_y
      - .offset:         158
        .size:           2
        .value_kind:     hidden_remainder_z
      - .offset:         176
        .size:           8
        .value_kind:     hidden_global_offset_x
      - .offset:         184
        .size:           8
        .value_kind:     hidden_global_offset_y
      - .offset:         192
        .size:           8
        .value_kind:     hidden_global_offset_z
      - .offset:         200
        .size:           2
        .value_kind:     hidden_grid_dims
    .group_segment_fixed_size: 16384
    .kernarg_segment_align: 8
    .kernarg_segment_size: 392
    .language:       OpenCL C
    .language_version:
      - 2
      - 0
    .max_flat_workgroup_size: 1024
    .name:           _ZL30rocblas_trmm_outofplace_kernelI19rocblas_complex_numIfELi32ELi2ELb1ELb0ELb0ELb0ES1_KS1_S1_Ev17rocblas_diagonal_iiT6_lPT7_lllS6_lllPT8_llli
    .private_segment_fixed_size: 0
    .sgpr_count:     64
    .sgpr_spill_count: 0
    .symbol:         _ZL30rocblas_trmm_outofplace_kernelI19rocblas_complex_numIfELi32ELi2ELb1ELb0ELb0ELb0ES1_KS1_S1_Ev17rocblas_diagonal_iiT6_lPT7_lllS6_lllPT8_llli.kd
    .uniform_work_group_size: 1
    .uses_dynamic_stack: false
    .vgpr_count:     92
    .vgpr_spill_count: 0
    .wavefront_size: 32
  - .args:
      - .offset:         0
        .size:           4
        .value_kind:     by_value
      - .offset:         4
        .size:           4
        .value_kind:     by_value
      - .offset:         8
        .size:           4
        .value_kind:     by_value
      - .address_space:  global
        .offset:         16
        .size:           8
        .value_kind:     global_buffer
      - .offset:         24
        .size:           8
        .value_kind:     by_value
      - .address_space:  global
        .offset:         32
        .size:           8
        .value_kind:     global_buffer
      - .offset:         40
        .size:           8
        .value_kind:     by_value
      - .offset:         48
        .size:           8
        .value_kind:     by_value
      - .offset:         56
        .size:           8
        .value_kind:     by_value
      - .address_space:  global
        .offset:         64
        .size:           8
        .value_kind:     global_buffer
      - .offset:         72
        .size:           8
        .value_kind:     by_value
      - .offset:         80
        .size:           8
        .value_kind:     by_value
      - .offset:         88
        .size:           8
        .value_kind:     by_value
      - .address_space:  global
        .offset:         96
        .size:           8
        .value_kind:     global_buffer
      - .offset:         104
        .size:           8
        .value_kind:     by_value
      - .offset:         112
        .size:           8
        .value_kind:     by_value
      - .offset:         120
        .size:           8
        .value_kind:     by_value
      - .offset:         128
        .size:           4
        .value_kind:     by_value
      - .offset:         136
        .size:           4
        .value_kind:     hidden_block_count_x
      - .offset:         140
        .size:           4
        .value_kind:     hidden_block_count_y
      - .offset:         144
        .size:           4
        .value_kind:     hidden_block_count_z
      - .offset:         148
        .size:           2
        .value_kind:     hidden_group_size_x
      - .offset:         150
        .size:           2
        .value_kind:     hidden_group_size_y
      - .offset:         152
        .size:           2
        .value_kind:     hidden_group_size_z
      - .offset:         154
        .size:           2
        .value_kind:     hidden_remainder_x
      - .offset:         156
        .size:           2
        .value_kind:     hidden_remainder_y
      - .offset:         158
        .size:           2
        .value_kind:     hidden_remainder_z
      - .offset:         176
        .size:           8
        .value_kind:     hidden_global_offset_x
      - .offset:         184
        .size:           8
        .value_kind:     hidden_global_offset_y
      - .offset:         192
        .size:           8
        .value_kind:     hidden_global_offset_z
      - .offset:         200
        .size:           2
        .value_kind:     hidden_grid_dims
    .group_segment_fixed_size: 16384
    .kernarg_segment_align: 8
    .kernarg_segment_size: 392
    .language:       OpenCL C
    .language_version:
      - 2
      - 0
    .max_flat_workgroup_size: 1024
    .name:           _ZL30rocblas_trmm_outofplace_kernelI19rocblas_complex_numIfELi32ELi2ELb1ELb1ELb0ELb0EPKS1_S2_S1_Ev17rocblas_diagonal_iiT6_lPT7_lllS7_lllPT8_llli
    .private_segment_fixed_size: 0
    .sgpr_count:     64
    .sgpr_spill_count: 0
    .symbol:         _ZL30rocblas_trmm_outofplace_kernelI19rocblas_complex_numIfELi32ELi2ELb1ELb1ELb0ELb0EPKS1_S2_S1_Ev17rocblas_diagonal_iiT6_lPT7_lllS7_lllPT8_llli.kd
    .uniform_work_group_size: 1
    .uses_dynamic_stack: false
    .vgpr_count:     87
    .vgpr_spill_count: 0
    .wavefront_size: 32
  - .args:
      - .offset:         0
        .size:           4
        .value_kind:     by_value
      - .offset:         4
        .size:           4
        .value_kind:     by_value
      - .offset:         8
        .size:           4
        .value_kind:     by_value
      - .offset:         12
        .size:           8
        .value_kind:     by_value
      - .offset:         24
        .size:           8
        .value_kind:     by_value
      - .address_space:  global
        .offset:         32
        .size:           8
        .value_kind:     global_buffer
      - .offset:         40
        .size:           8
        .value_kind:     by_value
      - .offset:         48
        .size:           8
        .value_kind:     by_value
      - .offset:         56
        .size:           8
        .value_kind:     by_value
      - .address_space:  global
        .offset:         64
        .size:           8
        .value_kind:     global_buffer
      - .offset:         72
        .size:           8
        .value_kind:     by_value
      - .offset:         80
        .size:           8
        .value_kind:     by_value
      - .offset:         88
        .size:           8
        .value_kind:     by_value
      - .address_space:  global
        .offset:         96
        .size:           8
        .value_kind:     global_buffer
      - .offset:         104
        .size:           8
        .value_kind:     by_value
      - .offset:         112
        .size:           8
        .value_kind:     by_value
      - .offset:         120
        .size:           8
        .value_kind:     by_value
      - .offset:         128
        .size:           4
        .value_kind:     by_value
      - .offset:         136
        .size:           4
        .value_kind:     hidden_block_count_x
      - .offset:         140
        .size:           4
        .value_kind:     hidden_block_count_y
      - .offset:         144
        .size:           4
        .value_kind:     hidden_block_count_z
      - .offset:         148
        .size:           2
        .value_kind:     hidden_group_size_x
      - .offset:         150
        .size:           2
        .value_kind:     hidden_group_size_y
      - .offset:         152
        .size:           2
        .value_kind:     hidden_group_size_z
      - .offset:         154
        .size:           2
        .value_kind:     hidden_remainder_x
      - .offset:         156
        .size:           2
        .value_kind:     hidden_remainder_y
      - .offset:         158
        .size:           2
        .value_kind:     hidden_remainder_z
      - .offset:         176
        .size:           8
        .value_kind:     hidden_global_offset_x
      - .offset:         184
        .size:           8
        .value_kind:     hidden_global_offset_y
      - .offset:         192
        .size:           8
        .value_kind:     hidden_global_offset_z
      - .offset:         200
        .size:           2
        .value_kind:     hidden_grid_dims
    .group_segment_fixed_size: 16384
    .kernarg_segment_align: 8
    .kernarg_segment_size: 392
    .language:       OpenCL C
    .language_version:
      - 2
      - 0
    .max_flat_workgroup_size: 1024
    .name:           _ZL30rocblas_trmm_outofplace_kernelI19rocblas_complex_numIfELi32ELi2ELb1ELb1ELb0ELb0ES1_KS1_S1_Ev17rocblas_diagonal_iiT6_lPT7_lllS6_lllPT8_llli
    .private_segment_fixed_size: 0
    .sgpr_count:     64
    .sgpr_spill_count: 0
    .symbol:         _ZL30rocblas_trmm_outofplace_kernelI19rocblas_complex_numIfELi32ELi2ELb1ELb1ELb0ELb0ES1_KS1_S1_Ev17rocblas_diagonal_iiT6_lPT7_lllS6_lllPT8_llli.kd
    .uniform_work_group_size: 1
    .uses_dynamic_stack: false
    .vgpr_count:     88
    .vgpr_spill_count: 0
    .wavefront_size: 32
  - .args:
      - .offset:         0
        .size:           4
        .value_kind:     by_value
      - .offset:         4
        .size:           4
        .value_kind:     by_value
      - .offset:         8
        .size:           4
        .value_kind:     by_value
      - .address_space:  global
        .offset:         16
        .size:           8
        .value_kind:     global_buffer
      - .offset:         24
        .size:           8
        .value_kind:     by_value
      - .address_space:  global
        .offset:         32
        .size:           8
        .value_kind:     global_buffer
      - .offset:         40
        .size:           8
        .value_kind:     by_value
      - .offset:         48
        .size:           8
        .value_kind:     by_value
      - .offset:         56
        .size:           8
        .value_kind:     by_value
      - .address_space:  global
        .offset:         64
        .size:           8
        .value_kind:     global_buffer
      - .offset:         72
        .size:           8
        .value_kind:     by_value
      - .offset:         80
        .size:           8
        .value_kind:     by_value
      - .offset:         88
        .size:           8
        .value_kind:     by_value
      - .address_space:  global
        .offset:         96
        .size:           8
        .value_kind:     global_buffer
      - .offset:         104
        .size:           8
        .value_kind:     by_value
      - .offset:         112
        .size:           8
        .value_kind:     by_value
      - .offset:         120
        .size:           8
        .value_kind:     by_value
      - .offset:         128
        .size:           4
        .value_kind:     by_value
      - .offset:         136
        .size:           4
        .value_kind:     hidden_block_count_x
      - .offset:         140
        .size:           4
        .value_kind:     hidden_block_count_y
      - .offset:         144
        .size:           4
        .value_kind:     hidden_block_count_z
      - .offset:         148
        .size:           2
        .value_kind:     hidden_group_size_x
      - .offset:         150
        .size:           2
        .value_kind:     hidden_group_size_y
      - .offset:         152
        .size:           2
        .value_kind:     hidden_group_size_z
      - .offset:         154
        .size:           2
        .value_kind:     hidden_remainder_x
      - .offset:         156
        .size:           2
        .value_kind:     hidden_remainder_y
      - .offset:         158
        .size:           2
        .value_kind:     hidden_remainder_z
      - .offset:         176
        .size:           8
        .value_kind:     hidden_global_offset_x
      - .offset:         184
        .size:           8
        .value_kind:     hidden_global_offset_y
      - .offset:         192
        .size:           8
        .value_kind:     hidden_global_offset_z
      - .offset:         200
        .size:           2
        .value_kind:     hidden_grid_dims
    .group_segment_fixed_size: 16384
    .kernarg_segment_align: 8
    .kernarg_segment_size: 392
    .language:       OpenCL C
    .language_version:
      - 2
      - 0
    .max_flat_workgroup_size: 1024
    .name:           _ZL30rocblas_trmm_outofplace_kernelI19rocblas_complex_numIfELi32ELi2ELb1ELb0ELb1ELb0EPKS1_S2_S1_Ev17rocblas_diagonal_iiT6_lPT7_lllS7_lllPT8_llli
    .private_segment_fixed_size: 0
    .sgpr_count:     60
    .sgpr_spill_count: 0
    .symbol:         _ZL30rocblas_trmm_outofplace_kernelI19rocblas_complex_numIfELi32ELi2ELb1ELb0ELb1ELb0EPKS1_S2_S1_Ev17rocblas_diagonal_iiT6_lPT7_lllS7_lllPT8_llli.kd
    .uniform_work_group_size: 1
    .uses_dynamic_stack: false
    .vgpr_count:     94
    .vgpr_spill_count: 0
    .wavefront_size: 32
  - .args:
      - .offset:         0
        .size:           4
        .value_kind:     by_value
      - .offset:         4
        .size:           4
        .value_kind:     by_value
      - .offset:         8
        .size:           4
        .value_kind:     by_value
      - .offset:         12
        .size:           8
        .value_kind:     by_value
      - .offset:         24
        .size:           8
        .value_kind:     by_value
      - .address_space:  global
        .offset:         32
        .size:           8
        .value_kind:     global_buffer
      - .offset:         40
        .size:           8
        .value_kind:     by_value
      - .offset:         48
        .size:           8
        .value_kind:     by_value
      - .offset:         56
        .size:           8
        .value_kind:     by_value
      - .address_space:  global
        .offset:         64
        .size:           8
        .value_kind:     global_buffer
      - .offset:         72
        .size:           8
        .value_kind:     by_value
      - .offset:         80
        .size:           8
        .value_kind:     by_value
      - .offset:         88
        .size:           8
        .value_kind:     by_value
      - .address_space:  global
        .offset:         96
        .size:           8
        .value_kind:     global_buffer
      - .offset:         104
        .size:           8
        .value_kind:     by_value
      - .offset:         112
        .size:           8
        .value_kind:     by_value
      - .offset:         120
        .size:           8
        .value_kind:     by_value
      - .offset:         128
        .size:           4
        .value_kind:     by_value
      - .offset:         136
        .size:           4
        .value_kind:     hidden_block_count_x
      - .offset:         140
        .size:           4
        .value_kind:     hidden_block_count_y
      - .offset:         144
        .size:           4
        .value_kind:     hidden_block_count_z
      - .offset:         148
        .size:           2
        .value_kind:     hidden_group_size_x
      - .offset:         150
        .size:           2
        .value_kind:     hidden_group_size_y
      - .offset:         152
        .size:           2
        .value_kind:     hidden_group_size_z
      - .offset:         154
        .size:           2
        .value_kind:     hidden_remainder_x
      - .offset:         156
        .size:           2
        .value_kind:     hidden_remainder_y
      - .offset:         158
        .size:           2
        .value_kind:     hidden_remainder_z
      - .offset:         176
        .size:           8
        .value_kind:     hidden_global_offset_x
      - .offset:         184
        .size:           8
        .value_kind:     hidden_global_offset_y
      - .offset:         192
        .size:           8
        .value_kind:     hidden_global_offset_z
      - .offset:         200
        .size:           2
        .value_kind:     hidden_grid_dims
    .group_segment_fixed_size: 16384
    .kernarg_segment_align: 8
    .kernarg_segment_size: 392
    .language:       OpenCL C
    .language_version:
      - 2
      - 0
    .max_flat_workgroup_size: 1024
    .name:           _ZL30rocblas_trmm_outofplace_kernelI19rocblas_complex_numIfELi32ELi2ELb1ELb0ELb1ELb0ES1_KS1_S1_Ev17rocblas_diagonal_iiT6_lPT7_lllS6_lllPT8_llli
    .private_segment_fixed_size: 0
    .sgpr_count:     60
    .sgpr_spill_count: 0
    .symbol:         _ZL30rocblas_trmm_outofplace_kernelI19rocblas_complex_numIfELi32ELi2ELb1ELb0ELb1ELb0ES1_KS1_S1_Ev17rocblas_diagonal_iiT6_lPT7_lllS6_lllPT8_llli.kd
    .uniform_work_group_size: 1
    .uses_dynamic_stack: false
    .vgpr_count:     93
    .vgpr_spill_count: 0
    .wavefront_size: 32
  - .args:
      - .offset:         0
        .size:           4
        .value_kind:     by_value
      - .offset:         4
        .size:           4
        .value_kind:     by_value
      - .offset:         8
        .size:           4
        .value_kind:     by_value
      - .address_space:  global
        .offset:         16
        .size:           8
        .value_kind:     global_buffer
      - .offset:         24
        .size:           8
        .value_kind:     by_value
      - .address_space:  global
        .offset:         32
        .size:           8
        .value_kind:     global_buffer
      - .offset:         40
        .size:           8
        .value_kind:     by_value
      - .offset:         48
        .size:           8
        .value_kind:     by_value
      - .offset:         56
        .size:           8
        .value_kind:     by_value
      - .address_space:  global
        .offset:         64
        .size:           8
        .value_kind:     global_buffer
      - .offset:         72
        .size:           8
        .value_kind:     by_value
      - .offset:         80
        .size:           8
        .value_kind:     by_value
      - .offset:         88
        .size:           8
        .value_kind:     by_value
      - .address_space:  global
        .offset:         96
        .size:           8
        .value_kind:     global_buffer
      - .offset:         104
        .size:           8
        .value_kind:     by_value
      - .offset:         112
        .size:           8
        .value_kind:     by_value
      - .offset:         120
        .size:           8
        .value_kind:     by_value
      - .offset:         128
        .size:           4
        .value_kind:     by_value
      - .offset:         136
        .size:           4
        .value_kind:     hidden_block_count_x
      - .offset:         140
        .size:           4
        .value_kind:     hidden_block_count_y
      - .offset:         144
        .size:           4
        .value_kind:     hidden_block_count_z
      - .offset:         148
        .size:           2
        .value_kind:     hidden_group_size_x
      - .offset:         150
        .size:           2
        .value_kind:     hidden_group_size_y
      - .offset:         152
        .size:           2
        .value_kind:     hidden_group_size_z
      - .offset:         154
        .size:           2
        .value_kind:     hidden_remainder_x
      - .offset:         156
        .size:           2
        .value_kind:     hidden_remainder_y
      - .offset:         158
        .size:           2
        .value_kind:     hidden_remainder_z
      - .offset:         176
        .size:           8
        .value_kind:     hidden_global_offset_x
      - .offset:         184
        .size:           8
        .value_kind:     hidden_global_offset_y
      - .offset:         192
        .size:           8
        .value_kind:     hidden_global_offset_z
      - .offset:         200
        .size:           2
        .value_kind:     hidden_grid_dims
    .group_segment_fixed_size: 16384
    .kernarg_segment_align: 8
    .kernarg_segment_size: 392
    .language:       OpenCL C
    .language_version:
      - 2
      - 0
    .max_flat_workgroup_size: 1024
    .name:           _ZL30rocblas_trmm_outofplace_kernelI19rocblas_complex_numIfELi32ELi2ELb1ELb1ELb1ELb0EPKS1_S2_S1_Ev17rocblas_diagonal_iiT6_lPT7_lllS7_lllPT8_llli
    .private_segment_fixed_size: 0
    .sgpr_count:     60
    .sgpr_spill_count: 0
    .symbol:         _ZL30rocblas_trmm_outofplace_kernelI19rocblas_complex_numIfELi32ELi2ELb1ELb1ELb1ELb0EPKS1_S2_S1_Ev17rocblas_diagonal_iiT6_lPT7_lllS7_lllPT8_llli.kd
    .uniform_work_group_size: 1
    .uses_dynamic_stack: false
    .vgpr_count:     92
    .vgpr_spill_count: 0
    .wavefront_size: 32
  - .args:
      - .offset:         0
        .size:           4
        .value_kind:     by_value
      - .offset:         4
        .size:           4
        .value_kind:     by_value
      - .offset:         8
        .size:           4
        .value_kind:     by_value
      - .offset:         12
        .size:           8
        .value_kind:     by_value
      - .offset:         24
        .size:           8
        .value_kind:     by_value
      - .address_space:  global
        .offset:         32
        .size:           8
        .value_kind:     global_buffer
      - .offset:         40
        .size:           8
        .value_kind:     by_value
      - .offset:         48
        .size:           8
        .value_kind:     by_value
      - .offset:         56
        .size:           8
        .value_kind:     by_value
      - .address_space:  global
        .offset:         64
        .size:           8
        .value_kind:     global_buffer
      - .offset:         72
        .size:           8
        .value_kind:     by_value
      - .offset:         80
        .size:           8
        .value_kind:     by_value
      - .offset:         88
        .size:           8
        .value_kind:     by_value
      - .address_space:  global
        .offset:         96
        .size:           8
        .value_kind:     global_buffer
      - .offset:         104
        .size:           8
        .value_kind:     by_value
      - .offset:         112
        .size:           8
        .value_kind:     by_value
      - .offset:         120
        .size:           8
        .value_kind:     by_value
      - .offset:         128
        .size:           4
        .value_kind:     by_value
      - .offset:         136
        .size:           4
        .value_kind:     hidden_block_count_x
      - .offset:         140
        .size:           4
        .value_kind:     hidden_block_count_y
      - .offset:         144
        .size:           4
        .value_kind:     hidden_block_count_z
      - .offset:         148
        .size:           2
        .value_kind:     hidden_group_size_x
      - .offset:         150
        .size:           2
        .value_kind:     hidden_group_size_y
      - .offset:         152
        .size:           2
        .value_kind:     hidden_group_size_z
      - .offset:         154
        .size:           2
        .value_kind:     hidden_remainder_x
      - .offset:         156
        .size:           2
        .value_kind:     hidden_remainder_y
      - .offset:         158
        .size:           2
        .value_kind:     hidden_remainder_z
      - .offset:         176
        .size:           8
        .value_kind:     hidden_global_offset_x
      - .offset:         184
        .size:           8
        .value_kind:     hidden_global_offset_y
      - .offset:         192
        .size:           8
        .value_kind:     hidden_global_offset_z
      - .offset:         200
        .size:           2
        .value_kind:     hidden_grid_dims
    .group_segment_fixed_size: 16384
    .kernarg_segment_align: 8
    .kernarg_segment_size: 392
    .language:       OpenCL C
    .language_version:
      - 2
      - 0
    .max_flat_workgroup_size: 1024
    .name:           _ZL30rocblas_trmm_outofplace_kernelI19rocblas_complex_numIfELi32ELi2ELb1ELb1ELb1ELb0ES1_KS1_S1_Ev17rocblas_diagonal_iiT6_lPT7_lllS6_lllPT8_llli
    .private_segment_fixed_size: 0
    .sgpr_count:     60
    .sgpr_spill_count: 0
    .symbol:         _ZL30rocblas_trmm_outofplace_kernelI19rocblas_complex_numIfELi32ELi2ELb1ELb1ELb1ELb0ES1_KS1_S1_Ev17rocblas_diagonal_iiT6_lPT7_lllS6_lllPT8_llli.kd
    .uniform_work_group_size: 1
    .uses_dynamic_stack: false
    .vgpr_count:     94
    .vgpr_spill_count: 0
    .wavefront_size: 32
  - .args:
      - .offset:         0
        .size:           4
        .value_kind:     by_value
      - .offset:         4
        .size:           4
        .value_kind:     by_value
      - .offset:         8
        .size:           4
        .value_kind:     by_value
      - .address_space:  global
        .offset:         16
        .size:           8
        .value_kind:     global_buffer
      - .offset:         24
        .size:           8
        .value_kind:     by_value
      - .address_space:  global
        .offset:         32
        .size:           8
        .value_kind:     global_buffer
      - .offset:         40
        .size:           8
        .value_kind:     by_value
      - .offset:         48
        .size:           8
        .value_kind:     by_value
      - .offset:         56
        .size:           8
        .value_kind:     by_value
      - .address_space:  global
        .offset:         64
        .size:           8
        .value_kind:     global_buffer
      - .offset:         72
        .size:           8
        .value_kind:     by_value
      - .offset:         80
        .size:           8
        .value_kind:     by_value
      - .offset:         88
        .size:           8
        .value_kind:     by_value
      - .address_space:  global
        .offset:         96
        .size:           8
        .value_kind:     global_buffer
      - .offset:         104
        .size:           8
        .value_kind:     by_value
      - .offset:         112
        .size:           8
        .value_kind:     by_value
      - .offset:         120
        .size:           8
        .value_kind:     by_value
      - .offset:         128
        .size:           4
        .value_kind:     by_value
      - .offset:         136
        .size:           4
        .value_kind:     hidden_block_count_x
      - .offset:         140
        .size:           4
        .value_kind:     hidden_block_count_y
      - .offset:         144
        .size:           4
        .value_kind:     hidden_block_count_z
      - .offset:         148
        .size:           2
        .value_kind:     hidden_group_size_x
      - .offset:         150
        .size:           2
        .value_kind:     hidden_group_size_y
      - .offset:         152
        .size:           2
        .value_kind:     hidden_group_size_z
      - .offset:         154
        .size:           2
        .value_kind:     hidden_remainder_x
      - .offset:         156
        .size:           2
        .value_kind:     hidden_remainder_y
      - .offset:         158
        .size:           2
        .value_kind:     hidden_remainder_z
      - .offset:         176
        .size:           8
        .value_kind:     hidden_global_offset_x
      - .offset:         184
        .size:           8
        .value_kind:     hidden_global_offset_y
      - .offset:         192
        .size:           8
        .value_kind:     hidden_global_offset_z
      - .offset:         200
        .size:           2
        .value_kind:     hidden_grid_dims
    .group_segment_fixed_size: 16384
    .kernarg_segment_align: 8
    .kernarg_segment_size: 392
    .language:       OpenCL C
    .language_version:
      - 2
      - 0
    .max_flat_workgroup_size: 1024
    .name:           _ZL30rocblas_trmm_outofplace_kernelI19rocblas_complex_numIfELi32ELi2ELb1ELb0ELb1ELb1EPKS1_S2_S1_Ev17rocblas_diagonal_iiT6_lPT7_lllS7_lllPT8_llli
    .private_segment_fixed_size: 0
    .sgpr_count:     60
    .sgpr_spill_count: 0
    .symbol:         _ZL30rocblas_trmm_outofplace_kernelI19rocblas_complex_numIfELi32ELi2ELb1ELb0ELb1ELb1EPKS1_S2_S1_Ev17rocblas_diagonal_iiT6_lPT7_lllS7_lllPT8_llli.kd
    .uniform_work_group_size: 1
    .uses_dynamic_stack: false
    .vgpr_count:     80
    .vgpr_spill_count: 0
    .wavefront_size: 32
  - .args:
      - .offset:         0
        .size:           4
        .value_kind:     by_value
      - .offset:         4
        .size:           4
        .value_kind:     by_value
      - .offset:         8
        .size:           4
        .value_kind:     by_value
      - .offset:         12
        .size:           8
        .value_kind:     by_value
      - .offset:         24
        .size:           8
        .value_kind:     by_value
      - .address_space:  global
        .offset:         32
        .size:           8
        .value_kind:     global_buffer
      - .offset:         40
        .size:           8
        .value_kind:     by_value
      - .offset:         48
        .size:           8
        .value_kind:     by_value
      - .offset:         56
        .size:           8
        .value_kind:     by_value
      - .address_space:  global
        .offset:         64
        .size:           8
        .value_kind:     global_buffer
      - .offset:         72
        .size:           8
        .value_kind:     by_value
      - .offset:         80
        .size:           8
        .value_kind:     by_value
      - .offset:         88
        .size:           8
        .value_kind:     by_value
      - .address_space:  global
        .offset:         96
        .size:           8
        .value_kind:     global_buffer
      - .offset:         104
        .size:           8
        .value_kind:     by_value
      - .offset:         112
        .size:           8
        .value_kind:     by_value
      - .offset:         120
        .size:           8
        .value_kind:     by_value
      - .offset:         128
        .size:           4
        .value_kind:     by_value
      - .offset:         136
        .size:           4
        .value_kind:     hidden_block_count_x
      - .offset:         140
        .size:           4
        .value_kind:     hidden_block_count_y
      - .offset:         144
        .size:           4
        .value_kind:     hidden_block_count_z
      - .offset:         148
        .size:           2
        .value_kind:     hidden_group_size_x
      - .offset:         150
        .size:           2
        .value_kind:     hidden_group_size_y
      - .offset:         152
        .size:           2
        .value_kind:     hidden_group_size_z
      - .offset:         154
        .size:           2
        .value_kind:     hidden_remainder_x
      - .offset:         156
        .size:           2
        .value_kind:     hidden_remainder_y
      - .offset:         158
        .size:           2
        .value_kind:     hidden_remainder_z
      - .offset:         176
        .size:           8
        .value_kind:     hidden_global_offset_x
      - .offset:         184
        .size:           8
        .value_kind:     hidden_global_offset_y
      - .offset:         192
        .size:           8
        .value_kind:     hidden_global_offset_z
      - .offset:         200
        .size:           2
        .value_kind:     hidden_grid_dims
    .group_segment_fixed_size: 16384
    .kernarg_segment_align: 8
    .kernarg_segment_size: 392
    .language:       OpenCL C
    .language_version:
      - 2
      - 0
    .max_flat_workgroup_size: 1024
    .name:           _ZL30rocblas_trmm_outofplace_kernelI19rocblas_complex_numIfELi32ELi2ELb1ELb0ELb1ELb1ES1_KS1_S1_Ev17rocblas_diagonal_iiT6_lPT7_lllS6_lllPT8_llli
    .private_segment_fixed_size: 0
    .sgpr_count:     60
    .sgpr_spill_count: 0
    .symbol:         _ZL30rocblas_trmm_outofplace_kernelI19rocblas_complex_numIfELi32ELi2ELb1ELb0ELb1ELb1ES1_KS1_S1_Ev17rocblas_diagonal_iiT6_lPT7_lllS6_lllPT8_llli.kd
    .uniform_work_group_size: 1
    .uses_dynamic_stack: false
    .vgpr_count:     82
    .vgpr_spill_count: 0
    .wavefront_size: 32
  - .args:
      - .offset:         0
        .size:           4
        .value_kind:     by_value
      - .offset:         4
        .size:           4
        .value_kind:     by_value
      - .offset:         8
        .size:           4
        .value_kind:     by_value
      - .address_space:  global
        .offset:         16
        .size:           8
        .value_kind:     global_buffer
      - .offset:         24
        .size:           8
        .value_kind:     by_value
      - .address_space:  global
        .offset:         32
        .size:           8
        .value_kind:     global_buffer
      - .offset:         40
        .size:           8
        .value_kind:     by_value
      - .offset:         48
        .size:           8
        .value_kind:     by_value
      - .offset:         56
        .size:           8
        .value_kind:     by_value
      - .address_space:  global
        .offset:         64
        .size:           8
        .value_kind:     global_buffer
      - .offset:         72
        .size:           8
        .value_kind:     by_value
      - .offset:         80
        .size:           8
        .value_kind:     by_value
      - .offset:         88
        .size:           8
        .value_kind:     by_value
      - .address_space:  global
        .offset:         96
        .size:           8
        .value_kind:     global_buffer
      - .offset:         104
        .size:           8
        .value_kind:     by_value
      - .offset:         112
        .size:           8
        .value_kind:     by_value
      - .offset:         120
        .size:           8
        .value_kind:     by_value
      - .offset:         128
        .size:           4
        .value_kind:     by_value
      - .offset:         136
        .size:           4
        .value_kind:     hidden_block_count_x
      - .offset:         140
        .size:           4
        .value_kind:     hidden_block_count_y
      - .offset:         144
        .size:           4
        .value_kind:     hidden_block_count_z
      - .offset:         148
        .size:           2
        .value_kind:     hidden_group_size_x
      - .offset:         150
        .size:           2
        .value_kind:     hidden_group_size_y
      - .offset:         152
        .size:           2
        .value_kind:     hidden_group_size_z
      - .offset:         154
        .size:           2
        .value_kind:     hidden_remainder_x
      - .offset:         156
        .size:           2
        .value_kind:     hidden_remainder_y
      - .offset:         158
        .size:           2
        .value_kind:     hidden_remainder_z
      - .offset:         176
        .size:           8
        .value_kind:     hidden_global_offset_x
      - .offset:         184
        .size:           8
        .value_kind:     hidden_global_offset_y
      - .offset:         192
        .size:           8
        .value_kind:     hidden_global_offset_z
      - .offset:         200
        .size:           2
        .value_kind:     hidden_grid_dims
    .group_segment_fixed_size: 16384
    .kernarg_segment_align: 8
    .kernarg_segment_size: 392
    .language:       OpenCL C
    .language_version:
      - 2
      - 0
    .max_flat_workgroup_size: 1024
    .name:           _ZL30rocblas_trmm_outofplace_kernelI19rocblas_complex_numIfELi32ELi2ELb1ELb1ELb1ELb1EPKS1_S2_S1_Ev17rocblas_diagonal_iiT6_lPT7_lllS7_lllPT8_llli
    .private_segment_fixed_size: 0
    .sgpr_count:     60
    .sgpr_spill_count: 0
    .symbol:         _ZL30rocblas_trmm_outofplace_kernelI19rocblas_complex_numIfELi32ELi2ELb1ELb1ELb1ELb1EPKS1_S2_S1_Ev17rocblas_diagonal_iiT6_lPT7_lllS7_lllPT8_llli.kd
    .uniform_work_group_size: 1
    .uses_dynamic_stack: false
    .vgpr_count:     78
    .vgpr_spill_count: 0
    .wavefront_size: 32
  - .args:
      - .offset:         0
        .size:           4
        .value_kind:     by_value
      - .offset:         4
        .size:           4
        .value_kind:     by_value
      - .offset:         8
        .size:           4
        .value_kind:     by_value
      - .offset:         12
        .size:           8
        .value_kind:     by_value
      - .offset:         24
        .size:           8
        .value_kind:     by_value
      - .address_space:  global
        .offset:         32
        .size:           8
        .value_kind:     global_buffer
      - .offset:         40
        .size:           8
        .value_kind:     by_value
      - .offset:         48
        .size:           8
        .value_kind:     by_value
      - .offset:         56
        .size:           8
        .value_kind:     by_value
      - .address_space:  global
        .offset:         64
        .size:           8
        .value_kind:     global_buffer
      - .offset:         72
        .size:           8
        .value_kind:     by_value
      - .offset:         80
        .size:           8
        .value_kind:     by_value
      - .offset:         88
        .size:           8
        .value_kind:     by_value
      - .address_space:  global
        .offset:         96
        .size:           8
        .value_kind:     global_buffer
      - .offset:         104
        .size:           8
        .value_kind:     by_value
      - .offset:         112
        .size:           8
        .value_kind:     by_value
      - .offset:         120
        .size:           8
        .value_kind:     by_value
      - .offset:         128
        .size:           4
        .value_kind:     by_value
      - .offset:         136
        .size:           4
        .value_kind:     hidden_block_count_x
      - .offset:         140
        .size:           4
        .value_kind:     hidden_block_count_y
      - .offset:         144
        .size:           4
        .value_kind:     hidden_block_count_z
      - .offset:         148
        .size:           2
        .value_kind:     hidden_group_size_x
      - .offset:         150
        .size:           2
        .value_kind:     hidden_group_size_y
      - .offset:         152
        .size:           2
        .value_kind:     hidden_group_size_z
      - .offset:         154
        .size:           2
        .value_kind:     hidden_remainder_x
      - .offset:         156
        .size:           2
        .value_kind:     hidden_remainder_y
      - .offset:         158
        .size:           2
        .value_kind:     hidden_remainder_z
      - .offset:         176
        .size:           8
        .value_kind:     hidden_global_offset_x
      - .offset:         184
        .size:           8
        .value_kind:     hidden_global_offset_y
      - .offset:         192
        .size:           8
        .value_kind:     hidden_global_offset_z
      - .offset:         200
        .size:           2
        .value_kind:     hidden_grid_dims
    .group_segment_fixed_size: 16384
    .kernarg_segment_align: 8
    .kernarg_segment_size: 392
    .language:       OpenCL C
    .language_version:
      - 2
      - 0
    .max_flat_workgroup_size: 1024
    .name:           _ZL30rocblas_trmm_outofplace_kernelI19rocblas_complex_numIfELi32ELi2ELb1ELb1ELb1ELb1ES1_KS1_S1_Ev17rocblas_diagonal_iiT6_lPT7_lllS6_lllPT8_llli
    .private_segment_fixed_size: 0
    .sgpr_count:     60
    .sgpr_spill_count: 0
    .symbol:         _ZL30rocblas_trmm_outofplace_kernelI19rocblas_complex_numIfELi32ELi2ELb1ELb1ELb1ELb1ES1_KS1_S1_Ev17rocblas_diagonal_iiT6_lPT7_lllS6_lllPT8_llli.kd
    .uniform_work_group_size: 1
    .uses_dynamic_stack: false
    .vgpr_count:     94
    .vgpr_spill_count: 0
    .wavefront_size: 32
  - .args:
      - .offset:         0
        .size:           4
        .value_kind:     by_value
      - .offset:         4
        .size:           4
        .value_kind:     by_value
      - .offset:         8
        .size:           4
        .value_kind:     by_value
      - .address_space:  global
        .offset:         16
        .size:           8
        .value_kind:     global_buffer
      - .offset:         24
        .size:           8
        .value_kind:     by_value
      - .address_space:  global
        .offset:         32
        .size:           8
        .value_kind:     global_buffer
      - .offset:         40
        .size:           8
        .value_kind:     by_value
      - .offset:         48
        .size:           8
        .value_kind:     by_value
      - .offset:         56
        .size:           8
        .value_kind:     by_value
      - .address_space:  global
        .offset:         64
        .size:           8
        .value_kind:     global_buffer
      - .offset:         72
        .size:           8
        .value_kind:     by_value
      - .offset:         80
        .size:           8
        .value_kind:     by_value
      - .offset:         88
        .size:           8
        .value_kind:     by_value
      - .address_space:  global
        .offset:         96
        .size:           8
        .value_kind:     global_buffer
      - .offset:         104
        .size:           8
        .value_kind:     by_value
      - .offset:         112
        .size:           8
        .value_kind:     by_value
      - .offset:         120
        .size:           8
        .value_kind:     by_value
      - .offset:         128
        .size:           4
        .value_kind:     by_value
      - .offset:         136
        .size:           4
        .value_kind:     hidden_block_count_x
      - .offset:         140
        .size:           4
        .value_kind:     hidden_block_count_y
      - .offset:         144
        .size:           4
        .value_kind:     hidden_block_count_z
      - .offset:         148
        .size:           2
        .value_kind:     hidden_group_size_x
      - .offset:         150
        .size:           2
        .value_kind:     hidden_group_size_y
      - .offset:         152
        .size:           2
        .value_kind:     hidden_group_size_z
      - .offset:         154
        .size:           2
        .value_kind:     hidden_remainder_x
      - .offset:         156
        .size:           2
        .value_kind:     hidden_remainder_y
      - .offset:         158
        .size:           2
        .value_kind:     hidden_remainder_z
      - .offset:         176
        .size:           8
        .value_kind:     hidden_global_offset_x
      - .offset:         184
        .size:           8
        .value_kind:     hidden_global_offset_y
      - .offset:         192
        .size:           8
        .value_kind:     hidden_global_offset_z
      - .offset:         200
        .size:           2
        .value_kind:     hidden_grid_dims
    .group_segment_fixed_size: 16384
    .kernarg_segment_align: 8
    .kernarg_segment_size: 392
    .language:       OpenCL C
    .language_version:
      - 2
      - 0
    .max_flat_workgroup_size: 1024
    .name:           _ZL30rocblas_trmm_outofplace_kernelI19rocblas_complex_numIfELi32ELi2ELb0ELb0ELb0ELb0EPKS1_S2_S1_Ev17rocblas_diagonal_iiT6_lPT7_lllS7_lllPT8_llli
    .private_segment_fixed_size: 0
    .sgpr_count:     66
    .sgpr_spill_count: 0
    .symbol:         _ZL30rocblas_trmm_outofplace_kernelI19rocblas_complex_numIfELi32ELi2ELb0ELb0ELb0ELb0EPKS1_S2_S1_Ev17rocblas_diagonal_iiT6_lPT7_lllS7_lllPT8_llli.kd
    .uniform_work_group_size: 1
    .uses_dynamic_stack: false
    .vgpr_count:     95
    .vgpr_spill_count: 0
    .wavefront_size: 32
  - .args:
      - .offset:         0
        .size:           4
        .value_kind:     by_value
      - .offset:         4
        .size:           4
        .value_kind:     by_value
      - .offset:         8
        .size:           4
        .value_kind:     by_value
      - .offset:         12
        .size:           8
        .value_kind:     by_value
      - .offset:         24
        .size:           8
        .value_kind:     by_value
      - .address_space:  global
        .offset:         32
        .size:           8
        .value_kind:     global_buffer
      - .offset:         40
        .size:           8
        .value_kind:     by_value
      - .offset:         48
        .size:           8
        .value_kind:     by_value
      - .offset:         56
        .size:           8
        .value_kind:     by_value
      - .address_space:  global
        .offset:         64
        .size:           8
        .value_kind:     global_buffer
      - .offset:         72
        .size:           8
        .value_kind:     by_value
      - .offset:         80
        .size:           8
        .value_kind:     by_value
      - .offset:         88
        .size:           8
        .value_kind:     by_value
      - .address_space:  global
        .offset:         96
        .size:           8
        .value_kind:     global_buffer
      - .offset:         104
        .size:           8
        .value_kind:     by_value
      - .offset:         112
        .size:           8
        .value_kind:     by_value
      - .offset:         120
        .size:           8
        .value_kind:     by_value
      - .offset:         128
        .size:           4
        .value_kind:     by_value
      - .offset:         136
        .size:           4
        .value_kind:     hidden_block_count_x
      - .offset:         140
        .size:           4
        .value_kind:     hidden_block_count_y
      - .offset:         144
        .size:           4
        .value_kind:     hidden_block_count_z
      - .offset:         148
        .size:           2
        .value_kind:     hidden_group_size_x
      - .offset:         150
        .size:           2
        .value_kind:     hidden_group_size_y
      - .offset:         152
        .size:           2
        .value_kind:     hidden_group_size_z
      - .offset:         154
        .size:           2
        .value_kind:     hidden_remainder_x
      - .offset:         156
        .size:           2
        .value_kind:     hidden_remainder_y
      - .offset:         158
        .size:           2
        .value_kind:     hidden_remainder_z
      - .offset:         176
        .size:           8
        .value_kind:     hidden_global_offset_x
      - .offset:         184
        .size:           8
        .value_kind:     hidden_global_offset_y
      - .offset:         192
        .size:           8
        .value_kind:     hidden_global_offset_z
      - .offset:         200
        .size:           2
        .value_kind:     hidden_grid_dims
    .group_segment_fixed_size: 16384
    .kernarg_segment_align: 8
    .kernarg_segment_size: 392
    .language:       OpenCL C
    .language_version:
      - 2
      - 0
    .max_flat_workgroup_size: 1024
    .name:           _ZL30rocblas_trmm_outofplace_kernelI19rocblas_complex_numIfELi32ELi2ELb0ELb0ELb0ELb0ES1_KS1_S1_Ev17rocblas_diagonal_iiT6_lPT7_lllS6_lllPT8_llli
    .private_segment_fixed_size: 0
    .sgpr_count:     66
    .sgpr_spill_count: 0
    .symbol:         _ZL30rocblas_trmm_outofplace_kernelI19rocblas_complex_numIfELi32ELi2ELb0ELb0ELb0ELb0ES1_KS1_S1_Ev17rocblas_diagonal_iiT6_lPT7_lllS6_lllPT8_llli.kd
    .uniform_work_group_size: 1
    .uses_dynamic_stack: false
    .vgpr_count:     95
    .vgpr_spill_count: 0
    .wavefront_size: 32
  - .args:
      - .offset:         0
        .size:           4
        .value_kind:     by_value
      - .offset:         4
        .size:           4
        .value_kind:     by_value
      - .offset:         8
        .size:           4
        .value_kind:     by_value
      - .address_space:  global
        .offset:         16
        .size:           8
        .value_kind:     global_buffer
      - .offset:         24
        .size:           8
        .value_kind:     by_value
      - .address_space:  global
        .offset:         32
        .size:           8
        .value_kind:     global_buffer
      - .offset:         40
        .size:           8
        .value_kind:     by_value
      - .offset:         48
        .size:           8
        .value_kind:     by_value
      - .offset:         56
        .size:           8
        .value_kind:     by_value
      - .address_space:  global
        .offset:         64
        .size:           8
        .value_kind:     global_buffer
      - .offset:         72
        .size:           8
        .value_kind:     by_value
      - .offset:         80
        .size:           8
        .value_kind:     by_value
      - .offset:         88
        .size:           8
        .value_kind:     by_value
      - .address_space:  global
        .offset:         96
        .size:           8
        .value_kind:     global_buffer
      - .offset:         104
        .size:           8
        .value_kind:     by_value
      - .offset:         112
        .size:           8
        .value_kind:     by_value
      - .offset:         120
        .size:           8
        .value_kind:     by_value
      - .offset:         128
        .size:           4
        .value_kind:     by_value
      - .offset:         136
        .size:           4
        .value_kind:     hidden_block_count_x
      - .offset:         140
        .size:           4
        .value_kind:     hidden_block_count_y
      - .offset:         144
        .size:           4
        .value_kind:     hidden_block_count_z
      - .offset:         148
        .size:           2
        .value_kind:     hidden_group_size_x
      - .offset:         150
        .size:           2
        .value_kind:     hidden_group_size_y
      - .offset:         152
        .size:           2
        .value_kind:     hidden_group_size_z
      - .offset:         154
        .size:           2
        .value_kind:     hidden_remainder_x
      - .offset:         156
        .size:           2
        .value_kind:     hidden_remainder_y
      - .offset:         158
        .size:           2
        .value_kind:     hidden_remainder_z
      - .offset:         176
        .size:           8
        .value_kind:     hidden_global_offset_x
      - .offset:         184
        .size:           8
        .value_kind:     hidden_global_offset_y
      - .offset:         192
        .size:           8
        .value_kind:     hidden_global_offset_z
      - .offset:         200
        .size:           2
        .value_kind:     hidden_grid_dims
    .group_segment_fixed_size: 16384
    .kernarg_segment_align: 8
    .kernarg_segment_size: 392
    .language:       OpenCL C
    .language_version:
      - 2
      - 0
    .max_flat_workgroup_size: 1024
    .name:           _ZL30rocblas_trmm_outofplace_kernelI19rocblas_complex_numIfELi32ELi2ELb0ELb1ELb0ELb0EPKS1_S2_S1_Ev17rocblas_diagonal_iiT6_lPT7_lllS7_lllPT8_llli
    .private_segment_fixed_size: 0
    .sgpr_count:     62
    .sgpr_spill_count: 0
    .symbol:         _ZL30rocblas_trmm_outofplace_kernelI19rocblas_complex_numIfELi32ELi2ELb0ELb1ELb0ELb0EPKS1_S2_S1_Ev17rocblas_diagonal_iiT6_lPT7_lllS7_lllPT8_llli.kd
    .uniform_work_group_size: 1
    .uses_dynamic_stack: false
    .vgpr_count:     89
    .vgpr_spill_count: 0
    .wavefront_size: 32
  - .args:
      - .offset:         0
        .size:           4
        .value_kind:     by_value
      - .offset:         4
        .size:           4
        .value_kind:     by_value
      - .offset:         8
        .size:           4
        .value_kind:     by_value
      - .offset:         12
        .size:           8
        .value_kind:     by_value
      - .offset:         24
        .size:           8
        .value_kind:     by_value
      - .address_space:  global
        .offset:         32
        .size:           8
        .value_kind:     global_buffer
      - .offset:         40
        .size:           8
        .value_kind:     by_value
      - .offset:         48
        .size:           8
        .value_kind:     by_value
      - .offset:         56
        .size:           8
        .value_kind:     by_value
      - .address_space:  global
        .offset:         64
        .size:           8
        .value_kind:     global_buffer
      - .offset:         72
        .size:           8
        .value_kind:     by_value
      - .offset:         80
        .size:           8
        .value_kind:     by_value
      - .offset:         88
        .size:           8
        .value_kind:     by_value
      - .address_space:  global
        .offset:         96
        .size:           8
        .value_kind:     global_buffer
      - .offset:         104
        .size:           8
        .value_kind:     by_value
      - .offset:         112
        .size:           8
        .value_kind:     by_value
      - .offset:         120
        .size:           8
        .value_kind:     by_value
      - .offset:         128
        .size:           4
        .value_kind:     by_value
      - .offset:         136
        .size:           4
        .value_kind:     hidden_block_count_x
      - .offset:         140
        .size:           4
        .value_kind:     hidden_block_count_y
      - .offset:         144
        .size:           4
        .value_kind:     hidden_block_count_z
      - .offset:         148
        .size:           2
        .value_kind:     hidden_group_size_x
      - .offset:         150
        .size:           2
        .value_kind:     hidden_group_size_y
      - .offset:         152
        .size:           2
        .value_kind:     hidden_group_size_z
      - .offset:         154
        .size:           2
        .value_kind:     hidden_remainder_x
      - .offset:         156
        .size:           2
        .value_kind:     hidden_remainder_y
      - .offset:         158
        .size:           2
        .value_kind:     hidden_remainder_z
      - .offset:         176
        .size:           8
        .value_kind:     hidden_global_offset_x
      - .offset:         184
        .size:           8
        .value_kind:     hidden_global_offset_y
      - .offset:         192
        .size:           8
        .value_kind:     hidden_global_offset_z
      - .offset:         200
        .size:           2
        .value_kind:     hidden_grid_dims
    .group_segment_fixed_size: 16384
    .kernarg_segment_align: 8
    .kernarg_segment_size: 392
    .language:       OpenCL C
    .language_version:
      - 2
      - 0
    .max_flat_workgroup_size: 1024
    .name:           _ZL30rocblas_trmm_outofplace_kernelI19rocblas_complex_numIfELi32ELi2ELb0ELb1ELb0ELb0ES1_KS1_S1_Ev17rocblas_diagonal_iiT6_lPT7_lllS6_lllPT8_llli
    .private_segment_fixed_size: 0
    .sgpr_count:     62
    .sgpr_spill_count: 0
    .symbol:         _ZL30rocblas_trmm_outofplace_kernelI19rocblas_complex_numIfELi32ELi2ELb0ELb1ELb0ELb0ES1_KS1_S1_Ev17rocblas_diagonal_iiT6_lPT7_lllS6_lllPT8_llli.kd
    .uniform_work_group_size: 1
    .uses_dynamic_stack: false
    .vgpr_count:     88
    .vgpr_spill_count: 0
    .wavefront_size: 32
  - .args:
      - .offset:         0
        .size:           4
        .value_kind:     by_value
      - .offset:         4
        .size:           4
        .value_kind:     by_value
      - .offset:         8
        .size:           4
        .value_kind:     by_value
      - .address_space:  global
        .offset:         16
        .size:           8
        .value_kind:     global_buffer
      - .offset:         24
        .size:           8
        .value_kind:     by_value
      - .address_space:  global
        .offset:         32
        .size:           8
        .value_kind:     global_buffer
      - .offset:         40
        .size:           8
        .value_kind:     by_value
      - .offset:         48
        .size:           8
        .value_kind:     by_value
      - .offset:         56
        .size:           8
        .value_kind:     by_value
      - .address_space:  global
        .offset:         64
        .size:           8
        .value_kind:     global_buffer
      - .offset:         72
        .size:           8
        .value_kind:     by_value
      - .offset:         80
        .size:           8
        .value_kind:     by_value
      - .offset:         88
        .size:           8
        .value_kind:     by_value
      - .address_space:  global
        .offset:         96
        .size:           8
        .value_kind:     global_buffer
      - .offset:         104
        .size:           8
        .value_kind:     by_value
      - .offset:         112
        .size:           8
        .value_kind:     by_value
      - .offset:         120
        .size:           8
        .value_kind:     by_value
      - .offset:         128
        .size:           4
        .value_kind:     by_value
      - .offset:         136
        .size:           4
        .value_kind:     hidden_block_count_x
      - .offset:         140
        .size:           4
        .value_kind:     hidden_block_count_y
      - .offset:         144
        .size:           4
        .value_kind:     hidden_block_count_z
      - .offset:         148
        .size:           2
        .value_kind:     hidden_group_size_x
      - .offset:         150
        .size:           2
        .value_kind:     hidden_group_size_y
      - .offset:         152
        .size:           2
        .value_kind:     hidden_group_size_z
      - .offset:         154
        .size:           2
        .value_kind:     hidden_remainder_x
      - .offset:         156
        .size:           2
        .value_kind:     hidden_remainder_y
      - .offset:         158
        .size:           2
        .value_kind:     hidden_remainder_z
      - .offset:         176
        .size:           8
        .value_kind:     hidden_global_offset_x
      - .offset:         184
        .size:           8
        .value_kind:     hidden_global_offset_y
      - .offset:         192
        .size:           8
        .value_kind:     hidden_global_offset_z
      - .offset:         200
        .size:           2
        .value_kind:     hidden_grid_dims
    .group_segment_fixed_size: 16384
    .kernarg_segment_align: 8
    .kernarg_segment_size: 392
    .language:       OpenCL C
    .language_version:
      - 2
      - 0
    .max_flat_workgroup_size: 1024
    .name:           _ZL30rocblas_trmm_outofplace_kernelI19rocblas_complex_numIfELi32ELi2ELb0ELb0ELb1ELb0EPKS1_S2_S1_Ev17rocblas_diagonal_iiT6_lPT7_lllS7_lllPT8_llli
    .private_segment_fixed_size: 0
    .sgpr_count:     56
    .sgpr_spill_count: 0
    .symbol:         _ZL30rocblas_trmm_outofplace_kernelI19rocblas_complex_numIfELi32ELi2ELb0ELb0ELb1ELb0EPKS1_S2_S1_Ev17rocblas_diagonal_iiT6_lPT7_lllS7_lllPT8_llli.kd
    .uniform_work_group_size: 1
    .uses_dynamic_stack: false
    .vgpr_count:     108
    .vgpr_spill_count: 0
    .wavefront_size: 32
  - .args:
      - .offset:         0
        .size:           4
        .value_kind:     by_value
      - .offset:         4
        .size:           4
        .value_kind:     by_value
      - .offset:         8
        .size:           4
        .value_kind:     by_value
      - .offset:         12
        .size:           8
        .value_kind:     by_value
      - .offset:         24
        .size:           8
        .value_kind:     by_value
      - .address_space:  global
        .offset:         32
        .size:           8
        .value_kind:     global_buffer
      - .offset:         40
        .size:           8
        .value_kind:     by_value
      - .offset:         48
        .size:           8
        .value_kind:     by_value
      - .offset:         56
        .size:           8
        .value_kind:     by_value
      - .address_space:  global
        .offset:         64
        .size:           8
        .value_kind:     global_buffer
      - .offset:         72
        .size:           8
        .value_kind:     by_value
      - .offset:         80
        .size:           8
        .value_kind:     by_value
      - .offset:         88
        .size:           8
        .value_kind:     by_value
      - .address_space:  global
        .offset:         96
        .size:           8
        .value_kind:     global_buffer
      - .offset:         104
        .size:           8
        .value_kind:     by_value
      - .offset:         112
        .size:           8
        .value_kind:     by_value
      - .offset:         120
        .size:           8
        .value_kind:     by_value
      - .offset:         128
        .size:           4
        .value_kind:     by_value
      - .offset:         136
        .size:           4
        .value_kind:     hidden_block_count_x
      - .offset:         140
        .size:           4
        .value_kind:     hidden_block_count_y
      - .offset:         144
        .size:           4
        .value_kind:     hidden_block_count_z
      - .offset:         148
        .size:           2
        .value_kind:     hidden_group_size_x
      - .offset:         150
        .size:           2
        .value_kind:     hidden_group_size_y
      - .offset:         152
        .size:           2
        .value_kind:     hidden_group_size_z
      - .offset:         154
        .size:           2
        .value_kind:     hidden_remainder_x
      - .offset:         156
        .size:           2
        .value_kind:     hidden_remainder_y
      - .offset:         158
        .size:           2
        .value_kind:     hidden_remainder_z
      - .offset:         176
        .size:           8
        .value_kind:     hidden_global_offset_x
      - .offset:         184
        .size:           8
        .value_kind:     hidden_global_offset_y
      - .offset:         192
        .size:           8
        .value_kind:     hidden_global_offset_z
      - .offset:         200
        .size:           2
        .value_kind:     hidden_grid_dims
    .group_segment_fixed_size: 16384
    .kernarg_segment_align: 8
    .kernarg_segment_size: 392
    .language:       OpenCL C
    .language_version:
      - 2
      - 0
    .max_flat_workgroup_size: 1024
    .name:           _ZL30rocblas_trmm_outofplace_kernelI19rocblas_complex_numIfELi32ELi2ELb0ELb0ELb1ELb0ES1_KS1_S1_Ev17rocblas_diagonal_iiT6_lPT7_lllS6_lllPT8_llli
    .private_segment_fixed_size: 0
    .sgpr_count:     56
    .sgpr_spill_count: 0
    .symbol:         _ZL30rocblas_trmm_outofplace_kernelI19rocblas_complex_numIfELi32ELi2ELb0ELb0ELb1ELb0ES1_KS1_S1_Ev17rocblas_diagonal_iiT6_lPT7_lllS6_lllPT8_llli.kd
    .uniform_work_group_size: 1
    .uses_dynamic_stack: false
    .vgpr_count:     104
    .vgpr_spill_count: 0
    .wavefront_size: 32
  - .args:
      - .offset:         0
        .size:           4
        .value_kind:     by_value
      - .offset:         4
        .size:           4
        .value_kind:     by_value
      - .offset:         8
        .size:           4
        .value_kind:     by_value
      - .address_space:  global
        .offset:         16
        .size:           8
        .value_kind:     global_buffer
      - .offset:         24
        .size:           8
        .value_kind:     by_value
      - .address_space:  global
        .offset:         32
        .size:           8
        .value_kind:     global_buffer
      - .offset:         40
        .size:           8
        .value_kind:     by_value
      - .offset:         48
        .size:           8
        .value_kind:     by_value
      - .offset:         56
        .size:           8
        .value_kind:     by_value
      - .address_space:  global
        .offset:         64
        .size:           8
        .value_kind:     global_buffer
      - .offset:         72
        .size:           8
        .value_kind:     by_value
      - .offset:         80
        .size:           8
        .value_kind:     by_value
      - .offset:         88
        .size:           8
        .value_kind:     by_value
      - .address_space:  global
        .offset:         96
        .size:           8
        .value_kind:     global_buffer
      - .offset:         104
        .size:           8
        .value_kind:     by_value
      - .offset:         112
        .size:           8
        .value_kind:     by_value
      - .offset:         120
        .size:           8
        .value_kind:     by_value
      - .offset:         128
        .size:           4
        .value_kind:     by_value
      - .offset:         136
        .size:           4
        .value_kind:     hidden_block_count_x
      - .offset:         140
        .size:           4
        .value_kind:     hidden_block_count_y
      - .offset:         144
        .size:           4
        .value_kind:     hidden_block_count_z
      - .offset:         148
        .size:           2
        .value_kind:     hidden_group_size_x
      - .offset:         150
        .size:           2
        .value_kind:     hidden_group_size_y
      - .offset:         152
        .size:           2
        .value_kind:     hidden_group_size_z
      - .offset:         154
        .size:           2
        .value_kind:     hidden_remainder_x
      - .offset:         156
        .size:           2
        .value_kind:     hidden_remainder_y
      - .offset:         158
        .size:           2
        .value_kind:     hidden_remainder_z
      - .offset:         176
        .size:           8
        .value_kind:     hidden_global_offset_x
      - .offset:         184
        .size:           8
        .value_kind:     hidden_global_offset_y
      - .offset:         192
        .size:           8
        .value_kind:     hidden_global_offset_z
      - .offset:         200
        .size:           2
        .value_kind:     hidden_grid_dims
    .group_segment_fixed_size: 16384
    .kernarg_segment_align: 8
    .kernarg_segment_size: 392
    .language:       OpenCL C
    .language_version:
      - 2
      - 0
    .max_flat_workgroup_size: 1024
    .name:           _ZL30rocblas_trmm_outofplace_kernelI19rocblas_complex_numIfELi32ELi2ELb0ELb1ELb1ELb0EPKS1_S2_S1_Ev17rocblas_diagonal_iiT6_lPT7_lllS7_lllPT8_llli
    .private_segment_fixed_size: 0
    .sgpr_count:     68
    .sgpr_spill_count: 0
    .symbol:         _ZL30rocblas_trmm_outofplace_kernelI19rocblas_complex_numIfELi32ELi2ELb0ELb1ELb1ELb0EPKS1_S2_S1_Ev17rocblas_diagonal_iiT6_lPT7_lllS7_lllPT8_llli.kd
    .uniform_work_group_size: 1
    .uses_dynamic_stack: false
    .vgpr_count:     95
    .vgpr_spill_count: 0
    .wavefront_size: 32
  - .args:
      - .offset:         0
        .size:           4
        .value_kind:     by_value
      - .offset:         4
        .size:           4
        .value_kind:     by_value
      - .offset:         8
        .size:           4
        .value_kind:     by_value
      - .offset:         12
        .size:           8
        .value_kind:     by_value
      - .offset:         24
        .size:           8
        .value_kind:     by_value
      - .address_space:  global
        .offset:         32
        .size:           8
        .value_kind:     global_buffer
      - .offset:         40
        .size:           8
        .value_kind:     by_value
      - .offset:         48
        .size:           8
        .value_kind:     by_value
      - .offset:         56
        .size:           8
        .value_kind:     by_value
      - .address_space:  global
        .offset:         64
        .size:           8
        .value_kind:     global_buffer
      - .offset:         72
        .size:           8
        .value_kind:     by_value
      - .offset:         80
        .size:           8
        .value_kind:     by_value
      - .offset:         88
        .size:           8
        .value_kind:     by_value
      - .address_space:  global
        .offset:         96
        .size:           8
        .value_kind:     global_buffer
      - .offset:         104
        .size:           8
        .value_kind:     by_value
      - .offset:         112
        .size:           8
        .value_kind:     by_value
      - .offset:         120
        .size:           8
        .value_kind:     by_value
      - .offset:         128
        .size:           4
        .value_kind:     by_value
      - .offset:         136
        .size:           4
        .value_kind:     hidden_block_count_x
      - .offset:         140
        .size:           4
        .value_kind:     hidden_block_count_y
      - .offset:         144
        .size:           4
        .value_kind:     hidden_block_count_z
      - .offset:         148
        .size:           2
        .value_kind:     hidden_group_size_x
      - .offset:         150
        .size:           2
        .value_kind:     hidden_group_size_y
      - .offset:         152
        .size:           2
        .value_kind:     hidden_group_size_z
      - .offset:         154
        .size:           2
        .value_kind:     hidden_remainder_x
      - .offset:         156
        .size:           2
        .value_kind:     hidden_remainder_y
      - .offset:         158
        .size:           2
        .value_kind:     hidden_remainder_z
      - .offset:         176
        .size:           8
        .value_kind:     hidden_global_offset_x
      - .offset:         184
        .size:           8
        .value_kind:     hidden_global_offset_y
      - .offset:         192
        .size:           8
        .value_kind:     hidden_global_offset_z
      - .offset:         200
        .size:           2
        .value_kind:     hidden_grid_dims
    .group_segment_fixed_size: 16384
    .kernarg_segment_align: 8
    .kernarg_segment_size: 392
    .language:       OpenCL C
    .language_version:
      - 2
      - 0
    .max_flat_workgroup_size: 1024
    .name:           _ZL30rocblas_trmm_outofplace_kernelI19rocblas_complex_numIfELi32ELi2ELb0ELb1ELb1ELb0ES1_KS1_S1_Ev17rocblas_diagonal_iiT6_lPT7_lllS6_lllPT8_llli
    .private_segment_fixed_size: 0
    .sgpr_count:     68
    .sgpr_spill_count: 0
    .symbol:         _ZL30rocblas_trmm_outofplace_kernelI19rocblas_complex_numIfELi32ELi2ELb0ELb1ELb1ELb0ES1_KS1_S1_Ev17rocblas_diagonal_iiT6_lPT7_lllS6_lllPT8_llli.kd
    .uniform_work_group_size: 1
    .uses_dynamic_stack: false
    .vgpr_count:     95
    .vgpr_spill_count: 0
    .wavefront_size: 32
  - .args:
      - .offset:         0
        .size:           4
        .value_kind:     by_value
      - .offset:         4
        .size:           4
        .value_kind:     by_value
      - .offset:         8
        .size:           4
        .value_kind:     by_value
      - .address_space:  global
        .offset:         16
        .size:           8
        .value_kind:     global_buffer
      - .offset:         24
        .size:           8
        .value_kind:     by_value
      - .address_space:  global
        .offset:         32
        .size:           8
        .value_kind:     global_buffer
      - .offset:         40
        .size:           8
        .value_kind:     by_value
      - .offset:         48
        .size:           8
        .value_kind:     by_value
      - .offset:         56
        .size:           8
        .value_kind:     by_value
      - .address_space:  global
        .offset:         64
        .size:           8
        .value_kind:     global_buffer
      - .offset:         72
        .size:           8
        .value_kind:     by_value
      - .offset:         80
        .size:           8
        .value_kind:     by_value
      - .offset:         88
        .size:           8
        .value_kind:     by_value
      - .address_space:  global
        .offset:         96
        .size:           8
        .value_kind:     global_buffer
      - .offset:         104
        .size:           8
        .value_kind:     by_value
      - .offset:         112
        .size:           8
        .value_kind:     by_value
      - .offset:         120
        .size:           8
        .value_kind:     by_value
      - .offset:         128
        .size:           4
        .value_kind:     by_value
      - .offset:         136
        .size:           4
        .value_kind:     hidden_block_count_x
      - .offset:         140
        .size:           4
        .value_kind:     hidden_block_count_y
      - .offset:         144
        .size:           4
        .value_kind:     hidden_block_count_z
      - .offset:         148
        .size:           2
        .value_kind:     hidden_group_size_x
      - .offset:         150
        .size:           2
        .value_kind:     hidden_group_size_y
      - .offset:         152
        .size:           2
        .value_kind:     hidden_group_size_z
      - .offset:         154
        .size:           2
        .value_kind:     hidden_remainder_x
      - .offset:         156
        .size:           2
        .value_kind:     hidden_remainder_y
      - .offset:         158
        .size:           2
        .value_kind:     hidden_remainder_z
      - .offset:         176
        .size:           8
        .value_kind:     hidden_global_offset_x
      - .offset:         184
        .size:           8
        .value_kind:     hidden_global_offset_y
      - .offset:         192
        .size:           8
        .value_kind:     hidden_global_offset_z
      - .offset:         200
        .size:           2
        .value_kind:     hidden_grid_dims
    .group_segment_fixed_size: 16384
    .kernarg_segment_align: 8
    .kernarg_segment_size: 392
    .language:       OpenCL C
    .language_version:
      - 2
      - 0
    .max_flat_workgroup_size: 1024
    .name:           _ZL30rocblas_trmm_outofplace_kernelI19rocblas_complex_numIfELi32ELi2ELb0ELb0ELb1ELb1EPKS1_S2_S1_Ev17rocblas_diagonal_iiT6_lPT7_lllS7_lllPT8_llli
    .private_segment_fixed_size: 0
    .sgpr_count:     56
    .sgpr_spill_count: 0
    .symbol:         _ZL30rocblas_trmm_outofplace_kernelI19rocblas_complex_numIfELi32ELi2ELb0ELb0ELb1ELb1EPKS1_S2_S1_Ev17rocblas_diagonal_iiT6_lPT7_lllS7_lllPT8_llli.kd
    .uniform_work_group_size: 1
    .uses_dynamic_stack: false
    .vgpr_count:     96
    .vgpr_spill_count: 0
    .wavefront_size: 32
  - .args:
      - .offset:         0
        .size:           4
        .value_kind:     by_value
      - .offset:         4
        .size:           4
        .value_kind:     by_value
      - .offset:         8
        .size:           4
        .value_kind:     by_value
      - .offset:         12
        .size:           8
        .value_kind:     by_value
      - .offset:         24
        .size:           8
        .value_kind:     by_value
      - .address_space:  global
        .offset:         32
        .size:           8
        .value_kind:     global_buffer
      - .offset:         40
        .size:           8
        .value_kind:     by_value
      - .offset:         48
        .size:           8
        .value_kind:     by_value
      - .offset:         56
        .size:           8
        .value_kind:     by_value
      - .address_space:  global
        .offset:         64
        .size:           8
        .value_kind:     global_buffer
      - .offset:         72
        .size:           8
        .value_kind:     by_value
      - .offset:         80
        .size:           8
        .value_kind:     by_value
      - .offset:         88
        .size:           8
        .value_kind:     by_value
      - .address_space:  global
        .offset:         96
        .size:           8
        .value_kind:     global_buffer
      - .offset:         104
        .size:           8
        .value_kind:     by_value
      - .offset:         112
        .size:           8
        .value_kind:     by_value
      - .offset:         120
        .size:           8
        .value_kind:     by_value
      - .offset:         128
        .size:           4
        .value_kind:     by_value
      - .offset:         136
        .size:           4
        .value_kind:     hidden_block_count_x
      - .offset:         140
        .size:           4
        .value_kind:     hidden_block_count_y
      - .offset:         144
        .size:           4
        .value_kind:     hidden_block_count_z
      - .offset:         148
        .size:           2
        .value_kind:     hidden_group_size_x
      - .offset:         150
        .size:           2
        .value_kind:     hidden_group_size_y
      - .offset:         152
        .size:           2
        .value_kind:     hidden_group_size_z
      - .offset:         154
        .size:           2
        .value_kind:     hidden_remainder_x
      - .offset:         156
        .size:           2
        .value_kind:     hidden_remainder_y
      - .offset:         158
        .size:           2
        .value_kind:     hidden_remainder_z
      - .offset:         176
        .size:           8
        .value_kind:     hidden_global_offset_x
      - .offset:         184
        .size:           8
        .value_kind:     hidden_global_offset_y
      - .offset:         192
        .size:           8
        .value_kind:     hidden_global_offset_z
      - .offset:         200
        .size:           2
        .value_kind:     hidden_grid_dims
    .group_segment_fixed_size: 16384
    .kernarg_segment_align: 8
    .kernarg_segment_size: 392
    .language:       OpenCL C
    .language_version:
      - 2
      - 0
    .max_flat_workgroup_size: 1024
    .name:           _ZL30rocblas_trmm_outofplace_kernelI19rocblas_complex_numIfELi32ELi2ELb0ELb0ELb1ELb1ES1_KS1_S1_Ev17rocblas_diagonal_iiT6_lPT7_lllS6_lllPT8_llli
    .private_segment_fixed_size: 0
    .sgpr_count:     56
    .sgpr_spill_count: 0
    .symbol:         _ZL30rocblas_trmm_outofplace_kernelI19rocblas_complex_numIfELi32ELi2ELb0ELb0ELb1ELb1ES1_KS1_S1_Ev17rocblas_diagonal_iiT6_lPT7_lllS6_lllPT8_llli.kd
    .uniform_work_group_size: 1
    .uses_dynamic_stack: false
    .vgpr_count:     92
    .vgpr_spill_count: 0
    .wavefront_size: 32
  - .args:
      - .offset:         0
        .size:           4
        .value_kind:     by_value
      - .offset:         4
        .size:           4
        .value_kind:     by_value
      - .offset:         8
        .size:           4
        .value_kind:     by_value
      - .address_space:  global
        .offset:         16
        .size:           8
        .value_kind:     global_buffer
      - .offset:         24
        .size:           8
        .value_kind:     by_value
      - .address_space:  global
        .offset:         32
        .size:           8
        .value_kind:     global_buffer
      - .offset:         40
        .size:           8
        .value_kind:     by_value
      - .offset:         48
        .size:           8
        .value_kind:     by_value
      - .offset:         56
        .size:           8
        .value_kind:     by_value
      - .address_space:  global
        .offset:         64
        .size:           8
        .value_kind:     global_buffer
      - .offset:         72
        .size:           8
        .value_kind:     by_value
      - .offset:         80
        .size:           8
        .value_kind:     by_value
      - .offset:         88
        .size:           8
        .value_kind:     by_value
      - .address_space:  global
        .offset:         96
        .size:           8
        .value_kind:     global_buffer
      - .offset:         104
        .size:           8
        .value_kind:     by_value
      - .offset:         112
        .size:           8
        .value_kind:     by_value
      - .offset:         120
        .size:           8
        .value_kind:     by_value
      - .offset:         128
        .size:           4
        .value_kind:     by_value
      - .offset:         136
        .size:           4
        .value_kind:     hidden_block_count_x
      - .offset:         140
        .size:           4
        .value_kind:     hidden_block_count_y
      - .offset:         144
        .size:           4
        .value_kind:     hidden_block_count_z
      - .offset:         148
        .size:           2
        .value_kind:     hidden_group_size_x
      - .offset:         150
        .size:           2
        .value_kind:     hidden_group_size_y
      - .offset:         152
        .size:           2
        .value_kind:     hidden_group_size_z
      - .offset:         154
        .size:           2
        .value_kind:     hidden_remainder_x
      - .offset:         156
        .size:           2
        .value_kind:     hidden_remainder_y
      - .offset:         158
        .size:           2
        .value_kind:     hidden_remainder_z
      - .offset:         176
        .size:           8
        .value_kind:     hidden_global_offset_x
      - .offset:         184
        .size:           8
        .value_kind:     hidden_global_offset_y
      - .offset:         192
        .size:           8
        .value_kind:     hidden_global_offset_z
      - .offset:         200
        .size:           2
        .value_kind:     hidden_grid_dims
    .group_segment_fixed_size: 16384
    .kernarg_segment_align: 8
    .kernarg_segment_size: 392
    .language:       OpenCL C
    .language_version:
      - 2
      - 0
    .max_flat_workgroup_size: 1024
    .name:           _ZL30rocblas_trmm_outofplace_kernelI19rocblas_complex_numIfELi32ELi2ELb0ELb1ELb1ELb1EPKS1_S2_S1_Ev17rocblas_diagonal_iiT6_lPT7_lllS7_lllPT8_llli
    .private_segment_fixed_size: 0
    .sgpr_count:     72
    .sgpr_spill_count: 0
    .symbol:         _ZL30rocblas_trmm_outofplace_kernelI19rocblas_complex_numIfELi32ELi2ELb0ELb1ELb1ELb1EPKS1_S2_S1_Ev17rocblas_diagonal_iiT6_lPT7_lllS7_lllPT8_llli.kd
    .uniform_work_group_size: 1
    .uses_dynamic_stack: false
    .vgpr_count:     88
    .vgpr_spill_count: 0
    .wavefront_size: 32
  - .args:
      - .offset:         0
        .size:           4
        .value_kind:     by_value
      - .offset:         4
        .size:           4
        .value_kind:     by_value
      - .offset:         8
        .size:           4
        .value_kind:     by_value
      - .offset:         12
        .size:           8
        .value_kind:     by_value
      - .offset:         24
        .size:           8
        .value_kind:     by_value
      - .address_space:  global
        .offset:         32
        .size:           8
        .value_kind:     global_buffer
      - .offset:         40
        .size:           8
        .value_kind:     by_value
      - .offset:         48
        .size:           8
        .value_kind:     by_value
      - .offset:         56
        .size:           8
        .value_kind:     by_value
      - .address_space:  global
        .offset:         64
        .size:           8
        .value_kind:     global_buffer
      - .offset:         72
        .size:           8
        .value_kind:     by_value
      - .offset:         80
        .size:           8
        .value_kind:     by_value
      - .offset:         88
        .size:           8
        .value_kind:     by_value
      - .address_space:  global
        .offset:         96
        .size:           8
        .value_kind:     global_buffer
      - .offset:         104
        .size:           8
        .value_kind:     by_value
      - .offset:         112
        .size:           8
        .value_kind:     by_value
      - .offset:         120
        .size:           8
        .value_kind:     by_value
      - .offset:         128
        .size:           4
        .value_kind:     by_value
      - .offset:         136
        .size:           4
        .value_kind:     hidden_block_count_x
      - .offset:         140
        .size:           4
        .value_kind:     hidden_block_count_y
      - .offset:         144
        .size:           4
        .value_kind:     hidden_block_count_z
      - .offset:         148
        .size:           2
        .value_kind:     hidden_group_size_x
      - .offset:         150
        .size:           2
        .value_kind:     hidden_group_size_y
      - .offset:         152
        .size:           2
        .value_kind:     hidden_group_size_z
      - .offset:         154
        .size:           2
        .value_kind:     hidden_remainder_x
      - .offset:         156
        .size:           2
        .value_kind:     hidden_remainder_y
      - .offset:         158
        .size:           2
        .value_kind:     hidden_remainder_z
      - .offset:         176
        .size:           8
        .value_kind:     hidden_global_offset_x
      - .offset:         184
        .size:           8
        .value_kind:     hidden_global_offset_y
      - .offset:         192
        .size:           8
        .value_kind:     hidden_global_offset_z
      - .offset:         200
        .size:           2
        .value_kind:     hidden_grid_dims
    .group_segment_fixed_size: 16384
    .kernarg_segment_align: 8
    .kernarg_segment_size: 392
    .language:       OpenCL C
    .language_version:
      - 2
      - 0
    .max_flat_workgroup_size: 1024
    .name:           _ZL30rocblas_trmm_outofplace_kernelI19rocblas_complex_numIfELi32ELi2ELb0ELb1ELb1ELb1ES1_KS1_S1_Ev17rocblas_diagonal_iiT6_lPT7_lllS6_lllPT8_llli
    .private_segment_fixed_size: 0
    .sgpr_count:     72
    .sgpr_spill_count: 0
    .symbol:         _ZL30rocblas_trmm_outofplace_kernelI19rocblas_complex_numIfELi32ELi2ELb0ELb1ELb1ELb1ES1_KS1_S1_Ev17rocblas_diagonal_iiT6_lPT7_lllS6_lllPT8_llli.kd
    .uniform_work_group_size: 1
    .uses_dynamic_stack: false
    .vgpr_count:     95
    .vgpr_spill_count: 0
    .wavefront_size: 32
  - .args:
      - .offset:         0
        .size:           4
        .value_kind:     by_value
      - .offset:         4
        .size:           4
        .value_kind:     by_value
      - .offset:         8
        .size:           4
        .value_kind:     by_value
      - .offset:         12
        .size:           4
        .value_kind:     by_value
      - .address_space:  global
        .offset:         16
        .size:           8
        .value_kind:     global_buffer
      - .offset:         24
        .size:           8
        .value_kind:     by_value
      - .address_space:  global
        .offset:         32
        .size:           8
        .value_kind:     global_buffer
      - .offset:         40
        .size:           8
        .value_kind:     by_value
      - .offset:         48
        .size:           8
        .value_kind:     by_value
      - .address_space:  global
        .offset:         56
        .size:           8
        .value_kind:     global_buffer
      - .offset:         64
        .size:           8
        .value_kind:     by_value
      - .offset:         72
        .size:           8
        .value_kind:     by_value
      - .address_space:  global
        .offset:         80
        .size:           8
        .value_kind:     global_buffer
      - .offset:         88
        .size:           8
        .value_kind:     by_value
      - .offset:         96
        .size:           8
        .value_kind:     by_value
      - .offset:         104
        .size:           4
        .value_kind:     by_value
    .group_segment_fixed_size: 4096
    .kernarg_segment_align: 8
    .kernarg_segment_size: 108
    .language:       OpenCL C
    .language_version:
      - 2
      - 0
    .max_flat_workgroup_size: 256
    .name:           _ZL23rocblas_trmm_lNx_kernelILi16E19rocblas_complex_numIfEPKS1_S2_S1_Ev13rocblas_fill_17rocblas_diagonal_iiT1_lPT2_llS8_llPT3_lli
    .private_segment_fixed_size: 0
    .sgpr_count:     37
    .sgpr_spill_count: 0
    .symbol:         _ZL23rocblas_trmm_lNx_kernelILi16E19rocblas_complex_numIfEPKS1_S2_S1_Ev13rocblas_fill_17rocblas_diagonal_iiT1_lPT2_llS8_llPT3_lli.kd
    .uniform_work_group_size: 1
    .uses_dynamic_stack: false
    .vgpr_count:     66
    .vgpr_spill_count: 0
    .wavefront_size: 32
  - .args:
      - .offset:         0
        .size:           4
        .value_kind:     by_value
      - .offset:         4
        .size:           4
        .value_kind:     by_value
      - .offset:         8
        .size:           4
        .value_kind:     by_value
      - .offset:         12
        .size:           4
        .value_kind:     by_value
      - .offset:         16
        .size:           8
        .value_kind:     by_value
      - .offset:         24
        .size:           8
        .value_kind:     by_value
      - .address_space:  global
        .offset:         32
        .size:           8
        .value_kind:     global_buffer
      - .offset:         40
        .size:           8
        .value_kind:     by_value
      - .offset:         48
        .size:           8
        .value_kind:     by_value
      - .address_space:  global
        .offset:         56
        .size:           8
        .value_kind:     global_buffer
      - .offset:         64
        .size:           8
        .value_kind:     by_value
      - .offset:         72
        .size:           8
        .value_kind:     by_value
      - .address_space:  global
        .offset:         80
        .size:           8
        .value_kind:     global_buffer
      - .offset:         88
        .size:           8
        .value_kind:     by_value
      - .offset:         96
        .size:           8
        .value_kind:     by_value
      - .offset:         104
        .size:           4
        .value_kind:     by_value
    .group_segment_fixed_size: 4096
    .kernarg_segment_align: 8
    .kernarg_segment_size: 108
    .language:       OpenCL C
    .language_version:
      - 2
      - 0
    .max_flat_workgroup_size: 256
    .name:           _ZL23rocblas_trmm_lNx_kernelILi16E19rocblas_complex_numIfES1_KS1_S1_Ev13rocblas_fill_17rocblas_diagonal_iiT1_lPT2_llS7_llPT3_lli
    .private_segment_fixed_size: 0
    .sgpr_count:     36
    .sgpr_spill_count: 0
    .symbol:         _ZL23rocblas_trmm_lNx_kernelILi16E19rocblas_complex_numIfES1_KS1_S1_Ev13rocblas_fill_17rocblas_diagonal_iiT1_lPT2_llS7_llPT3_lli.kd
    .uniform_work_group_size: 1
    .uses_dynamic_stack: false
    .vgpr_count:     67
    .vgpr_spill_count: 0
    .wavefront_size: 32
  - .args:
      - .offset:         0
        .size:           4
        .value_kind:     by_value
      - .offset:         4
        .size:           4
        .value_kind:     by_value
      - .offset:         8
        .size:           4
        .value_kind:     by_value
      - .offset:         12
        .size:           4
        .value_kind:     by_value
      - .address_space:  global
        .offset:         16
        .size:           8
        .value_kind:     global_buffer
      - .offset:         24
        .size:           8
        .value_kind:     by_value
      - .address_space:  global
        .offset:         32
        .size:           8
        .value_kind:     global_buffer
      - .offset:         40
        .size:           8
        .value_kind:     by_value
      - .offset:         48
        .size:           8
        .value_kind:     by_value
      - .address_space:  global
        .offset:         56
        .size:           8
        .value_kind:     global_buffer
      - .offset:         64
        .size:           8
        .value_kind:     by_value
      - .offset:         72
        .size:           8
        .value_kind:     by_value
      - .address_space:  global
        .offset:         80
        .size:           8
        .value_kind:     global_buffer
      - .offset:         88
        .size:           8
        .value_kind:     by_value
      - .offset:         96
        .size:           8
        .value_kind:     by_value
      - .offset:         104
        .size:           4
        .value_kind:     by_value
    .group_segment_fixed_size: 4096
    .kernarg_segment_align: 8
    .kernarg_segment_size: 108
    .language:       OpenCL C
    .language_version:
      - 2
      - 0
    .max_flat_workgroup_size: 256
    .name:           _ZL23rocblas_trmm_lTx_kernelILi16ELb0E19rocblas_complex_numIfEPKS1_S2_S1_Ev13rocblas_fill_17rocblas_diagonal_iiT2_lPT3_llS8_llPT4_lli
    .private_segment_fixed_size: 0
    .sgpr_count:     38
    .sgpr_spill_count: 0
    .symbol:         _ZL23rocblas_trmm_lTx_kernelILi16ELb0E19rocblas_complex_numIfEPKS1_S2_S1_Ev13rocblas_fill_17rocblas_diagonal_iiT2_lPT3_llS8_llPT4_lli.kd
    .uniform_work_group_size: 1
    .uses_dynamic_stack: false
    .vgpr_count:     65
    .vgpr_spill_count: 0
    .wavefront_size: 32
  - .args:
      - .offset:         0
        .size:           4
        .value_kind:     by_value
      - .offset:         4
        .size:           4
        .value_kind:     by_value
      - .offset:         8
        .size:           4
        .value_kind:     by_value
      - .offset:         12
        .size:           4
        .value_kind:     by_value
      - .offset:         16
        .size:           8
        .value_kind:     by_value
      - .offset:         24
        .size:           8
        .value_kind:     by_value
      - .address_space:  global
        .offset:         32
        .size:           8
        .value_kind:     global_buffer
      - .offset:         40
        .size:           8
        .value_kind:     by_value
      - .offset:         48
        .size:           8
        .value_kind:     by_value
      - .address_space:  global
        .offset:         56
        .size:           8
        .value_kind:     global_buffer
      - .offset:         64
        .size:           8
        .value_kind:     by_value
      - .offset:         72
        .size:           8
        .value_kind:     by_value
      - .address_space:  global
        .offset:         80
        .size:           8
        .value_kind:     global_buffer
      - .offset:         88
        .size:           8
        .value_kind:     by_value
      - .offset:         96
        .size:           8
        .value_kind:     by_value
      - .offset:         104
        .size:           4
        .value_kind:     by_value
    .group_segment_fixed_size: 4096
    .kernarg_segment_align: 8
    .kernarg_segment_size: 108
    .language:       OpenCL C
    .language_version:
      - 2
      - 0
    .max_flat_workgroup_size: 256
    .name:           _ZL23rocblas_trmm_lTx_kernelILi16ELb0E19rocblas_complex_numIfES1_KS1_S1_Ev13rocblas_fill_17rocblas_diagonal_iiT2_lPT3_llS7_llPT4_lli
    .private_segment_fixed_size: 0
    .sgpr_count:     34
    .sgpr_spill_count: 0
    .symbol:         _ZL23rocblas_trmm_lTx_kernelILi16ELb0E19rocblas_complex_numIfES1_KS1_S1_Ev13rocblas_fill_17rocblas_diagonal_iiT2_lPT3_llS7_llPT4_lli.kd
    .uniform_work_group_size: 1
    .uses_dynamic_stack: false
    .vgpr_count:     67
    .vgpr_spill_count: 0
    .wavefront_size: 32
  - .args:
      - .offset:         0
        .size:           4
        .value_kind:     by_value
      - .offset:         4
        .size:           4
        .value_kind:     by_value
      - .offset:         8
        .size:           4
        .value_kind:     by_value
      - .offset:         12
        .size:           4
        .value_kind:     by_value
      - .address_space:  global
        .offset:         16
        .size:           8
        .value_kind:     global_buffer
      - .offset:         24
        .size:           8
        .value_kind:     by_value
      - .address_space:  global
        .offset:         32
        .size:           8
        .value_kind:     global_buffer
      - .offset:         40
        .size:           8
        .value_kind:     by_value
      - .offset:         48
        .size:           8
        .value_kind:     by_value
      - .address_space:  global
        .offset:         56
        .size:           8
        .value_kind:     global_buffer
      - .offset:         64
        .size:           8
        .value_kind:     by_value
      - .offset:         72
        .size:           8
        .value_kind:     by_value
      - .address_space:  global
        .offset:         80
        .size:           8
        .value_kind:     global_buffer
      - .offset:         88
        .size:           8
        .value_kind:     by_value
      - .offset:         96
        .size:           8
        .value_kind:     by_value
      - .offset:         104
        .size:           4
        .value_kind:     by_value
    .group_segment_fixed_size: 4096
    .kernarg_segment_align: 8
    .kernarg_segment_size: 108
    .language:       OpenCL C
    .language_version:
      - 2
      - 0
    .max_flat_workgroup_size: 256
    .name:           _ZL23rocblas_trmm_lTx_kernelILi16ELb1E19rocblas_complex_numIfEPKS1_S2_S1_Ev13rocblas_fill_17rocblas_diagonal_iiT2_lPT3_llS8_llPT4_lli
    .private_segment_fixed_size: 0
    .sgpr_count:     38
    .sgpr_spill_count: 0
    .symbol:         _ZL23rocblas_trmm_lTx_kernelILi16ELb1E19rocblas_complex_numIfEPKS1_S2_S1_Ev13rocblas_fill_17rocblas_diagonal_iiT2_lPT3_llS8_llPT4_lli.kd
    .uniform_work_group_size: 1
    .uses_dynamic_stack: false
    .vgpr_count:     65
    .vgpr_spill_count: 0
    .wavefront_size: 32
  - .args:
      - .offset:         0
        .size:           4
        .value_kind:     by_value
      - .offset:         4
        .size:           4
        .value_kind:     by_value
      - .offset:         8
        .size:           4
        .value_kind:     by_value
      - .offset:         12
        .size:           4
        .value_kind:     by_value
      - .offset:         16
        .size:           8
        .value_kind:     by_value
      - .offset:         24
        .size:           8
        .value_kind:     by_value
      - .address_space:  global
        .offset:         32
        .size:           8
        .value_kind:     global_buffer
      - .offset:         40
        .size:           8
        .value_kind:     by_value
      - .offset:         48
        .size:           8
        .value_kind:     by_value
      - .address_space:  global
        .offset:         56
        .size:           8
        .value_kind:     global_buffer
      - .offset:         64
        .size:           8
        .value_kind:     by_value
      - .offset:         72
        .size:           8
        .value_kind:     by_value
      - .address_space:  global
        .offset:         80
        .size:           8
        .value_kind:     global_buffer
      - .offset:         88
        .size:           8
        .value_kind:     by_value
      - .offset:         96
        .size:           8
        .value_kind:     by_value
      - .offset:         104
        .size:           4
        .value_kind:     by_value
    .group_segment_fixed_size: 4096
    .kernarg_segment_align: 8
    .kernarg_segment_size: 108
    .language:       OpenCL C
    .language_version:
      - 2
      - 0
    .max_flat_workgroup_size: 256
    .name:           _ZL23rocblas_trmm_lTx_kernelILi16ELb1E19rocblas_complex_numIfES1_KS1_S1_Ev13rocblas_fill_17rocblas_diagonal_iiT2_lPT3_llS7_llPT4_lli
    .private_segment_fixed_size: 0
    .sgpr_count:     34
    .sgpr_spill_count: 0
    .symbol:         _ZL23rocblas_trmm_lTx_kernelILi16ELb1E19rocblas_complex_numIfES1_KS1_S1_Ev13rocblas_fill_17rocblas_diagonal_iiT2_lPT3_llS7_llPT4_lli.kd
    .uniform_work_group_size: 1
    .uses_dynamic_stack: false
    .vgpr_count:     67
    .vgpr_spill_count: 0
    .wavefront_size: 32
  - .args:
      - .offset:         0
        .size:           4
        .value_kind:     by_value
      - .offset:         4
        .size:           4
        .value_kind:     by_value
      - .offset:         8
        .size:           4
        .value_kind:     by_value
      - .offset:         12
        .size:           4
        .value_kind:     by_value
      - .address_space:  global
        .offset:         16
        .size:           8
        .value_kind:     global_buffer
      - .offset:         24
        .size:           8
        .value_kind:     by_value
      - .address_space:  global
        .offset:         32
        .size:           8
        .value_kind:     global_buffer
      - .offset:         40
        .size:           8
        .value_kind:     by_value
      - .offset:         48
        .size:           8
        .value_kind:     by_value
      - .address_space:  global
        .offset:         56
        .size:           8
        .value_kind:     global_buffer
      - .offset:         64
        .size:           8
        .value_kind:     by_value
      - .offset:         72
        .size:           8
        .value_kind:     by_value
      - .address_space:  global
        .offset:         80
        .size:           8
        .value_kind:     global_buffer
      - .offset:         88
        .size:           8
        .value_kind:     by_value
      - .offset:         96
        .size:           8
        .value_kind:     by_value
      - .offset:         104
        .size:           4
        .value_kind:     by_value
    .group_segment_fixed_size: 4096
    .kernarg_segment_align: 8
    .kernarg_segment_size: 108
    .language:       OpenCL C
    .language_version:
      - 2
      - 0
    .max_flat_workgroup_size: 256
    .name:           _ZL23rocblas_trmm_rNx_kernelILi16E19rocblas_complex_numIfEPKS1_S2_S1_Ev13rocblas_fill_17rocblas_diagonal_iiT1_lPT2_llS8_llPT3_lli
    .private_segment_fixed_size: 0
    .sgpr_count:     38
    .sgpr_spill_count: 0
    .symbol:         _ZL23rocblas_trmm_rNx_kernelILi16E19rocblas_complex_numIfEPKS1_S2_S1_Ev13rocblas_fill_17rocblas_diagonal_iiT1_lPT2_llS8_llPT3_lli.kd
    .uniform_work_group_size: 1
    .uses_dynamic_stack: false
    .vgpr_count:     67
    .vgpr_spill_count: 0
    .wavefront_size: 32
  - .args:
      - .offset:         0
        .size:           4
        .value_kind:     by_value
      - .offset:         4
        .size:           4
        .value_kind:     by_value
      - .offset:         8
        .size:           4
        .value_kind:     by_value
      - .offset:         12
        .size:           4
        .value_kind:     by_value
      - .offset:         16
        .size:           8
        .value_kind:     by_value
      - .offset:         24
        .size:           8
        .value_kind:     by_value
      - .address_space:  global
        .offset:         32
        .size:           8
        .value_kind:     global_buffer
      - .offset:         40
        .size:           8
        .value_kind:     by_value
      - .offset:         48
        .size:           8
        .value_kind:     by_value
      - .address_space:  global
        .offset:         56
        .size:           8
        .value_kind:     global_buffer
      - .offset:         64
        .size:           8
        .value_kind:     by_value
      - .offset:         72
        .size:           8
        .value_kind:     by_value
      - .address_space:  global
        .offset:         80
        .size:           8
        .value_kind:     global_buffer
      - .offset:         88
        .size:           8
        .value_kind:     by_value
      - .offset:         96
        .size:           8
        .value_kind:     by_value
      - .offset:         104
        .size:           4
        .value_kind:     by_value
    .group_segment_fixed_size: 4096
    .kernarg_segment_align: 8
    .kernarg_segment_size: 108
    .language:       OpenCL C
    .language_version:
      - 2
      - 0
    .max_flat_workgroup_size: 256
    .name:           _ZL23rocblas_trmm_rNx_kernelILi16E19rocblas_complex_numIfES1_KS1_S1_Ev13rocblas_fill_17rocblas_diagonal_iiT1_lPT2_llS7_llPT3_lli
    .private_segment_fixed_size: 0
    .sgpr_count:     34
    .sgpr_spill_count: 0
    .symbol:         _ZL23rocblas_trmm_rNx_kernelILi16E19rocblas_complex_numIfES1_KS1_S1_Ev13rocblas_fill_17rocblas_diagonal_iiT1_lPT2_llS7_llPT3_lli.kd
    .uniform_work_group_size: 1
    .uses_dynamic_stack: false
    .vgpr_count:     64
    .vgpr_spill_count: 0
    .wavefront_size: 32
  - .args:
      - .offset:         0
        .size:           4
        .value_kind:     by_value
      - .offset:         4
        .size:           4
        .value_kind:     by_value
      - .offset:         8
        .size:           4
        .value_kind:     by_value
      - .offset:         12
        .size:           4
        .value_kind:     by_value
      - .address_space:  global
        .offset:         16
        .size:           8
        .value_kind:     global_buffer
      - .offset:         24
        .size:           8
        .value_kind:     by_value
      - .address_space:  global
        .offset:         32
        .size:           8
        .value_kind:     global_buffer
      - .offset:         40
        .size:           8
        .value_kind:     by_value
      - .offset:         48
        .size:           8
        .value_kind:     by_value
      - .address_space:  global
        .offset:         56
        .size:           8
        .value_kind:     global_buffer
      - .offset:         64
        .size:           8
        .value_kind:     by_value
      - .offset:         72
        .size:           8
        .value_kind:     by_value
      - .address_space:  global
        .offset:         80
        .size:           8
        .value_kind:     global_buffer
      - .offset:         88
        .size:           8
        .value_kind:     by_value
      - .offset:         96
        .size:           8
        .value_kind:     by_value
      - .offset:         104
        .size:           4
        .value_kind:     by_value
    .group_segment_fixed_size: 4096
    .kernarg_segment_align: 8
    .kernarg_segment_size: 108
    .language:       OpenCL C
    .language_version:
      - 2
      - 0
    .max_flat_workgroup_size: 256
    .name:           _ZL23rocblas_trmm_rTx_kernelILi16ELb0E19rocblas_complex_numIfEPKS1_S2_S1_Ev13rocblas_fill_17rocblas_diagonal_iiT2_lPT3_llS8_llPT4_lli
    .private_segment_fixed_size: 0
    .sgpr_count:     38
    .sgpr_spill_count: 0
    .symbol:         _ZL23rocblas_trmm_rTx_kernelILi16ELb0E19rocblas_complex_numIfEPKS1_S2_S1_Ev13rocblas_fill_17rocblas_diagonal_iiT2_lPT3_llS8_llPT4_lli.kd
    .uniform_work_group_size: 1
    .uses_dynamic_stack: false
    .vgpr_count:     67
    .vgpr_spill_count: 0
    .wavefront_size: 32
  - .args:
      - .offset:         0
        .size:           4
        .value_kind:     by_value
      - .offset:         4
        .size:           4
        .value_kind:     by_value
      - .offset:         8
        .size:           4
        .value_kind:     by_value
      - .offset:         12
        .size:           4
        .value_kind:     by_value
      - .offset:         16
        .size:           8
        .value_kind:     by_value
      - .offset:         24
        .size:           8
        .value_kind:     by_value
      - .address_space:  global
        .offset:         32
        .size:           8
        .value_kind:     global_buffer
      - .offset:         40
        .size:           8
        .value_kind:     by_value
      - .offset:         48
        .size:           8
        .value_kind:     by_value
      - .address_space:  global
        .offset:         56
        .size:           8
        .value_kind:     global_buffer
      - .offset:         64
        .size:           8
        .value_kind:     by_value
      - .offset:         72
        .size:           8
        .value_kind:     by_value
      - .address_space:  global
        .offset:         80
        .size:           8
        .value_kind:     global_buffer
      - .offset:         88
        .size:           8
        .value_kind:     by_value
      - .offset:         96
        .size:           8
        .value_kind:     by_value
      - .offset:         104
        .size:           4
        .value_kind:     by_value
    .group_segment_fixed_size: 4096
    .kernarg_segment_align: 8
    .kernarg_segment_size: 108
    .language:       OpenCL C
    .language_version:
      - 2
      - 0
    .max_flat_workgroup_size: 256
    .name:           _ZL23rocblas_trmm_rTx_kernelILi16ELb0E19rocblas_complex_numIfES1_KS1_S1_Ev13rocblas_fill_17rocblas_diagonal_iiT2_lPT3_llS7_llPT4_lli
    .private_segment_fixed_size: 0
    .sgpr_count:     34
    .sgpr_spill_count: 0
    .symbol:         _ZL23rocblas_trmm_rTx_kernelILi16ELb0E19rocblas_complex_numIfES1_KS1_S1_Ev13rocblas_fill_17rocblas_diagonal_iiT2_lPT3_llS7_llPT4_lli.kd
    .uniform_work_group_size: 1
    .uses_dynamic_stack: false
    .vgpr_count:     64
    .vgpr_spill_count: 0
    .wavefront_size: 32
  - .args:
      - .offset:         0
        .size:           4
        .value_kind:     by_value
      - .offset:         4
        .size:           4
        .value_kind:     by_value
      - .offset:         8
        .size:           4
        .value_kind:     by_value
      - .offset:         12
        .size:           4
        .value_kind:     by_value
      - .address_space:  global
        .offset:         16
        .size:           8
        .value_kind:     global_buffer
      - .offset:         24
        .size:           8
        .value_kind:     by_value
      - .address_space:  global
        .offset:         32
        .size:           8
        .value_kind:     global_buffer
      - .offset:         40
        .size:           8
        .value_kind:     by_value
      - .offset:         48
        .size:           8
        .value_kind:     by_value
      - .address_space:  global
        .offset:         56
        .size:           8
        .value_kind:     global_buffer
      - .offset:         64
        .size:           8
        .value_kind:     by_value
      - .offset:         72
        .size:           8
        .value_kind:     by_value
      - .address_space:  global
        .offset:         80
        .size:           8
        .value_kind:     global_buffer
      - .offset:         88
        .size:           8
        .value_kind:     by_value
      - .offset:         96
        .size:           8
        .value_kind:     by_value
      - .offset:         104
        .size:           4
        .value_kind:     by_value
    .group_segment_fixed_size: 4096
    .kernarg_segment_align: 8
    .kernarg_segment_size: 108
    .language:       OpenCL C
    .language_version:
      - 2
      - 0
    .max_flat_workgroup_size: 256
    .name:           _ZL23rocblas_trmm_rTx_kernelILi16ELb1E19rocblas_complex_numIfEPKS1_S2_S1_Ev13rocblas_fill_17rocblas_diagonal_iiT2_lPT3_llS8_llPT4_lli
    .private_segment_fixed_size: 0
    .sgpr_count:     38
    .sgpr_spill_count: 0
    .symbol:         _ZL23rocblas_trmm_rTx_kernelILi16ELb1E19rocblas_complex_numIfEPKS1_S2_S1_Ev13rocblas_fill_17rocblas_diagonal_iiT2_lPT3_llS8_llPT4_lli.kd
    .uniform_work_group_size: 1
    .uses_dynamic_stack: false
    .vgpr_count:     67
    .vgpr_spill_count: 0
    .wavefront_size: 32
  - .args:
      - .offset:         0
        .size:           4
        .value_kind:     by_value
      - .offset:         4
        .size:           4
        .value_kind:     by_value
      - .offset:         8
        .size:           4
        .value_kind:     by_value
      - .offset:         12
        .size:           4
        .value_kind:     by_value
      - .offset:         16
        .size:           8
        .value_kind:     by_value
      - .offset:         24
        .size:           8
        .value_kind:     by_value
      - .address_space:  global
        .offset:         32
        .size:           8
        .value_kind:     global_buffer
      - .offset:         40
        .size:           8
        .value_kind:     by_value
      - .offset:         48
        .size:           8
        .value_kind:     by_value
      - .address_space:  global
        .offset:         56
        .size:           8
        .value_kind:     global_buffer
      - .offset:         64
        .size:           8
        .value_kind:     by_value
      - .offset:         72
        .size:           8
        .value_kind:     by_value
      - .address_space:  global
        .offset:         80
        .size:           8
        .value_kind:     global_buffer
      - .offset:         88
        .size:           8
        .value_kind:     by_value
      - .offset:         96
        .size:           8
        .value_kind:     by_value
      - .offset:         104
        .size:           4
        .value_kind:     by_value
    .group_segment_fixed_size: 4096
    .kernarg_segment_align: 8
    .kernarg_segment_size: 108
    .language:       OpenCL C
    .language_version:
      - 2
      - 0
    .max_flat_workgroup_size: 256
    .name:           _ZL23rocblas_trmm_rTx_kernelILi16ELb1E19rocblas_complex_numIfES1_KS1_S1_Ev13rocblas_fill_17rocblas_diagonal_iiT2_lPT3_llS7_llPT4_lli
    .private_segment_fixed_size: 0
    .sgpr_count:     34
    .sgpr_spill_count: 0
    .symbol:         _ZL23rocblas_trmm_rTx_kernelILi16ELb1E19rocblas_complex_numIfES1_KS1_S1_Ev13rocblas_fill_17rocblas_diagonal_iiT2_lPT3_llS7_llPT4_lli.kd
    .uniform_work_group_size: 1
    .uses_dynamic_stack: false
    .vgpr_count:     64
    .vgpr_spill_count: 0
    .wavefront_size: 32
  - .args:
      - .offset:         0
        .size:           4
        .value_kind:     by_value
      - .offset:         4
        .size:           4
        .value_kind:     by_value
      - .offset:         8
        .size:           4
        .value_kind:     by_value
      - .address_space:  global
        .offset:         16
        .size:           8
        .value_kind:     global_buffer
      - .offset:         24
        .size:           8
        .value_kind:     by_value
      - .address_space:  global
        .offset:         32
        .size:           8
        .value_kind:     global_buffer
      - .offset:         40
        .size:           8
        .value_kind:     by_value
      - .offset:         48
        .size:           8
        .value_kind:     by_value
      - .offset:         56
        .size:           8
        .value_kind:     by_value
      - .address_space:  global
        .offset:         64
        .size:           8
        .value_kind:     global_buffer
      - .offset:         72
        .size:           8
        .value_kind:     by_value
      - .offset:         80
        .size:           8
        .value_kind:     by_value
      - .offset:         88
        .size:           8
        .value_kind:     by_value
      - .address_space:  global
        .offset:         96
        .size:           8
        .value_kind:     global_buffer
      - .offset:         104
        .size:           8
        .value_kind:     by_value
      - .offset:         112
        .size:           8
        .value_kind:     by_value
      - .offset:         120
        .size:           8
        .value_kind:     by_value
      - .offset:         128
        .size:           4
        .value_kind:     by_value
      - .offset:         136
        .size:           4
        .value_kind:     hidden_block_count_x
      - .offset:         140
        .size:           4
        .value_kind:     hidden_block_count_y
      - .offset:         144
        .size:           4
        .value_kind:     hidden_block_count_z
      - .offset:         148
        .size:           2
        .value_kind:     hidden_group_size_x
      - .offset:         150
        .size:           2
        .value_kind:     hidden_group_size_y
      - .offset:         152
        .size:           2
        .value_kind:     hidden_group_size_z
      - .offset:         154
        .size:           2
        .value_kind:     hidden_remainder_x
      - .offset:         156
        .size:           2
        .value_kind:     hidden_remainder_y
      - .offset:         158
        .size:           2
        .value_kind:     hidden_remainder_z
      - .offset:         176
        .size:           8
        .value_kind:     hidden_global_offset_x
      - .offset:         184
        .size:           8
        .value_kind:     hidden_global_offset_y
      - .offset:         192
        .size:           8
        .value_kind:     hidden_global_offset_z
      - .offset:         200
        .size:           2
        .value_kind:     hidden_grid_dims
    .group_segment_fixed_size: 32768
    .kernarg_segment_align: 8
    .kernarg_segment_size: 392
    .language:       OpenCL C
    .language_version:
      - 2
      - 0
    .max_flat_workgroup_size: 1024
    .name:           _ZL30rocblas_trmm_outofplace_kernelI19rocblas_complex_numIdELi32ELi2ELb1ELb0ELb0ELb0EPKS1_S2_S1_Ev17rocblas_diagonal_iiT6_lPT7_lllS7_lllPT8_llli
    .private_segment_fixed_size: 0
    .sgpr_count:     60
    .sgpr_spill_count: 0
    .symbol:         _ZL30rocblas_trmm_outofplace_kernelI19rocblas_complex_numIdELi32ELi2ELb1ELb0ELb0ELb0EPKS1_S2_S1_Ev17rocblas_diagonal_iiT6_lPT7_lllS7_lllPT8_llli.kd
    .uniform_work_group_size: 1
    .uses_dynamic_stack: false
    .vgpr_count:     96
    .vgpr_spill_count: 0
    .wavefront_size: 32
  - .args:
      - .offset:         0
        .size:           4
        .value_kind:     by_value
      - .offset:         4
        .size:           4
        .value_kind:     by_value
      - .offset:         8
        .size:           4
        .value_kind:     by_value
      - .offset:         16
        .size:           16
        .value_kind:     by_value
      - .offset:         32
        .size:           8
        .value_kind:     by_value
      - .address_space:  global
        .offset:         40
        .size:           8
        .value_kind:     global_buffer
      - .offset:         48
        .size:           8
        .value_kind:     by_value
      - .offset:         56
        .size:           8
        .value_kind:     by_value
      - .offset:         64
        .size:           8
        .value_kind:     by_value
      - .address_space:  global
        .offset:         72
        .size:           8
        .value_kind:     global_buffer
      - .offset:         80
        .size:           8
        .value_kind:     by_value
      - .offset:         88
        .size:           8
        .value_kind:     by_value
      - .offset:         96
        .size:           8
        .value_kind:     by_value
      - .address_space:  global
        .offset:         104
        .size:           8
        .value_kind:     global_buffer
      - .offset:         112
        .size:           8
        .value_kind:     by_value
      - .offset:         120
        .size:           8
        .value_kind:     by_value
      - .offset:         128
        .size:           8
        .value_kind:     by_value
      - .offset:         136
        .size:           4
        .value_kind:     by_value
      - .offset:         144
        .size:           4
        .value_kind:     hidden_block_count_x
      - .offset:         148
        .size:           4
        .value_kind:     hidden_block_count_y
      - .offset:         152
        .size:           4
        .value_kind:     hidden_block_count_z
      - .offset:         156
        .size:           2
        .value_kind:     hidden_group_size_x
      - .offset:         158
        .size:           2
        .value_kind:     hidden_group_size_y
      - .offset:         160
        .size:           2
        .value_kind:     hidden_group_size_z
      - .offset:         162
        .size:           2
        .value_kind:     hidden_remainder_x
      - .offset:         164
        .size:           2
        .value_kind:     hidden_remainder_y
      - .offset:         166
        .size:           2
        .value_kind:     hidden_remainder_z
      - .offset:         184
        .size:           8
        .value_kind:     hidden_global_offset_x
      - .offset:         192
        .size:           8
        .value_kind:     hidden_global_offset_y
      - .offset:         200
        .size:           8
        .value_kind:     hidden_global_offset_z
      - .offset:         208
        .size:           2
        .value_kind:     hidden_grid_dims
    .group_segment_fixed_size: 32768
    .kernarg_segment_align: 8
    .kernarg_segment_size: 400
    .language:       OpenCL C
    .language_version:
      - 2
      - 0
    .max_flat_workgroup_size: 1024
    .name:           _ZL30rocblas_trmm_outofplace_kernelI19rocblas_complex_numIdELi32ELi2ELb1ELb0ELb0ELb0ES1_KS1_S1_Ev17rocblas_diagonal_iiT6_lPT7_lllS6_lllPT8_llli
    .private_segment_fixed_size: 0
    .sgpr_count:     60
    .sgpr_spill_count: 0
    .symbol:         _ZL30rocblas_trmm_outofplace_kernelI19rocblas_complex_numIdELi32ELi2ELb1ELb0ELb0ELb0ES1_KS1_S1_Ev17rocblas_diagonal_iiT6_lPT7_lllS6_lllPT8_llli.kd
    .uniform_work_group_size: 1
    .uses_dynamic_stack: false
    .vgpr_count:     100
    .vgpr_spill_count: 0
    .wavefront_size: 32
  - .args:
      - .offset:         0
        .size:           4
        .value_kind:     by_value
      - .offset:         4
        .size:           4
        .value_kind:     by_value
      - .offset:         8
        .size:           4
        .value_kind:     by_value
      - .address_space:  global
        .offset:         16
        .size:           8
        .value_kind:     global_buffer
      - .offset:         24
        .size:           8
        .value_kind:     by_value
      - .address_space:  global
        .offset:         32
        .size:           8
        .value_kind:     global_buffer
      - .offset:         40
        .size:           8
        .value_kind:     by_value
      - .offset:         48
        .size:           8
        .value_kind:     by_value
      - .offset:         56
        .size:           8
        .value_kind:     by_value
      - .address_space:  global
        .offset:         64
        .size:           8
        .value_kind:     global_buffer
      - .offset:         72
        .size:           8
        .value_kind:     by_value
      - .offset:         80
        .size:           8
        .value_kind:     by_value
      - .offset:         88
        .size:           8
        .value_kind:     by_value
      - .address_space:  global
        .offset:         96
        .size:           8
        .value_kind:     global_buffer
      - .offset:         104
        .size:           8
        .value_kind:     by_value
      - .offset:         112
        .size:           8
        .value_kind:     by_value
      - .offset:         120
        .size:           8
        .value_kind:     by_value
      - .offset:         128
        .size:           4
        .value_kind:     by_value
      - .offset:         136
        .size:           4
        .value_kind:     hidden_block_count_x
      - .offset:         140
        .size:           4
        .value_kind:     hidden_block_count_y
      - .offset:         144
        .size:           4
        .value_kind:     hidden_block_count_z
      - .offset:         148
        .size:           2
        .value_kind:     hidden_group_size_x
      - .offset:         150
        .size:           2
        .value_kind:     hidden_group_size_y
      - .offset:         152
        .size:           2
        .value_kind:     hidden_group_size_z
      - .offset:         154
        .size:           2
        .value_kind:     hidden_remainder_x
      - .offset:         156
        .size:           2
        .value_kind:     hidden_remainder_y
      - .offset:         158
        .size:           2
        .value_kind:     hidden_remainder_z
      - .offset:         176
        .size:           8
        .value_kind:     hidden_global_offset_x
      - .offset:         184
        .size:           8
        .value_kind:     hidden_global_offset_y
      - .offset:         192
        .size:           8
        .value_kind:     hidden_global_offset_z
      - .offset:         200
        .size:           2
        .value_kind:     hidden_grid_dims
    .group_segment_fixed_size: 32768
    .kernarg_segment_align: 8
    .kernarg_segment_size: 392
    .language:       OpenCL C
    .language_version:
      - 2
      - 0
    .max_flat_workgroup_size: 1024
    .name:           _ZL30rocblas_trmm_outofplace_kernelI19rocblas_complex_numIdELi32ELi2ELb1ELb1ELb0ELb0EPKS1_S2_S1_Ev17rocblas_diagonal_iiT6_lPT7_lllS7_lllPT8_llli
    .private_segment_fixed_size: 0
    .sgpr_count:     64
    .sgpr_spill_count: 0
    .symbol:         _ZL30rocblas_trmm_outofplace_kernelI19rocblas_complex_numIdELi32ELi2ELb1ELb1ELb0ELb0EPKS1_S2_S1_Ev17rocblas_diagonal_iiT6_lPT7_lllS7_lllPT8_llli.kd
    .uniform_work_group_size: 1
    .uses_dynamic_stack: false
    .vgpr_count:     96
    .vgpr_spill_count: 0
    .wavefront_size: 32
  - .args:
      - .offset:         0
        .size:           4
        .value_kind:     by_value
      - .offset:         4
        .size:           4
        .value_kind:     by_value
      - .offset:         8
        .size:           4
        .value_kind:     by_value
      - .offset:         16
        .size:           16
        .value_kind:     by_value
      - .offset:         32
        .size:           8
        .value_kind:     by_value
      - .address_space:  global
        .offset:         40
        .size:           8
        .value_kind:     global_buffer
      - .offset:         48
        .size:           8
        .value_kind:     by_value
      - .offset:         56
        .size:           8
        .value_kind:     by_value
      - .offset:         64
        .size:           8
        .value_kind:     by_value
      - .address_space:  global
        .offset:         72
        .size:           8
        .value_kind:     global_buffer
      - .offset:         80
        .size:           8
        .value_kind:     by_value
      - .offset:         88
        .size:           8
        .value_kind:     by_value
      - .offset:         96
        .size:           8
        .value_kind:     by_value
      - .address_space:  global
        .offset:         104
        .size:           8
        .value_kind:     global_buffer
      - .offset:         112
        .size:           8
        .value_kind:     by_value
      - .offset:         120
        .size:           8
        .value_kind:     by_value
      - .offset:         128
        .size:           8
        .value_kind:     by_value
      - .offset:         136
        .size:           4
        .value_kind:     by_value
      - .offset:         144
        .size:           4
        .value_kind:     hidden_block_count_x
      - .offset:         148
        .size:           4
        .value_kind:     hidden_block_count_y
      - .offset:         152
        .size:           4
        .value_kind:     hidden_block_count_z
      - .offset:         156
        .size:           2
        .value_kind:     hidden_group_size_x
      - .offset:         158
        .size:           2
        .value_kind:     hidden_group_size_y
      - .offset:         160
        .size:           2
        .value_kind:     hidden_group_size_z
      - .offset:         162
        .size:           2
        .value_kind:     hidden_remainder_x
      - .offset:         164
        .size:           2
        .value_kind:     hidden_remainder_y
      - .offset:         166
        .size:           2
        .value_kind:     hidden_remainder_z
      - .offset:         184
        .size:           8
        .value_kind:     hidden_global_offset_x
      - .offset:         192
        .size:           8
        .value_kind:     hidden_global_offset_y
      - .offset:         200
        .size:           8
        .value_kind:     hidden_global_offset_z
      - .offset:         208
        .size:           2
        .value_kind:     hidden_grid_dims
    .group_segment_fixed_size: 32768
    .kernarg_segment_align: 8
    .kernarg_segment_size: 400
    .language:       OpenCL C
    .language_version:
      - 2
      - 0
    .max_flat_workgroup_size: 1024
    .name:           _ZL30rocblas_trmm_outofplace_kernelI19rocblas_complex_numIdELi32ELi2ELb1ELb1ELb0ELb0ES1_KS1_S1_Ev17rocblas_diagonal_iiT6_lPT7_lllS6_lllPT8_llli
    .private_segment_fixed_size: 0
    .sgpr_count:     64
    .sgpr_spill_count: 0
    .symbol:         _ZL30rocblas_trmm_outofplace_kernelI19rocblas_complex_numIdELi32ELi2ELb1ELb1ELb0ELb0ES1_KS1_S1_Ev17rocblas_diagonal_iiT6_lPT7_lllS6_lllPT8_llli.kd
    .uniform_work_group_size: 1
    .uses_dynamic_stack: false
    .vgpr_count:     96
    .vgpr_spill_count: 0
    .wavefront_size: 32
  - .args:
      - .offset:         0
        .size:           4
        .value_kind:     by_value
      - .offset:         4
        .size:           4
        .value_kind:     by_value
      - .offset:         8
        .size:           4
        .value_kind:     by_value
      - .address_space:  global
        .offset:         16
        .size:           8
        .value_kind:     global_buffer
      - .offset:         24
        .size:           8
        .value_kind:     by_value
      - .address_space:  global
        .offset:         32
        .size:           8
        .value_kind:     global_buffer
      - .offset:         40
        .size:           8
        .value_kind:     by_value
      - .offset:         48
        .size:           8
        .value_kind:     by_value
      - .offset:         56
        .size:           8
        .value_kind:     by_value
      - .address_space:  global
        .offset:         64
        .size:           8
        .value_kind:     global_buffer
      - .offset:         72
        .size:           8
        .value_kind:     by_value
      - .offset:         80
        .size:           8
        .value_kind:     by_value
      - .offset:         88
        .size:           8
        .value_kind:     by_value
      - .address_space:  global
        .offset:         96
        .size:           8
        .value_kind:     global_buffer
      - .offset:         104
        .size:           8
        .value_kind:     by_value
      - .offset:         112
        .size:           8
        .value_kind:     by_value
      - .offset:         120
        .size:           8
        .value_kind:     by_value
      - .offset:         128
        .size:           4
        .value_kind:     by_value
      - .offset:         136
        .size:           4
        .value_kind:     hidden_block_count_x
      - .offset:         140
        .size:           4
        .value_kind:     hidden_block_count_y
      - .offset:         144
        .size:           4
        .value_kind:     hidden_block_count_z
      - .offset:         148
        .size:           2
        .value_kind:     hidden_group_size_x
      - .offset:         150
        .size:           2
        .value_kind:     hidden_group_size_y
      - .offset:         152
        .size:           2
        .value_kind:     hidden_group_size_z
      - .offset:         154
        .size:           2
        .value_kind:     hidden_remainder_x
      - .offset:         156
        .size:           2
        .value_kind:     hidden_remainder_y
      - .offset:         158
        .size:           2
        .value_kind:     hidden_remainder_z
      - .offset:         176
        .size:           8
        .value_kind:     hidden_global_offset_x
      - .offset:         184
        .size:           8
        .value_kind:     hidden_global_offset_y
      - .offset:         192
        .size:           8
        .value_kind:     hidden_global_offset_z
      - .offset:         200
        .size:           2
        .value_kind:     hidden_grid_dims
    .group_segment_fixed_size: 32768
    .kernarg_segment_align: 8
    .kernarg_segment_size: 392
    .language:       OpenCL C
    .language_version:
      - 2
      - 0
    .max_flat_workgroup_size: 1024
    .name:           _ZL30rocblas_trmm_outofplace_kernelI19rocblas_complex_numIdELi32ELi2ELb1ELb0ELb1ELb0EPKS1_S2_S1_Ev17rocblas_diagonal_iiT6_lPT7_lllS7_lllPT8_llli
    .private_segment_fixed_size: 0
    .sgpr_count:     60
    .sgpr_spill_count: 0
    .symbol:         _ZL30rocblas_trmm_outofplace_kernelI19rocblas_complex_numIdELi32ELi2ELb1ELb0ELb1ELb0EPKS1_S2_S1_Ev17rocblas_diagonal_iiT6_lPT7_lllS7_lllPT8_llli.kd
    .uniform_work_group_size: 1
    .uses_dynamic_stack: false
    .vgpr_count:     96
    .vgpr_spill_count: 0
    .wavefront_size: 32
  - .args:
      - .offset:         0
        .size:           4
        .value_kind:     by_value
      - .offset:         4
        .size:           4
        .value_kind:     by_value
      - .offset:         8
        .size:           4
        .value_kind:     by_value
      - .offset:         16
        .size:           16
        .value_kind:     by_value
      - .offset:         32
        .size:           8
        .value_kind:     by_value
      - .address_space:  global
        .offset:         40
        .size:           8
        .value_kind:     global_buffer
      - .offset:         48
        .size:           8
        .value_kind:     by_value
      - .offset:         56
        .size:           8
        .value_kind:     by_value
      - .offset:         64
        .size:           8
        .value_kind:     by_value
      - .address_space:  global
        .offset:         72
        .size:           8
        .value_kind:     global_buffer
      - .offset:         80
        .size:           8
        .value_kind:     by_value
      - .offset:         88
        .size:           8
        .value_kind:     by_value
      - .offset:         96
        .size:           8
        .value_kind:     by_value
      - .address_space:  global
        .offset:         104
        .size:           8
        .value_kind:     global_buffer
      - .offset:         112
        .size:           8
        .value_kind:     by_value
      - .offset:         120
        .size:           8
        .value_kind:     by_value
      - .offset:         128
        .size:           8
        .value_kind:     by_value
      - .offset:         136
        .size:           4
        .value_kind:     by_value
      - .offset:         144
        .size:           4
        .value_kind:     hidden_block_count_x
      - .offset:         148
        .size:           4
        .value_kind:     hidden_block_count_y
      - .offset:         152
        .size:           4
        .value_kind:     hidden_block_count_z
      - .offset:         156
        .size:           2
        .value_kind:     hidden_group_size_x
      - .offset:         158
        .size:           2
        .value_kind:     hidden_group_size_y
      - .offset:         160
        .size:           2
        .value_kind:     hidden_group_size_z
      - .offset:         162
        .size:           2
        .value_kind:     hidden_remainder_x
      - .offset:         164
        .size:           2
        .value_kind:     hidden_remainder_y
      - .offset:         166
        .size:           2
        .value_kind:     hidden_remainder_z
      - .offset:         184
        .size:           8
        .value_kind:     hidden_global_offset_x
      - .offset:         192
        .size:           8
        .value_kind:     hidden_global_offset_y
      - .offset:         200
        .size:           8
        .value_kind:     hidden_global_offset_z
      - .offset:         208
        .size:           2
        .value_kind:     hidden_grid_dims
    .group_segment_fixed_size: 32768
    .kernarg_segment_align: 8
    .kernarg_segment_size: 400
    .language:       OpenCL C
    .language_version:
      - 2
      - 0
    .max_flat_workgroup_size: 1024
    .name:           _ZL30rocblas_trmm_outofplace_kernelI19rocblas_complex_numIdELi32ELi2ELb1ELb0ELb1ELb0ES1_KS1_S1_Ev17rocblas_diagonal_iiT6_lPT7_lllS6_lllPT8_llli
    .private_segment_fixed_size: 0
    .sgpr_count:     60
    .sgpr_spill_count: 0
    .symbol:         _ZL30rocblas_trmm_outofplace_kernelI19rocblas_complex_numIdELi32ELi2ELb1ELb0ELb1ELb0ES1_KS1_S1_Ev17rocblas_diagonal_iiT6_lPT7_lllS6_lllPT8_llli.kd
    .uniform_work_group_size: 1
    .uses_dynamic_stack: false
    .vgpr_count:     92
    .vgpr_spill_count: 0
    .wavefront_size: 32
  - .args:
      - .offset:         0
        .size:           4
        .value_kind:     by_value
      - .offset:         4
        .size:           4
        .value_kind:     by_value
      - .offset:         8
        .size:           4
        .value_kind:     by_value
      - .address_space:  global
        .offset:         16
        .size:           8
        .value_kind:     global_buffer
      - .offset:         24
        .size:           8
        .value_kind:     by_value
      - .address_space:  global
        .offset:         32
        .size:           8
        .value_kind:     global_buffer
      - .offset:         40
        .size:           8
        .value_kind:     by_value
      - .offset:         48
        .size:           8
        .value_kind:     by_value
      - .offset:         56
        .size:           8
        .value_kind:     by_value
      - .address_space:  global
        .offset:         64
        .size:           8
        .value_kind:     global_buffer
      - .offset:         72
        .size:           8
        .value_kind:     by_value
      - .offset:         80
        .size:           8
        .value_kind:     by_value
      - .offset:         88
        .size:           8
        .value_kind:     by_value
      - .address_space:  global
        .offset:         96
        .size:           8
        .value_kind:     global_buffer
      - .offset:         104
        .size:           8
        .value_kind:     by_value
      - .offset:         112
        .size:           8
        .value_kind:     by_value
      - .offset:         120
        .size:           8
        .value_kind:     by_value
      - .offset:         128
        .size:           4
        .value_kind:     by_value
      - .offset:         136
        .size:           4
        .value_kind:     hidden_block_count_x
      - .offset:         140
        .size:           4
        .value_kind:     hidden_block_count_y
      - .offset:         144
        .size:           4
        .value_kind:     hidden_block_count_z
      - .offset:         148
        .size:           2
        .value_kind:     hidden_group_size_x
      - .offset:         150
        .size:           2
        .value_kind:     hidden_group_size_y
      - .offset:         152
        .size:           2
        .value_kind:     hidden_group_size_z
      - .offset:         154
        .size:           2
        .value_kind:     hidden_remainder_x
      - .offset:         156
        .size:           2
        .value_kind:     hidden_remainder_y
      - .offset:         158
        .size:           2
        .value_kind:     hidden_remainder_z
      - .offset:         176
        .size:           8
        .value_kind:     hidden_global_offset_x
      - .offset:         184
        .size:           8
        .value_kind:     hidden_global_offset_y
      - .offset:         192
        .size:           8
        .value_kind:     hidden_global_offset_z
      - .offset:         200
        .size:           2
        .value_kind:     hidden_grid_dims
    .group_segment_fixed_size: 32768
    .kernarg_segment_align: 8
    .kernarg_segment_size: 392
    .language:       OpenCL C
    .language_version:
      - 2
      - 0
    .max_flat_workgroup_size: 1024
    .name:           _ZL30rocblas_trmm_outofplace_kernelI19rocblas_complex_numIdELi32ELi2ELb1ELb1ELb1ELb0EPKS1_S2_S1_Ev17rocblas_diagonal_iiT6_lPT7_lllS7_lllPT8_llli
    .private_segment_fixed_size: 0
    .sgpr_count:     60
    .sgpr_spill_count: 0
    .symbol:         _ZL30rocblas_trmm_outofplace_kernelI19rocblas_complex_numIdELi32ELi2ELb1ELb1ELb1ELb0EPKS1_S2_S1_Ev17rocblas_diagonal_iiT6_lPT7_lllS7_lllPT8_llli.kd
    .uniform_work_group_size: 1
    .uses_dynamic_stack: false
    .vgpr_count:     100
    .vgpr_spill_count: 0
    .wavefront_size: 32
  - .args:
      - .offset:         0
        .size:           4
        .value_kind:     by_value
      - .offset:         4
        .size:           4
        .value_kind:     by_value
      - .offset:         8
        .size:           4
        .value_kind:     by_value
      - .offset:         16
        .size:           16
        .value_kind:     by_value
      - .offset:         32
        .size:           8
        .value_kind:     by_value
      - .address_space:  global
        .offset:         40
        .size:           8
        .value_kind:     global_buffer
      - .offset:         48
        .size:           8
        .value_kind:     by_value
      - .offset:         56
        .size:           8
        .value_kind:     by_value
      - .offset:         64
        .size:           8
        .value_kind:     by_value
      - .address_space:  global
        .offset:         72
        .size:           8
        .value_kind:     global_buffer
      - .offset:         80
        .size:           8
        .value_kind:     by_value
      - .offset:         88
        .size:           8
        .value_kind:     by_value
      - .offset:         96
        .size:           8
        .value_kind:     by_value
      - .address_space:  global
        .offset:         104
        .size:           8
        .value_kind:     global_buffer
      - .offset:         112
        .size:           8
        .value_kind:     by_value
      - .offset:         120
        .size:           8
        .value_kind:     by_value
      - .offset:         128
        .size:           8
        .value_kind:     by_value
      - .offset:         136
        .size:           4
        .value_kind:     by_value
      - .offset:         144
        .size:           4
        .value_kind:     hidden_block_count_x
      - .offset:         148
        .size:           4
        .value_kind:     hidden_block_count_y
      - .offset:         152
        .size:           4
        .value_kind:     hidden_block_count_z
      - .offset:         156
        .size:           2
        .value_kind:     hidden_group_size_x
      - .offset:         158
        .size:           2
        .value_kind:     hidden_group_size_y
      - .offset:         160
        .size:           2
        .value_kind:     hidden_group_size_z
      - .offset:         162
        .size:           2
        .value_kind:     hidden_remainder_x
      - .offset:         164
        .size:           2
        .value_kind:     hidden_remainder_y
      - .offset:         166
        .size:           2
        .value_kind:     hidden_remainder_z
      - .offset:         184
        .size:           8
        .value_kind:     hidden_global_offset_x
      - .offset:         192
        .size:           8
        .value_kind:     hidden_global_offset_y
      - .offset:         200
        .size:           8
        .value_kind:     hidden_global_offset_z
      - .offset:         208
        .size:           2
        .value_kind:     hidden_grid_dims
    .group_segment_fixed_size: 32768
    .kernarg_segment_align: 8
    .kernarg_segment_size: 400
    .language:       OpenCL C
    .language_version:
      - 2
      - 0
    .max_flat_workgroup_size: 1024
    .name:           _ZL30rocblas_trmm_outofplace_kernelI19rocblas_complex_numIdELi32ELi2ELb1ELb1ELb1ELb0ES1_KS1_S1_Ev17rocblas_diagonal_iiT6_lPT7_lllS6_lllPT8_llli
    .private_segment_fixed_size: 0
    .sgpr_count:     60
    .sgpr_spill_count: 0
    .symbol:         _ZL30rocblas_trmm_outofplace_kernelI19rocblas_complex_numIdELi32ELi2ELb1ELb1ELb1ELb0ES1_KS1_S1_Ev17rocblas_diagonal_iiT6_lPT7_lllS6_lllPT8_llli.kd
    .uniform_work_group_size: 1
    .uses_dynamic_stack: false
    .vgpr_count:     98
    .vgpr_spill_count: 0
    .wavefront_size: 32
  - .args:
      - .offset:         0
        .size:           4
        .value_kind:     by_value
      - .offset:         4
        .size:           4
        .value_kind:     by_value
      - .offset:         8
        .size:           4
        .value_kind:     by_value
      - .address_space:  global
        .offset:         16
        .size:           8
        .value_kind:     global_buffer
      - .offset:         24
        .size:           8
        .value_kind:     by_value
      - .address_space:  global
        .offset:         32
        .size:           8
        .value_kind:     global_buffer
      - .offset:         40
        .size:           8
        .value_kind:     by_value
      - .offset:         48
        .size:           8
        .value_kind:     by_value
      - .offset:         56
        .size:           8
        .value_kind:     by_value
      - .address_space:  global
        .offset:         64
        .size:           8
        .value_kind:     global_buffer
      - .offset:         72
        .size:           8
        .value_kind:     by_value
      - .offset:         80
        .size:           8
        .value_kind:     by_value
      - .offset:         88
        .size:           8
        .value_kind:     by_value
      - .address_space:  global
        .offset:         96
        .size:           8
        .value_kind:     global_buffer
      - .offset:         104
        .size:           8
        .value_kind:     by_value
      - .offset:         112
        .size:           8
        .value_kind:     by_value
      - .offset:         120
        .size:           8
        .value_kind:     by_value
      - .offset:         128
        .size:           4
        .value_kind:     by_value
      - .offset:         136
        .size:           4
        .value_kind:     hidden_block_count_x
      - .offset:         140
        .size:           4
        .value_kind:     hidden_block_count_y
      - .offset:         144
        .size:           4
        .value_kind:     hidden_block_count_z
      - .offset:         148
        .size:           2
        .value_kind:     hidden_group_size_x
      - .offset:         150
        .size:           2
        .value_kind:     hidden_group_size_y
      - .offset:         152
        .size:           2
        .value_kind:     hidden_group_size_z
      - .offset:         154
        .size:           2
        .value_kind:     hidden_remainder_x
      - .offset:         156
        .size:           2
        .value_kind:     hidden_remainder_y
      - .offset:         158
        .size:           2
        .value_kind:     hidden_remainder_z
      - .offset:         176
        .size:           8
        .value_kind:     hidden_global_offset_x
      - .offset:         184
        .size:           8
        .value_kind:     hidden_global_offset_y
      - .offset:         192
        .size:           8
        .value_kind:     hidden_global_offset_z
      - .offset:         200
        .size:           2
        .value_kind:     hidden_grid_dims
    .group_segment_fixed_size: 32768
    .kernarg_segment_align: 8
    .kernarg_segment_size: 392
    .language:       OpenCL C
    .language_version:
      - 2
      - 0
    .max_flat_workgroup_size: 1024
    .name:           _ZL30rocblas_trmm_outofplace_kernelI19rocblas_complex_numIdELi32ELi2ELb1ELb0ELb1ELb1EPKS1_S2_S1_Ev17rocblas_diagonal_iiT6_lPT7_lllS7_lllPT8_llli
    .private_segment_fixed_size: 0
    .sgpr_count:     60
    .sgpr_spill_count: 0
    .symbol:         _ZL30rocblas_trmm_outofplace_kernelI19rocblas_complex_numIdELi32ELi2ELb1ELb0ELb1ELb1EPKS1_S2_S1_Ev17rocblas_diagonal_iiT6_lPT7_lllS7_lllPT8_llli.kd
    .uniform_work_group_size: 1
    .uses_dynamic_stack: false
    .vgpr_count:     94
    .vgpr_spill_count: 0
    .wavefront_size: 32
  - .args:
      - .offset:         0
        .size:           4
        .value_kind:     by_value
      - .offset:         4
        .size:           4
        .value_kind:     by_value
      - .offset:         8
        .size:           4
        .value_kind:     by_value
      - .offset:         16
        .size:           16
        .value_kind:     by_value
      - .offset:         32
        .size:           8
        .value_kind:     by_value
      - .address_space:  global
        .offset:         40
        .size:           8
        .value_kind:     global_buffer
      - .offset:         48
        .size:           8
        .value_kind:     by_value
      - .offset:         56
        .size:           8
        .value_kind:     by_value
      - .offset:         64
        .size:           8
        .value_kind:     by_value
      - .address_space:  global
        .offset:         72
        .size:           8
        .value_kind:     global_buffer
      - .offset:         80
        .size:           8
        .value_kind:     by_value
      - .offset:         88
        .size:           8
        .value_kind:     by_value
      - .offset:         96
        .size:           8
        .value_kind:     by_value
      - .address_space:  global
        .offset:         104
        .size:           8
        .value_kind:     global_buffer
      - .offset:         112
        .size:           8
        .value_kind:     by_value
      - .offset:         120
        .size:           8
        .value_kind:     by_value
      - .offset:         128
        .size:           8
        .value_kind:     by_value
      - .offset:         136
        .size:           4
        .value_kind:     by_value
      - .offset:         144
        .size:           4
        .value_kind:     hidden_block_count_x
      - .offset:         148
        .size:           4
        .value_kind:     hidden_block_count_y
      - .offset:         152
        .size:           4
        .value_kind:     hidden_block_count_z
      - .offset:         156
        .size:           2
        .value_kind:     hidden_group_size_x
      - .offset:         158
        .size:           2
        .value_kind:     hidden_group_size_y
      - .offset:         160
        .size:           2
        .value_kind:     hidden_group_size_z
      - .offset:         162
        .size:           2
        .value_kind:     hidden_remainder_x
      - .offset:         164
        .size:           2
        .value_kind:     hidden_remainder_y
      - .offset:         166
        .size:           2
        .value_kind:     hidden_remainder_z
      - .offset:         184
        .size:           8
        .value_kind:     hidden_global_offset_x
      - .offset:         192
        .size:           8
        .value_kind:     hidden_global_offset_y
      - .offset:         200
        .size:           8
        .value_kind:     hidden_global_offset_z
      - .offset:         208
        .size:           2
        .value_kind:     hidden_grid_dims
    .group_segment_fixed_size: 32768
    .kernarg_segment_align: 8
    .kernarg_segment_size: 400
    .language:       OpenCL C
    .language_version:
      - 2
      - 0
    .max_flat_workgroup_size: 1024
    .name:           _ZL30rocblas_trmm_outofplace_kernelI19rocblas_complex_numIdELi32ELi2ELb1ELb0ELb1ELb1ES1_KS1_S1_Ev17rocblas_diagonal_iiT6_lPT7_lllS6_lllPT8_llli
    .private_segment_fixed_size: 0
    .sgpr_count:     60
    .sgpr_spill_count: 0
    .symbol:         _ZL30rocblas_trmm_outofplace_kernelI19rocblas_complex_numIdELi32ELi2ELb1ELb0ELb1ELb1ES1_KS1_S1_Ev17rocblas_diagonal_iiT6_lPT7_lllS6_lllPT8_llli.kd
    .uniform_work_group_size: 1
    .uses_dynamic_stack: false
    .vgpr_count:     90
    .vgpr_spill_count: 0
    .wavefront_size: 32
  - .args:
      - .offset:         0
        .size:           4
        .value_kind:     by_value
      - .offset:         4
        .size:           4
        .value_kind:     by_value
      - .offset:         8
        .size:           4
        .value_kind:     by_value
      - .address_space:  global
        .offset:         16
        .size:           8
        .value_kind:     global_buffer
      - .offset:         24
        .size:           8
        .value_kind:     by_value
      - .address_space:  global
        .offset:         32
        .size:           8
        .value_kind:     global_buffer
      - .offset:         40
        .size:           8
        .value_kind:     by_value
      - .offset:         48
        .size:           8
        .value_kind:     by_value
      - .offset:         56
        .size:           8
        .value_kind:     by_value
      - .address_space:  global
        .offset:         64
        .size:           8
        .value_kind:     global_buffer
      - .offset:         72
        .size:           8
        .value_kind:     by_value
      - .offset:         80
        .size:           8
        .value_kind:     by_value
      - .offset:         88
        .size:           8
        .value_kind:     by_value
      - .address_space:  global
        .offset:         96
        .size:           8
        .value_kind:     global_buffer
      - .offset:         104
        .size:           8
        .value_kind:     by_value
      - .offset:         112
        .size:           8
        .value_kind:     by_value
      - .offset:         120
        .size:           8
        .value_kind:     by_value
      - .offset:         128
        .size:           4
        .value_kind:     by_value
      - .offset:         136
        .size:           4
        .value_kind:     hidden_block_count_x
      - .offset:         140
        .size:           4
        .value_kind:     hidden_block_count_y
      - .offset:         144
        .size:           4
        .value_kind:     hidden_block_count_z
      - .offset:         148
        .size:           2
        .value_kind:     hidden_group_size_x
      - .offset:         150
        .size:           2
        .value_kind:     hidden_group_size_y
      - .offset:         152
        .size:           2
        .value_kind:     hidden_group_size_z
      - .offset:         154
        .size:           2
        .value_kind:     hidden_remainder_x
      - .offset:         156
        .size:           2
        .value_kind:     hidden_remainder_y
      - .offset:         158
        .size:           2
        .value_kind:     hidden_remainder_z
      - .offset:         176
        .size:           8
        .value_kind:     hidden_global_offset_x
      - .offset:         184
        .size:           8
        .value_kind:     hidden_global_offset_y
      - .offset:         192
        .size:           8
        .value_kind:     hidden_global_offset_z
      - .offset:         200
        .size:           2
        .value_kind:     hidden_grid_dims
    .group_segment_fixed_size: 32768
    .kernarg_segment_align: 8
    .kernarg_segment_size: 392
    .language:       OpenCL C
    .language_version:
      - 2
      - 0
    .max_flat_workgroup_size: 1024
    .name:           _ZL30rocblas_trmm_outofplace_kernelI19rocblas_complex_numIdELi32ELi2ELb1ELb1ELb1ELb1EPKS1_S2_S1_Ev17rocblas_diagonal_iiT6_lPT7_lllS7_lllPT8_llli
    .private_segment_fixed_size: 0
    .sgpr_count:     60
    .sgpr_spill_count: 0
    .symbol:         _ZL30rocblas_trmm_outofplace_kernelI19rocblas_complex_numIdELi32ELi2ELb1ELb1ELb1ELb1EPKS1_S2_S1_Ev17rocblas_diagonal_iiT6_lPT7_lllS7_lllPT8_llli.kd
    .uniform_work_group_size: 1
    .uses_dynamic_stack: false
    .vgpr_count:     102
    .vgpr_spill_count: 0
    .wavefront_size: 32
  - .args:
      - .offset:         0
        .size:           4
        .value_kind:     by_value
      - .offset:         4
        .size:           4
        .value_kind:     by_value
      - .offset:         8
        .size:           4
        .value_kind:     by_value
      - .offset:         16
        .size:           16
        .value_kind:     by_value
      - .offset:         32
        .size:           8
        .value_kind:     by_value
      - .address_space:  global
        .offset:         40
        .size:           8
        .value_kind:     global_buffer
      - .offset:         48
        .size:           8
        .value_kind:     by_value
      - .offset:         56
        .size:           8
        .value_kind:     by_value
      - .offset:         64
        .size:           8
        .value_kind:     by_value
      - .address_space:  global
        .offset:         72
        .size:           8
        .value_kind:     global_buffer
      - .offset:         80
        .size:           8
        .value_kind:     by_value
      - .offset:         88
        .size:           8
        .value_kind:     by_value
      - .offset:         96
        .size:           8
        .value_kind:     by_value
      - .address_space:  global
        .offset:         104
        .size:           8
        .value_kind:     global_buffer
      - .offset:         112
        .size:           8
        .value_kind:     by_value
      - .offset:         120
        .size:           8
        .value_kind:     by_value
      - .offset:         128
        .size:           8
        .value_kind:     by_value
      - .offset:         136
        .size:           4
        .value_kind:     by_value
      - .offset:         144
        .size:           4
        .value_kind:     hidden_block_count_x
      - .offset:         148
        .size:           4
        .value_kind:     hidden_block_count_y
      - .offset:         152
        .size:           4
        .value_kind:     hidden_block_count_z
      - .offset:         156
        .size:           2
        .value_kind:     hidden_group_size_x
      - .offset:         158
        .size:           2
        .value_kind:     hidden_group_size_y
      - .offset:         160
        .size:           2
        .value_kind:     hidden_group_size_z
      - .offset:         162
        .size:           2
        .value_kind:     hidden_remainder_x
      - .offset:         164
        .size:           2
        .value_kind:     hidden_remainder_y
      - .offset:         166
        .size:           2
        .value_kind:     hidden_remainder_z
      - .offset:         184
        .size:           8
        .value_kind:     hidden_global_offset_x
      - .offset:         192
        .size:           8
        .value_kind:     hidden_global_offset_y
      - .offset:         200
        .size:           8
        .value_kind:     hidden_global_offset_z
      - .offset:         208
        .size:           2
        .value_kind:     hidden_grid_dims
    .group_segment_fixed_size: 32768
    .kernarg_segment_align: 8
    .kernarg_segment_size: 400
    .language:       OpenCL C
    .language_version:
      - 2
      - 0
    .max_flat_workgroup_size: 1024
    .name:           _ZL30rocblas_trmm_outofplace_kernelI19rocblas_complex_numIdELi32ELi2ELb1ELb1ELb1ELb1ES1_KS1_S1_Ev17rocblas_diagonal_iiT6_lPT7_lllS6_lllPT8_llli
    .private_segment_fixed_size: 0
    .sgpr_count:     60
    .sgpr_spill_count: 0
    .symbol:         _ZL30rocblas_trmm_outofplace_kernelI19rocblas_complex_numIdELi32ELi2ELb1ELb1ELb1ELb1ES1_KS1_S1_Ev17rocblas_diagonal_iiT6_lPT7_lllS6_lllPT8_llli.kd
    .uniform_work_group_size: 1
    .uses_dynamic_stack: false
    .vgpr_count:     96
    .vgpr_spill_count: 0
    .wavefront_size: 32
  - .args:
      - .offset:         0
        .size:           4
        .value_kind:     by_value
      - .offset:         4
        .size:           4
        .value_kind:     by_value
      - .offset:         8
        .size:           4
        .value_kind:     by_value
      - .address_space:  global
        .offset:         16
        .size:           8
        .value_kind:     global_buffer
      - .offset:         24
        .size:           8
        .value_kind:     by_value
      - .address_space:  global
        .offset:         32
        .size:           8
        .value_kind:     global_buffer
      - .offset:         40
        .size:           8
        .value_kind:     by_value
      - .offset:         48
        .size:           8
        .value_kind:     by_value
      - .offset:         56
        .size:           8
        .value_kind:     by_value
      - .address_space:  global
        .offset:         64
        .size:           8
        .value_kind:     global_buffer
      - .offset:         72
        .size:           8
        .value_kind:     by_value
      - .offset:         80
        .size:           8
        .value_kind:     by_value
      - .offset:         88
        .size:           8
        .value_kind:     by_value
      - .address_space:  global
        .offset:         96
        .size:           8
        .value_kind:     global_buffer
      - .offset:         104
        .size:           8
        .value_kind:     by_value
      - .offset:         112
        .size:           8
        .value_kind:     by_value
      - .offset:         120
        .size:           8
        .value_kind:     by_value
      - .offset:         128
        .size:           4
        .value_kind:     by_value
      - .offset:         136
        .size:           4
        .value_kind:     hidden_block_count_x
      - .offset:         140
        .size:           4
        .value_kind:     hidden_block_count_y
      - .offset:         144
        .size:           4
        .value_kind:     hidden_block_count_z
      - .offset:         148
        .size:           2
        .value_kind:     hidden_group_size_x
      - .offset:         150
        .size:           2
        .value_kind:     hidden_group_size_y
      - .offset:         152
        .size:           2
        .value_kind:     hidden_group_size_z
      - .offset:         154
        .size:           2
        .value_kind:     hidden_remainder_x
      - .offset:         156
        .size:           2
        .value_kind:     hidden_remainder_y
      - .offset:         158
        .size:           2
        .value_kind:     hidden_remainder_z
      - .offset:         176
        .size:           8
        .value_kind:     hidden_global_offset_x
      - .offset:         184
        .size:           8
        .value_kind:     hidden_global_offset_y
      - .offset:         192
        .size:           8
        .value_kind:     hidden_global_offset_z
      - .offset:         200
        .size:           2
        .value_kind:     hidden_grid_dims
    .group_segment_fixed_size: 32768
    .kernarg_segment_align: 8
    .kernarg_segment_size: 392
    .language:       OpenCL C
    .language_version:
      - 2
      - 0
    .max_flat_workgroup_size: 1024
    .name:           _ZL30rocblas_trmm_outofplace_kernelI19rocblas_complex_numIdELi32ELi2ELb0ELb0ELb0ELb0EPKS1_S2_S1_Ev17rocblas_diagonal_iiT6_lPT7_lllS7_lllPT8_llli
    .private_segment_fixed_size: 0
    .sgpr_count:     66
    .sgpr_spill_count: 0
    .symbol:         _ZL30rocblas_trmm_outofplace_kernelI19rocblas_complex_numIdELi32ELi2ELb0ELb0ELb0ELb0EPKS1_S2_S1_Ev17rocblas_diagonal_iiT6_lPT7_lllS7_lllPT8_llli.kd
    .uniform_work_group_size: 1
    .uses_dynamic_stack: false
    .vgpr_count:     98
    .vgpr_spill_count: 0
    .wavefront_size: 32
  - .args:
      - .offset:         0
        .size:           4
        .value_kind:     by_value
      - .offset:         4
        .size:           4
        .value_kind:     by_value
      - .offset:         8
        .size:           4
        .value_kind:     by_value
      - .offset:         16
        .size:           16
        .value_kind:     by_value
      - .offset:         32
        .size:           8
        .value_kind:     by_value
      - .address_space:  global
        .offset:         40
        .size:           8
        .value_kind:     global_buffer
      - .offset:         48
        .size:           8
        .value_kind:     by_value
      - .offset:         56
        .size:           8
        .value_kind:     by_value
      - .offset:         64
        .size:           8
        .value_kind:     by_value
      - .address_space:  global
        .offset:         72
        .size:           8
        .value_kind:     global_buffer
      - .offset:         80
        .size:           8
        .value_kind:     by_value
      - .offset:         88
        .size:           8
        .value_kind:     by_value
      - .offset:         96
        .size:           8
        .value_kind:     by_value
      - .address_space:  global
        .offset:         104
        .size:           8
        .value_kind:     global_buffer
      - .offset:         112
        .size:           8
        .value_kind:     by_value
      - .offset:         120
        .size:           8
        .value_kind:     by_value
      - .offset:         128
        .size:           8
        .value_kind:     by_value
      - .offset:         136
        .size:           4
        .value_kind:     by_value
      - .offset:         144
        .size:           4
        .value_kind:     hidden_block_count_x
      - .offset:         148
        .size:           4
        .value_kind:     hidden_block_count_y
      - .offset:         152
        .size:           4
        .value_kind:     hidden_block_count_z
      - .offset:         156
        .size:           2
        .value_kind:     hidden_group_size_x
      - .offset:         158
        .size:           2
        .value_kind:     hidden_group_size_y
      - .offset:         160
        .size:           2
        .value_kind:     hidden_group_size_z
      - .offset:         162
        .size:           2
        .value_kind:     hidden_remainder_x
      - .offset:         164
        .size:           2
        .value_kind:     hidden_remainder_y
      - .offset:         166
        .size:           2
        .value_kind:     hidden_remainder_z
      - .offset:         184
        .size:           8
        .value_kind:     hidden_global_offset_x
      - .offset:         192
        .size:           8
        .value_kind:     hidden_global_offset_y
      - .offset:         200
        .size:           8
        .value_kind:     hidden_global_offset_z
      - .offset:         208
        .size:           2
        .value_kind:     hidden_grid_dims
    .group_segment_fixed_size: 32768
    .kernarg_segment_align: 8
    .kernarg_segment_size: 400
    .language:       OpenCL C
    .language_version:
      - 2
      - 0
    .max_flat_workgroup_size: 1024
    .name:           _ZL30rocblas_trmm_outofplace_kernelI19rocblas_complex_numIdELi32ELi2ELb0ELb0ELb0ELb0ES1_KS1_S1_Ev17rocblas_diagonal_iiT6_lPT7_lllS6_lllPT8_llli
    .private_segment_fixed_size: 0
    .sgpr_count:     66
    .sgpr_spill_count: 0
    .symbol:         _ZL30rocblas_trmm_outofplace_kernelI19rocblas_complex_numIdELi32ELi2ELb0ELb0ELb0ELb0ES1_KS1_S1_Ev17rocblas_diagonal_iiT6_lPT7_lllS6_lllPT8_llli.kd
    .uniform_work_group_size: 1
    .uses_dynamic_stack: false
    .vgpr_count:     94
    .vgpr_spill_count: 0
    .wavefront_size: 32
  - .args:
      - .offset:         0
        .size:           4
        .value_kind:     by_value
      - .offset:         4
        .size:           4
        .value_kind:     by_value
      - .offset:         8
        .size:           4
        .value_kind:     by_value
      - .address_space:  global
        .offset:         16
        .size:           8
        .value_kind:     global_buffer
      - .offset:         24
        .size:           8
        .value_kind:     by_value
      - .address_space:  global
        .offset:         32
        .size:           8
        .value_kind:     global_buffer
      - .offset:         40
        .size:           8
        .value_kind:     by_value
      - .offset:         48
        .size:           8
        .value_kind:     by_value
      - .offset:         56
        .size:           8
        .value_kind:     by_value
      - .address_space:  global
        .offset:         64
        .size:           8
        .value_kind:     global_buffer
      - .offset:         72
        .size:           8
        .value_kind:     by_value
      - .offset:         80
        .size:           8
        .value_kind:     by_value
      - .offset:         88
        .size:           8
        .value_kind:     by_value
      - .address_space:  global
        .offset:         96
        .size:           8
        .value_kind:     global_buffer
      - .offset:         104
        .size:           8
        .value_kind:     by_value
      - .offset:         112
        .size:           8
        .value_kind:     by_value
      - .offset:         120
        .size:           8
        .value_kind:     by_value
      - .offset:         128
        .size:           4
        .value_kind:     by_value
      - .offset:         136
        .size:           4
        .value_kind:     hidden_block_count_x
      - .offset:         140
        .size:           4
        .value_kind:     hidden_block_count_y
      - .offset:         144
        .size:           4
        .value_kind:     hidden_block_count_z
      - .offset:         148
        .size:           2
        .value_kind:     hidden_group_size_x
      - .offset:         150
        .size:           2
        .value_kind:     hidden_group_size_y
      - .offset:         152
        .size:           2
        .value_kind:     hidden_group_size_z
      - .offset:         154
        .size:           2
        .value_kind:     hidden_remainder_x
      - .offset:         156
        .size:           2
        .value_kind:     hidden_remainder_y
      - .offset:         158
        .size:           2
        .value_kind:     hidden_remainder_z
      - .offset:         176
        .size:           8
        .value_kind:     hidden_global_offset_x
      - .offset:         184
        .size:           8
        .value_kind:     hidden_global_offset_y
      - .offset:         192
        .size:           8
        .value_kind:     hidden_global_offset_z
      - .offset:         200
        .size:           2
        .value_kind:     hidden_grid_dims
    .group_segment_fixed_size: 32768
    .kernarg_segment_align: 8
    .kernarg_segment_size: 392
    .language:       OpenCL C
    .language_version:
      - 2
      - 0
    .max_flat_workgroup_size: 1024
    .name:           _ZL30rocblas_trmm_outofplace_kernelI19rocblas_complex_numIdELi32ELi2ELb0ELb1ELb0ELb0EPKS1_S2_S1_Ev17rocblas_diagonal_iiT6_lPT7_lllS7_lllPT8_llli
    .private_segment_fixed_size: 0
    .sgpr_count:     62
    .sgpr_spill_count: 0
    .symbol:         _ZL30rocblas_trmm_outofplace_kernelI19rocblas_complex_numIdELi32ELi2ELb0ELb1ELb0ELb0EPKS1_S2_S1_Ev17rocblas_diagonal_iiT6_lPT7_lllS7_lllPT8_llli.kd
    .uniform_work_group_size: 1
    .uses_dynamic_stack: false
    .vgpr_count:     98
    .vgpr_spill_count: 0
    .wavefront_size: 32
  - .args:
      - .offset:         0
        .size:           4
        .value_kind:     by_value
      - .offset:         4
        .size:           4
        .value_kind:     by_value
      - .offset:         8
        .size:           4
        .value_kind:     by_value
      - .offset:         16
        .size:           16
        .value_kind:     by_value
      - .offset:         32
        .size:           8
        .value_kind:     by_value
      - .address_space:  global
        .offset:         40
        .size:           8
        .value_kind:     global_buffer
      - .offset:         48
        .size:           8
        .value_kind:     by_value
      - .offset:         56
        .size:           8
        .value_kind:     by_value
      - .offset:         64
        .size:           8
        .value_kind:     by_value
      - .address_space:  global
        .offset:         72
        .size:           8
        .value_kind:     global_buffer
      - .offset:         80
        .size:           8
        .value_kind:     by_value
      - .offset:         88
        .size:           8
        .value_kind:     by_value
      - .offset:         96
        .size:           8
        .value_kind:     by_value
      - .address_space:  global
        .offset:         104
        .size:           8
        .value_kind:     global_buffer
      - .offset:         112
        .size:           8
        .value_kind:     by_value
      - .offset:         120
        .size:           8
        .value_kind:     by_value
      - .offset:         128
        .size:           8
        .value_kind:     by_value
      - .offset:         136
        .size:           4
        .value_kind:     by_value
      - .offset:         144
        .size:           4
        .value_kind:     hidden_block_count_x
      - .offset:         148
        .size:           4
        .value_kind:     hidden_block_count_y
      - .offset:         152
        .size:           4
        .value_kind:     hidden_block_count_z
      - .offset:         156
        .size:           2
        .value_kind:     hidden_group_size_x
      - .offset:         158
        .size:           2
        .value_kind:     hidden_group_size_y
      - .offset:         160
        .size:           2
        .value_kind:     hidden_group_size_z
      - .offset:         162
        .size:           2
        .value_kind:     hidden_remainder_x
      - .offset:         164
        .size:           2
        .value_kind:     hidden_remainder_y
      - .offset:         166
        .size:           2
        .value_kind:     hidden_remainder_z
      - .offset:         184
        .size:           8
        .value_kind:     hidden_global_offset_x
      - .offset:         192
        .size:           8
        .value_kind:     hidden_global_offset_y
      - .offset:         200
        .size:           8
        .value_kind:     hidden_global_offset_z
      - .offset:         208
        .size:           2
        .value_kind:     hidden_grid_dims
    .group_segment_fixed_size: 32768
    .kernarg_segment_align: 8
    .kernarg_segment_size: 400
    .language:       OpenCL C
    .language_version:
      - 2
      - 0
    .max_flat_workgroup_size: 1024
    .name:           _ZL30rocblas_trmm_outofplace_kernelI19rocblas_complex_numIdELi32ELi2ELb0ELb1ELb0ELb0ES1_KS1_S1_Ev17rocblas_diagonal_iiT6_lPT7_lllS6_lllPT8_llli
    .private_segment_fixed_size: 0
    .sgpr_count:     62
    .sgpr_spill_count: 0
    .symbol:         _ZL30rocblas_trmm_outofplace_kernelI19rocblas_complex_numIdELi32ELi2ELb0ELb1ELb0ELb0ES1_KS1_S1_Ev17rocblas_diagonal_iiT6_lPT7_lllS6_lllPT8_llli.kd
    .uniform_work_group_size: 1
    .uses_dynamic_stack: false
    .vgpr_count:     96
    .vgpr_spill_count: 0
    .wavefront_size: 32
  - .args:
      - .offset:         0
        .size:           4
        .value_kind:     by_value
      - .offset:         4
        .size:           4
        .value_kind:     by_value
      - .offset:         8
        .size:           4
        .value_kind:     by_value
      - .address_space:  global
        .offset:         16
        .size:           8
        .value_kind:     global_buffer
      - .offset:         24
        .size:           8
        .value_kind:     by_value
      - .address_space:  global
        .offset:         32
        .size:           8
        .value_kind:     global_buffer
      - .offset:         40
        .size:           8
        .value_kind:     by_value
      - .offset:         48
        .size:           8
        .value_kind:     by_value
      - .offset:         56
        .size:           8
        .value_kind:     by_value
      - .address_space:  global
        .offset:         64
        .size:           8
        .value_kind:     global_buffer
      - .offset:         72
        .size:           8
        .value_kind:     by_value
      - .offset:         80
        .size:           8
        .value_kind:     by_value
      - .offset:         88
        .size:           8
        .value_kind:     by_value
      - .address_space:  global
        .offset:         96
        .size:           8
        .value_kind:     global_buffer
      - .offset:         104
        .size:           8
        .value_kind:     by_value
      - .offset:         112
        .size:           8
        .value_kind:     by_value
      - .offset:         120
        .size:           8
        .value_kind:     by_value
      - .offset:         128
        .size:           4
        .value_kind:     by_value
      - .offset:         136
        .size:           4
        .value_kind:     hidden_block_count_x
      - .offset:         140
        .size:           4
        .value_kind:     hidden_block_count_y
      - .offset:         144
        .size:           4
        .value_kind:     hidden_block_count_z
      - .offset:         148
        .size:           2
        .value_kind:     hidden_group_size_x
      - .offset:         150
        .size:           2
        .value_kind:     hidden_group_size_y
      - .offset:         152
        .size:           2
        .value_kind:     hidden_group_size_z
      - .offset:         154
        .size:           2
        .value_kind:     hidden_remainder_x
      - .offset:         156
        .size:           2
        .value_kind:     hidden_remainder_y
      - .offset:         158
        .size:           2
        .value_kind:     hidden_remainder_z
      - .offset:         176
        .size:           8
        .value_kind:     hidden_global_offset_x
      - .offset:         184
        .size:           8
        .value_kind:     hidden_global_offset_y
      - .offset:         192
        .size:           8
        .value_kind:     hidden_global_offset_z
      - .offset:         200
        .size:           2
        .value_kind:     hidden_grid_dims
    .group_segment_fixed_size: 32768
    .kernarg_segment_align: 8
    .kernarg_segment_size: 392
    .language:       OpenCL C
    .language_version:
      - 2
      - 0
    .max_flat_workgroup_size: 1024
    .name:           _ZL30rocblas_trmm_outofplace_kernelI19rocblas_complex_numIdELi32ELi2ELb0ELb0ELb1ELb0EPKS1_S2_S1_Ev17rocblas_diagonal_iiT6_lPT7_lllS7_lllPT8_llli
    .private_segment_fixed_size: 0
    .sgpr_count:     56
    .sgpr_spill_count: 0
    .symbol:         _ZL30rocblas_trmm_outofplace_kernelI19rocblas_complex_numIdELi32ELi2ELb0ELb0ELb1ELb0EPKS1_S2_S1_Ev17rocblas_diagonal_iiT6_lPT7_lllS7_lllPT8_llli.kd
    .uniform_work_group_size: 1
    .uses_dynamic_stack: false
    .vgpr_count:     98
    .vgpr_spill_count: 0
    .wavefront_size: 32
  - .args:
      - .offset:         0
        .size:           4
        .value_kind:     by_value
      - .offset:         4
        .size:           4
        .value_kind:     by_value
      - .offset:         8
        .size:           4
        .value_kind:     by_value
      - .offset:         16
        .size:           16
        .value_kind:     by_value
      - .offset:         32
        .size:           8
        .value_kind:     by_value
      - .address_space:  global
        .offset:         40
        .size:           8
        .value_kind:     global_buffer
      - .offset:         48
        .size:           8
        .value_kind:     by_value
      - .offset:         56
        .size:           8
        .value_kind:     by_value
      - .offset:         64
        .size:           8
        .value_kind:     by_value
      - .address_space:  global
        .offset:         72
        .size:           8
        .value_kind:     global_buffer
      - .offset:         80
        .size:           8
        .value_kind:     by_value
      - .offset:         88
        .size:           8
        .value_kind:     by_value
      - .offset:         96
        .size:           8
        .value_kind:     by_value
      - .address_space:  global
        .offset:         104
        .size:           8
        .value_kind:     global_buffer
      - .offset:         112
        .size:           8
        .value_kind:     by_value
      - .offset:         120
        .size:           8
        .value_kind:     by_value
      - .offset:         128
        .size:           8
        .value_kind:     by_value
      - .offset:         136
        .size:           4
        .value_kind:     by_value
      - .offset:         144
        .size:           4
        .value_kind:     hidden_block_count_x
      - .offset:         148
        .size:           4
        .value_kind:     hidden_block_count_y
      - .offset:         152
        .size:           4
        .value_kind:     hidden_block_count_z
      - .offset:         156
        .size:           2
        .value_kind:     hidden_group_size_x
      - .offset:         158
        .size:           2
        .value_kind:     hidden_group_size_y
      - .offset:         160
        .size:           2
        .value_kind:     hidden_group_size_z
      - .offset:         162
        .size:           2
        .value_kind:     hidden_remainder_x
      - .offset:         164
        .size:           2
        .value_kind:     hidden_remainder_y
      - .offset:         166
        .size:           2
        .value_kind:     hidden_remainder_z
      - .offset:         184
        .size:           8
        .value_kind:     hidden_global_offset_x
      - .offset:         192
        .size:           8
        .value_kind:     hidden_global_offset_y
      - .offset:         200
        .size:           8
        .value_kind:     hidden_global_offset_z
      - .offset:         208
        .size:           2
        .value_kind:     hidden_grid_dims
    .group_segment_fixed_size: 32768
    .kernarg_segment_align: 8
    .kernarg_segment_size: 400
    .language:       OpenCL C
    .language_version:
      - 2
      - 0
    .max_flat_workgroup_size: 1024
    .name:           _ZL30rocblas_trmm_outofplace_kernelI19rocblas_complex_numIdELi32ELi2ELb0ELb0ELb1ELb0ES1_KS1_S1_Ev17rocblas_diagonal_iiT6_lPT7_lllS6_lllPT8_llli
    .private_segment_fixed_size: 0
    .sgpr_count:     56
    .sgpr_spill_count: 0
    .symbol:         _ZL30rocblas_trmm_outofplace_kernelI19rocblas_complex_numIdELi32ELi2ELb0ELb0ELb1ELb0ES1_KS1_S1_Ev17rocblas_diagonal_iiT6_lPT7_lllS6_lllPT8_llli.kd
    .uniform_work_group_size: 1
    .uses_dynamic_stack: false
    .vgpr_count:     96
    .vgpr_spill_count: 0
    .wavefront_size: 32
  - .args:
      - .offset:         0
        .size:           4
        .value_kind:     by_value
      - .offset:         4
        .size:           4
        .value_kind:     by_value
      - .offset:         8
        .size:           4
        .value_kind:     by_value
      - .address_space:  global
        .offset:         16
        .size:           8
        .value_kind:     global_buffer
      - .offset:         24
        .size:           8
        .value_kind:     by_value
      - .address_space:  global
        .offset:         32
        .size:           8
        .value_kind:     global_buffer
      - .offset:         40
        .size:           8
        .value_kind:     by_value
      - .offset:         48
        .size:           8
        .value_kind:     by_value
      - .offset:         56
        .size:           8
        .value_kind:     by_value
      - .address_space:  global
        .offset:         64
        .size:           8
        .value_kind:     global_buffer
      - .offset:         72
        .size:           8
        .value_kind:     by_value
      - .offset:         80
        .size:           8
        .value_kind:     by_value
      - .offset:         88
        .size:           8
        .value_kind:     by_value
      - .address_space:  global
        .offset:         96
        .size:           8
        .value_kind:     global_buffer
      - .offset:         104
        .size:           8
        .value_kind:     by_value
      - .offset:         112
        .size:           8
        .value_kind:     by_value
      - .offset:         120
        .size:           8
        .value_kind:     by_value
      - .offset:         128
        .size:           4
        .value_kind:     by_value
      - .offset:         136
        .size:           4
        .value_kind:     hidden_block_count_x
      - .offset:         140
        .size:           4
        .value_kind:     hidden_block_count_y
      - .offset:         144
        .size:           4
        .value_kind:     hidden_block_count_z
      - .offset:         148
        .size:           2
        .value_kind:     hidden_group_size_x
      - .offset:         150
        .size:           2
        .value_kind:     hidden_group_size_y
      - .offset:         152
        .size:           2
        .value_kind:     hidden_group_size_z
      - .offset:         154
        .size:           2
        .value_kind:     hidden_remainder_x
      - .offset:         156
        .size:           2
        .value_kind:     hidden_remainder_y
      - .offset:         158
        .size:           2
        .value_kind:     hidden_remainder_z
      - .offset:         176
        .size:           8
        .value_kind:     hidden_global_offset_x
      - .offset:         184
        .size:           8
        .value_kind:     hidden_global_offset_y
      - .offset:         192
        .size:           8
        .value_kind:     hidden_global_offset_z
      - .offset:         200
        .size:           2
        .value_kind:     hidden_grid_dims
    .group_segment_fixed_size: 32768
    .kernarg_segment_align: 8
    .kernarg_segment_size: 392
    .language:       OpenCL C
    .language_version:
      - 2
      - 0
    .max_flat_workgroup_size: 1024
    .name:           _ZL30rocblas_trmm_outofplace_kernelI19rocblas_complex_numIdELi32ELi2ELb0ELb1ELb1ELb0EPKS1_S2_S1_Ev17rocblas_diagonal_iiT6_lPT7_lllS7_lllPT8_llli
    .private_segment_fixed_size: 0
    .sgpr_count:     72
    .sgpr_spill_count: 0
    .symbol:         _ZL30rocblas_trmm_outofplace_kernelI19rocblas_complex_numIdELi32ELi2ELb0ELb1ELb1ELb0EPKS1_S2_S1_Ev17rocblas_diagonal_iiT6_lPT7_lllS7_lllPT8_llli.kd
    .uniform_work_group_size: 1
    .uses_dynamic_stack: false
    .vgpr_count:     98
    .vgpr_spill_count: 0
    .wavefront_size: 32
  - .args:
      - .offset:         0
        .size:           4
        .value_kind:     by_value
      - .offset:         4
        .size:           4
        .value_kind:     by_value
      - .offset:         8
        .size:           4
        .value_kind:     by_value
      - .offset:         16
        .size:           16
        .value_kind:     by_value
      - .offset:         32
        .size:           8
        .value_kind:     by_value
      - .address_space:  global
        .offset:         40
        .size:           8
        .value_kind:     global_buffer
      - .offset:         48
        .size:           8
        .value_kind:     by_value
      - .offset:         56
        .size:           8
        .value_kind:     by_value
      - .offset:         64
        .size:           8
        .value_kind:     by_value
      - .address_space:  global
        .offset:         72
        .size:           8
        .value_kind:     global_buffer
      - .offset:         80
        .size:           8
        .value_kind:     by_value
      - .offset:         88
        .size:           8
        .value_kind:     by_value
      - .offset:         96
        .size:           8
        .value_kind:     by_value
      - .address_space:  global
        .offset:         104
        .size:           8
        .value_kind:     global_buffer
      - .offset:         112
        .size:           8
        .value_kind:     by_value
      - .offset:         120
        .size:           8
        .value_kind:     by_value
      - .offset:         128
        .size:           8
        .value_kind:     by_value
      - .offset:         136
        .size:           4
        .value_kind:     by_value
      - .offset:         144
        .size:           4
        .value_kind:     hidden_block_count_x
      - .offset:         148
        .size:           4
        .value_kind:     hidden_block_count_y
      - .offset:         152
        .size:           4
        .value_kind:     hidden_block_count_z
      - .offset:         156
        .size:           2
        .value_kind:     hidden_group_size_x
      - .offset:         158
        .size:           2
        .value_kind:     hidden_group_size_y
      - .offset:         160
        .size:           2
        .value_kind:     hidden_group_size_z
      - .offset:         162
        .size:           2
        .value_kind:     hidden_remainder_x
      - .offset:         164
        .size:           2
        .value_kind:     hidden_remainder_y
      - .offset:         166
        .size:           2
        .value_kind:     hidden_remainder_z
      - .offset:         184
        .size:           8
        .value_kind:     hidden_global_offset_x
      - .offset:         192
        .size:           8
        .value_kind:     hidden_global_offset_y
      - .offset:         200
        .size:           8
        .value_kind:     hidden_global_offset_z
      - .offset:         208
        .size:           2
        .value_kind:     hidden_grid_dims
    .group_segment_fixed_size: 32768
    .kernarg_segment_align: 8
    .kernarg_segment_size: 400
    .language:       OpenCL C
    .language_version:
      - 2
      - 0
    .max_flat_workgroup_size: 1024
    .name:           _ZL30rocblas_trmm_outofplace_kernelI19rocblas_complex_numIdELi32ELi2ELb0ELb1ELb1ELb0ES1_KS1_S1_Ev17rocblas_diagonal_iiT6_lPT7_lllS6_lllPT8_llli
    .private_segment_fixed_size: 0
    .sgpr_count:     72
    .sgpr_spill_count: 0
    .symbol:         _ZL30rocblas_trmm_outofplace_kernelI19rocblas_complex_numIdELi32ELi2ELb0ELb1ELb1ELb0ES1_KS1_S1_Ev17rocblas_diagonal_iiT6_lPT7_lllS6_lllPT8_llli.kd
    .uniform_work_group_size: 1
    .uses_dynamic_stack: false
    .vgpr_count:     94
    .vgpr_spill_count: 0
    .wavefront_size: 32
  - .args:
      - .offset:         0
        .size:           4
        .value_kind:     by_value
      - .offset:         4
        .size:           4
        .value_kind:     by_value
      - .offset:         8
        .size:           4
        .value_kind:     by_value
      - .address_space:  global
        .offset:         16
        .size:           8
        .value_kind:     global_buffer
      - .offset:         24
        .size:           8
        .value_kind:     by_value
      - .address_space:  global
        .offset:         32
        .size:           8
        .value_kind:     global_buffer
      - .offset:         40
        .size:           8
        .value_kind:     by_value
      - .offset:         48
        .size:           8
        .value_kind:     by_value
      - .offset:         56
        .size:           8
        .value_kind:     by_value
      - .address_space:  global
        .offset:         64
        .size:           8
        .value_kind:     global_buffer
      - .offset:         72
        .size:           8
        .value_kind:     by_value
      - .offset:         80
        .size:           8
        .value_kind:     by_value
      - .offset:         88
        .size:           8
        .value_kind:     by_value
      - .address_space:  global
        .offset:         96
        .size:           8
        .value_kind:     global_buffer
      - .offset:         104
        .size:           8
        .value_kind:     by_value
      - .offset:         112
        .size:           8
        .value_kind:     by_value
      - .offset:         120
        .size:           8
        .value_kind:     by_value
      - .offset:         128
        .size:           4
        .value_kind:     by_value
      - .offset:         136
        .size:           4
        .value_kind:     hidden_block_count_x
      - .offset:         140
        .size:           4
        .value_kind:     hidden_block_count_y
      - .offset:         144
        .size:           4
        .value_kind:     hidden_block_count_z
      - .offset:         148
        .size:           2
        .value_kind:     hidden_group_size_x
      - .offset:         150
        .size:           2
        .value_kind:     hidden_group_size_y
      - .offset:         152
        .size:           2
        .value_kind:     hidden_group_size_z
      - .offset:         154
        .size:           2
        .value_kind:     hidden_remainder_x
      - .offset:         156
        .size:           2
        .value_kind:     hidden_remainder_y
      - .offset:         158
        .size:           2
        .value_kind:     hidden_remainder_z
      - .offset:         176
        .size:           8
        .value_kind:     hidden_global_offset_x
      - .offset:         184
        .size:           8
        .value_kind:     hidden_global_offset_y
      - .offset:         192
        .size:           8
        .value_kind:     hidden_global_offset_z
      - .offset:         200
        .size:           2
        .value_kind:     hidden_grid_dims
    .group_segment_fixed_size: 32768
    .kernarg_segment_align: 8
    .kernarg_segment_size: 392
    .language:       OpenCL C
    .language_version:
      - 2
      - 0
    .max_flat_workgroup_size: 1024
    .name:           _ZL30rocblas_trmm_outofplace_kernelI19rocblas_complex_numIdELi32ELi2ELb0ELb0ELb1ELb1EPKS1_S2_S1_Ev17rocblas_diagonal_iiT6_lPT7_lllS7_lllPT8_llli
    .private_segment_fixed_size: 0
    .sgpr_count:     56
    .sgpr_spill_count: 0
    .symbol:         _ZL30rocblas_trmm_outofplace_kernelI19rocblas_complex_numIdELi32ELi2ELb0ELb0ELb1ELb1EPKS1_S2_S1_Ev17rocblas_diagonal_iiT6_lPT7_lllS7_lllPT8_llli.kd
    .uniform_work_group_size: 1
    .uses_dynamic_stack: false
    .vgpr_count:     98
    .vgpr_spill_count: 0
    .wavefront_size: 32
  - .args:
      - .offset:         0
        .size:           4
        .value_kind:     by_value
      - .offset:         4
        .size:           4
        .value_kind:     by_value
      - .offset:         8
        .size:           4
        .value_kind:     by_value
      - .offset:         16
        .size:           16
        .value_kind:     by_value
      - .offset:         32
        .size:           8
        .value_kind:     by_value
      - .address_space:  global
        .offset:         40
        .size:           8
        .value_kind:     global_buffer
      - .offset:         48
        .size:           8
        .value_kind:     by_value
      - .offset:         56
        .size:           8
        .value_kind:     by_value
      - .offset:         64
        .size:           8
        .value_kind:     by_value
      - .address_space:  global
        .offset:         72
        .size:           8
        .value_kind:     global_buffer
      - .offset:         80
        .size:           8
        .value_kind:     by_value
      - .offset:         88
        .size:           8
        .value_kind:     by_value
      - .offset:         96
        .size:           8
        .value_kind:     by_value
      - .address_space:  global
        .offset:         104
        .size:           8
        .value_kind:     global_buffer
      - .offset:         112
        .size:           8
        .value_kind:     by_value
      - .offset:         120
        .size:           8
        .value_kind:     by_value
      - .offset:         128
        .size:           8
        .value_kind:     by_value
      - .offset:         136
        .size:           4
        .value_kind:     by_value
      - .offset:         144
        .size:           4
        .value_kind:     hidden_block_count_x
      - .offset:         148
        .size:           4
        .value_kind:     hidden_block_count_y
      - .offset:         152
        .size:           4
        .value_kind:     hidden_block_count_z
      - .offset:         156
        .size:           2
        .value_kind:     hidden_group_size_x
      - .offset:         158
        .size:           2
        .value_kind:     hidden_group_size_y
      - .offset:         160
        .size:           2
        .value_kind:     hidden_group_size_z
      - .offset:         162
        .size:           2
        .value_kind:     hidden_remainder_x
      - .offset:         164
        .size:           2
        .value_kind:     hidden_remainder_y
      - .offset:         166
        .size:           2
        .value_kind:     hidden_remainder_z
      - .offset:         184
        .size:           8
        .value_kind:     hidden_global_offset_x
      - .offset:         192
        .size:           8
        .value_kind:     hidden_global_offset_y
      - .offset:         200
        .size:           8
        .value_kind:     hidden_global_offset_z
      - .offset:         208
        .size:           2
        .value_kind:     hidden_grid_dims
    .group_segment_fixed_size: 32768
    .kernarg_segment_align: 8
    .kernarg_segment_size: 400
    .language:       OpenCL C
    .language_version:
      - 2
      - 0
    .max_flat_workgroup_size: 1024
    .name:           _ZL30rocblas_trmm_outofplace_kernelI19rocblas_complex_numIdELi32ELi2ELb0ELb0ELb1ELb1ES1_KS1_S1_Ev17rocblas_diagonal_iiT6_lPT7_lllS6_lllPT8_llli
    .private_segment_fixed_size: 0
    .sgpr_count:     56
    .sgpr_spill_count: 0
    .symbol:         _ZL30rocblas_trmm_outofplace_kernelI19rocblas_complex_numIdELi32ELi2ELb0ELb0ELb1ELb1ES1_KS1_S1_Ev17rocblas_diagonal_iiT6_lPT7_lllS6_lllPT8_llli.kd
    .uniform_work_group_size: 1
    .uses_dynamic_stack: false
    .vgpr_count:     96
    .vgpr_spill_count: 0
    .wavefront_size: 32
  - .args:
      - .offset:         0
        .size:           4
        .value_kind:     by_value
      - .offset:         4
        .size:           4
        .value_kind:     by_value
      - .offset:         8
        .size:           4
        .value_kind:     by_value
      - .address_space:  global
        .offset:         16
        .size:           8
        .value_kind:     global_buffer
      - .offset:         24
        .size:           8
        .value_kind:     by_value
      - .address_space:  global
        .offset:         32
        .size:           8
        .value_kind:     global_buffer
      - .offset:         40
        .size:           8
        .value_kind:     by_value
      - .offset:         48
        .size:           8
        .value_kind:     by_value
      - .offset:         56
        .size:           8
        .value_kind:     by_value
      - .address_space:  global
        .offset:         64
        .size:           8
        .value_kind:     global_buffer
      - .offset:         72
        .size:           8
        .value_kind:     by_value
      - .offset:         80
        .size:           8
        .value_kind:     by_value
      - .offset:         88
        .size:           8
        .value_kind:     by_value
      - .address_space:  global
        .offset:         96
        .size:           8
        .value_kind:     global_buffer
      - .offset:         104
        .size:           8
        .value_kind:     by_value
      - .offset:         112
        .size:           8
        .value_kind:     by_value
      - .offset:         120
        .size:           8
        .value_kind:     by_value
      - .offset:         128
        .size:           4
        .value_kind:     by_value
      - .offset:         136
        .size:           4
        .value_kind:     hidden_block_count_x
      - .offset:         140
        .size:           4
        .value_kind:     hidden_block_count_y
      - .offset:         144
        .size:           4
        .value_kind:     hidden_block_count_z
      - .offset:         148
        .size:           2
        .value_kind:     hidden_group_size_x
      - .offset:         150
        .size:           2
        .value_kind:     hidden_group_size_y
      - .offset:         152
        .size:           2
        .value_kind:     hidden_group_size_z
      - .offset:         154
        .size:           2
        .value_kind:     hidden_remainder_x
      - .offset:         156
        .size:           2
        .value_kind:     hidden_remainder_y
      - .offset:         158
        .size:           2
        .value_kind:     hidden_remainder_z
      - .offset:         176
        .size:           8
        .value_kind:     hidden_global_offset_x
      - .offset:         184
        .size:           8
        .value_kind:     hidden_global_offset_y
      - .offset:         192
        .size:           8
        .value_kind:     hidden_global_offset_z
      - .offset:         200
        .size:           2
        .value_kind:     hidden_grid_dims
    .group_segment_fixed_size: 32768
    .kernarg_segment_align: 8
    .kernarg_segment_size: 392
    .language:       OpenCL C
    .language_version:
      - 2
      - 0
    .max_flat_workgroup_size: 1024
    .name:           _ZL30rocblas_trmm_outofplace_kernelI19rocblas_complex_numIdELi32ELi2ELb0ELb1ELb1ELb1EPKS1_S2_S1_Ev17rocblas_diagonal_iiT6_lPT7_lllS7_lllPT8_llli
    .private_segment_fixed_size: 0
    .sgpr_count:     68
    .sgpr_spill_count: 0
    .symbol:         _ZL30rocblas_trmm_outofplace_kernelI19rocblas_complex_numIdELi32ELi2ELb0ELb1ELb1ELb1EPKS1_S2_S1_Ev17rocblas_diagonal_iiT6_lPT7_lllS7_lllPT8_llli.kd
    .uniform_work_group_size: 1
    .uses_dynamic_stack: false
    .vgpr_count:     96
    .vgpr_spill_count: 0
    .wavefront_size: 32
  - .args:
      - .offset:         0
        .size:           4
        .value_kind:     by_value
      - .offset:         4
        .size:           4
        .value_kind:     by_value
      - .offset:         8
        .size:           4
        .value_kind:     by_value
      - .offset:         16
        .size:           16
        .value_kind:     by_value
      - .offset:         32
        .size:           8
        .value_kind:     by_value
      - .address_space:  global
        .offset:         40
        .size:           8
        .value_kind:     global_buffer
      - .offset:         48
        .size:           8
        .value_kind:     by_value
      - .offset:         56
        .size:           8
        .value_kind:     by_value
      - .offset:         64
        .size:           8
        .value_kind:     by_value
      - .address_space:  global
        .offset:         72
        .size:           8
        .value_kind:     global_buffer
      - .offset:         80
        .size:           8
        .value_kind:     by_value
      - .offset:         88
        .size:           8
        .value_kind:     by_value
      - .offset:         96
        .size:           8
        .value_kind:     by_value
      - .address_space:  global
        .offset:         104
        .size:           8
        .value_kind:     global_buffer
      - .offset:         112
        .size:           8
        .value_kind:     by_value
      - .offset:         120
        .size:           8
        .value_kind:     by_value
      - .offset:         128
        .size:           8
        .value_kind:     by_value
      - .offset:         136
        .size:           4
        .value_kind:     by_value
      - .offset:         144
        .size:           4
        .value_kind:     hidden_block_count_x
      - .offset:         148
        .size:           4
        .value_kind:     hidden_block_count_y
      - .offset:         152
        .size:           4
        .value_kind:     hidden_block_count_z
      - .offset:         156
        .size:           2
        .value_kind:     hidden_group_size_x
      - .offset:         158
        .size:           2
        .value_kind:     hidden_group_size_y
      - .offset:         160
        .size:           2
        .value_kind:     hidden_group_size_z
      - .offset:         162
        .size:           2
        .value_kind:     hidden_remainder_x
      - .offset:         164
        .size:           2
        .value_kind:     hidden_remainder_y
      - .offset:         166
        .size:           2
        .value_kind:     hidden_remainder_z
      - .offset:         184
        .size:           8
        .value_kind:     hidden_global_offset_x
      - .offset:         192
        .size:           8
        .value_kind:     hidden_global_offset_y
      - .offset:         200
        .size:           8
        .value_kind:     hidden_global_offset_z
      - .offset:         208
        .size:           2
        .value_kind:     hidden_grid_dims
    .group_segment_fixed_size: 32768
    .kernarg_segment_align: 8
    .kernarg_segment_size: 400
    .language:       OpenCL C
    .language_version:
      - 2
      - 0
    .max_flat_workgroup_size: 1024
    .name:           _ZL30rocblas_trmm_outofplace_kernelI19rocblas_complex_numIdELi32ELi2ELb0ELb1ELb1ELb1ES1_KS1_S1_Ev17rocblas_diagonal_iiT6_lPT7_lllS6_lllPT8_llli
    .private_segment_fixed_size: 0
    .sgpr_count:     68
    .sgpr_spill_count: 0
    .symbol:         _ZL30rocblas_trmm_outofplace_kernelI19rocblas_complex_numIdELi32ELi2ELb0ELb1ELb1ELb1ES1_KS1_S1_Ev17rocblas_diagonal_iiT6_lPT7_lllS6_lllPT8_llli.kd
    .uniform_work_group_size: 1
    .uses_dynamic_stack: false
    .vgpr_count:     90
    .vgpr_spill_count: 0
    .wavefront_size: 32
  - .args:
      - .offset:         0
        .size:           4
        .value_kind:     by_value
      - .offset:         4
        .size:           4
        .value_kind:     by_value
      - .offset:         8
        .size:           4
        .value_kind:     by_value
      - .offset:         12
        .size:           4
        .value_kind:     by_value
      - .address_space:  global
        .offset:         16
        .size:           8
        .value_kind:     global_buffer
      - .offset:         24
        .size:           8
        .value_kind:     by_value
      - .address_space:  global
        .offset:         32
        .size:           8
        .value_kind:     global_buffer
      - .offset:         40
        .size:           8
        .value_kind:     by_value
      - .offset:         48
        .size:           8
        .value_kind:     by_value
      - .address_space:  global
        .offset:         56
        .size:           8
        .value_kind:     global_buffer
      - .offset:         64
        .size:           8
        .value_kind:     by_value
      - .offset:         72
        .size:           8
        .value_kind:     by_value
      - .address_space:  global
        .offset:         80
        .size:           8
        .value_kind:     global_buffer
      - .offset:         88
        .size:           8
        .value_kind:     by_value
      - .offset:         96
        .size:           8
        .value_kind:     by_value
      - .offset:         104
        .size:           4
        .value_kind:     by_value
    .group_segment_fixed_size: 8192
    .kernarg_segment_align: 8
    .kernarg_segment_size: 108
    .language:       OpenCL C
    .language_version:
      - 2
      - 0
    .max_flat_workgroup_size: 256
    .name:           _ZL23rocblas_trmm_lNx_kernelILi16E19rocblas_complex_numIdEPKS1_S2_S1_Ev13rocblas_fill_17rocblas_diagonal_iiT1_lPT2_llS8_llPT3_lli
    .private_segment_fixed_size: 0
    .sgpr_count:     38
    .sgpr_spill_count: 0
    .symbol:         _ZL23rocblas_trmm_lNx_kernelILi16E19rocblas_complex_numIdEPKS1_S2_S1_Ev13rocblas_fill_17rocblas_diagonal_iiT1_lPT2_llS8_llPT3_lli.kd
    .uniform_work_group_size: 1
    .uses_dynamic_stack: false
    .vgpr_count:     58
    .vgpr_spill_count: 0
    .wavefront_size: 32
  - .args:
      - .offset:         0
        .size:           4
        .value_kind:     by_value
      - .offset:         4
        .size:           4
        .value_kind:     by_value
      - .offset:         8
        .size:           4
        .value_kind:     by_value
      - .offset:         12
        .size:           4
        .value_kind:     by_value
      - .offset:         16
        .size:           16
        .value_kind:     by_value
      - .offset:         32
        .size:           8
        .value_kind:     by_value
      - .address_space:  global
        .offset:         40
        .size:           8
        .value_kind:     global_buffer
      - .offset:         48
        .size:           8
        .value_kind:     by_value
      - .offset:         56
        .size:           8
        .value_kind:     by_value
      - .address_space:  global
        .offset:         64
        .size:           8
        .value_kind:     global_buffer
      - .offset:         72
        .size:           8
        .value_kind:     by_value
      - .offset:         80
        .size:           8
        .value_kind:     by_value
      - .address_space:  global
        .offset:         88
        .size:           8
        .value_kind:     global_buffer
      - .offset:         96
        .size:           8
        .value_kind:     by_value
      - .offset:         104
        .size:           8
        .value_kind:     by_value
      - .offset:         112
        .size:           4
        .value_kind:     by_value
    .group_segment_fixed_size: 8192
    .kernarg_segment_align: 8
    .kernarg_segment_size: 116
    .language:       OpenCL C
    .language_version:
      - 2
      - 0
    .max_flat_workgroup_size: 256
    .name:           _ZL23rocblas_trmm_lNx_kernelILi16E19rocblas_complex_numIdES1_KS1_S1_Ev13rocblas_fill_17rocblas_diagonal_iiT1_lPT2_llS7_llPT3_lli
    .private_segment_fixed_size: 0
    .sgpr_count:     39
    .sgpr_spill_count: 0
    .symbol:         _ZL23rocblas_trmm_lNx_kernelILi16E19rocblas_complex_numIdES1_KS1_S1_Ev13rocblas_fill_17rocblas_diagonal_iiT1_lPT2_llS7_llPT3_lli.kd
    .uniform_work_group_size: 1
    .uses_dynamic_stack: false
    .vgpr_count:     56
    .vgpr_spill_count: 0
    .wavefront_size: 32
  - .args:
      - .offset:         0
        .size:           4
        .value_kind:     by_value
      - .offset:         4
        .size:           4
        .value_kind:     by_value
      - .offset:         8
        .size:           4
        .value_kind:     by_value
      - .offset:         12
        .size:           4
        .value_kind:     by_value
      - .address_space:  global
        .offset:         16
        .size:           8
        .value_kind:     global_buffer
      - .offset:         24
        .size:           8
        .value_kind:     by_value
      - .address_space:  global
        .offset:         32
        .size:           8
        .value_kind:     global_buffer
      - .offset:         40
        .size:           8
        .value_kind:     by_value
      - .offset:         48
        .size:           8
        .value_kind:     by_value
      - .address_space:  global
        .offset:         56
        .size:           8
        .value_kind:     global_buffer
      - .offset:         64
        .size:           8
        .value_kind:     by_value
      - .offset:         72
        .size:           8
        .value_kind:     by_value
      - .address_space:  global
        .offset:         80
        .size:           8
        .value_kind:     global_buffer
      - .offset:         88
        .size:           8
        .value_kind:     by_value
      - .offset:         96
        .size:           8
        .value_kind:     by_value
      - .offset:         104
        .size:           4
        .value_kind:     by_value
    .group_segment_fixed_size: 8192
    .kernarg_segment_align: 8
    .kernarg_segment_size: 108
    .language:       OpenCL C
    .language_version:
      - 2
      - 0
    .max_flat_workgroup_size: 256
    .name:           _ZL23rocblas_trmm_lTx_kernelILi16ELb0E19rocblas_complex_numIdEPKS1_S2_S1_Ev13rocblas_fill_17rocblas_diagonal_iiT2_lPT3_llS8_llPT4_lli
    .private_segment_fixed_size: 0
    .sgpr_count:     38
    .sgpr_spill_count: 0
    .symbol:         _ZL23rocblas_trmm_lTx_kernelILi16ELb0E19rocblas_complex_numIdEPKS1_S2_S1_Ev13rocblas_fill_17rocblas_diagonal_iiT2_lPT3_llS8_llPT4_lli.kd
    .uniform_work_group_size: 1
    .uses_dynamic_stack: false
    .vgpr_count:     60
    .vgpr_spill_count: 0
    .wavefront_size: 32
  - .args:
      - .offset:         0
        .size:           4
        .value_kind:     by_value
      - .offset:         4
        .size:           4
        .value_kind:     by_value
      - .offset:         8
        .size:           4
        .value_kind:     by_value
      - .offset:         12
        .size:           4
        .value_kind:     by_value
      - .offset:         16
        .size:           16
        .value_kind:     by_value
      - .offset:         32
        .size:           8
        .value_kind:     by_value
      - .address_space:  global
        .offset:         40
        .size:           8
        .value_kind:     global_buffer
      - .offset:         48
        .size:           8
        .value_kind:     by_value
      - .offset:         56
        .size:           8
        .value_kind:     by_value
      - .address_space:  global
        .offset:         64
        .size:           8
        .value_kind:     global_buffer
      - .offset:         72
        .size:           8
        .value_kind:     by_value
      - .offset:         80
        .size:           8
        .value_kind:     by_value
      - .address_space:  global
        .offset:         88
        .size:           8
        .value_kind:     global_buffer
      - .offset:         96
        .size:           8
        .value_kind:     by_value
      - .offset:         104
        .size:           8
        .value_kind:     by_value
      - .offset:         112
        .size:           4
        .value_kind:     by_value
    .group_segment_fixed_size: 8192
    .kernarg_segment_align: 8
    .kernarg_segment_size: 116
    .language:       OpenCL C
    .language_version:
      - 2
      - 0
    .max_flat_workgroup_size: 256
    .name:           _ZL23rocblas_trmm_lTx_kernelILi16ELb0E19rocblas_complex_numIdES1_KS1_S1_Ev13rocblas_fill_17rocblas_diagonal_iiT2_lPT3_llS7_llPT4_lli
    .private_segment_fixed_size: 0
    .sgpr_count:     39
    .sgpr_spill_count: 0
    .symbol:         _ZL23rocblas_trmm_lTx_kernelILi16ELb0E19rocblas_complex_numIdES1_KS1_S1_Ev13rocblas_fill_17rocblas_diagonal_iiT2_lPT3_llS7_llPT4_lli.kd
    .uniform_work_group_size: 1
    .uses_dynamic_stack: false
    .vgpr_count:     56
    .vgpr_spill_count: 0
    .wavefront_size: 32
  - .args:
      - .offset:         0
        .size:           4
        .value_kind:     by_value
      - .offset:         4
        .size:           4
        .value_kind:     by_value
      - .offset:         8
        .size:           4
        .value_kind:     by_value
      - .offset:         12
        .size:           4
        .value_kind:     by_value
      - .address_space:  global
        .offset:         16
        .size:           8
        .value_kind:     global_buffer
      - .offset:         24
        .size:           8
        .value_kind:     by_value
      - .address_space:  global
        .offset:         32
        .size:           8
        .value_kind:     global_buffer
      - .offset:         40
        .size:           8
        .value_kind:     by_value
      - .offset:         48
        .size:           8
        .value_kind:     by_value
      - .address_space:  global
        .offset:         56
        .size:           8
        .value_kind:     global_buffer
      - .offset:         64
        .size:           8
        .value_kind:     by_value
      - .offset:         72
        .size:           8
        .value_kind:     by_value
      - .address_space:  global
        .offset:         80
        .size:           8
        .value_kind:     global_buffer
      - .offset:         88
        .size:           8
        .value_kind:     by_value
      - .offset:         96
        .size:           8
        .value_kind:     by_value
      - .offset:         104
        .size:           4
        .value_kind:     by_value
    .group_segment_fixed_size: 8192
    .kernarg_segment_align: 8
    .kernarg_segment_size: 108
    .language:       OpenCL C
    .language_version:
      - 2
      - 0
    .max_flat_workgroup_size: 256
    .name:           _ZL23rocblas_trmm_lTx_kernelILi16ELb1E19rocblas_complex_numIdEPKS1_S2_S1_Ev13rocblas_fill_17rocblas_diagonal_iiT2_lPT3_llS8_llPT4_lli
    .private_segment_fixed_size: 0
    .sgpr_count:     38
    .sgpr_spill_count: 0
    .symbol:         _ZL23rocblas_trmm_lTx_kernelILi16ELb1E19rocblas_complex_numIdEPKS1_S2_S1_Ev13rocblas_fill_17rocblas_diagonal_iiT2_lPT3_llS8_llPT4_lli.kd
    .uniform_work_group_size: 1
    .uses_dynamic_stack: false
    .vgpr_count:     60
    .vgpr_spill_count: 0
    .wavefront_size: 32
  - .args:
      - .offset:         0
        .size:           4
        .value_kind:     by_value
      - .offset:         4
        .size:           4
        .value_kind:     by_value
      - .offset:         8
        .size:           4
        .value_kind:     by_value
      - .offset:         12
        .size:           4
        .value_kind:     by_value
      - .offset:         16
        .size:           16
        .value_kind:     by_value
      - .offset:         32
        .size:           8
        .value_kind:     by_value
      - .address_space:  global
        .offset:         40
        .size:           8
        .value_kind:     global_buffer
      - .offset:         48
        .size:           8
        .value_kind:     by_value
      - .offset:         56
        .size:           8
        .value_kind:     by_value
      - .address_space:  global
        .offset:         64
        .size:           8
        .value_kind:     global_buffer
      - .offset:         72
        .size:           8
        .value_kind:     by_value
      - .offset:         80
        .size:           8
        .value_kind:     by_value
      - .address_space:  global
        .offset:         88
        .size:           8
        .value_kind:     global_buffer
      - .offset:         96
        .size:           8
        .value_kind:     by_value
      - .offset:         104
        .size:           8
        .value_kind:     by_value
      - .offset:         112
        .size:           4
        .value_kind:     by_value
    .group_segment_fixed_size: 8192
    .kernarg_segment_align: 8
    .kernarg_segment_size: 116
    .language:       OpenCL C
    .language_version:
      - 2
      - 0
    .max_flat_workgroup_size: 256
    .name:           _ZL23rocblas_trmm_lTx_kernelILi16ELb1E19rocblas_complex_numIdES1_KS1_S1_Ev13rocblas_fill_17rocblas_diagonal_iiT2_lPT3_llS7_llPT4_lli
    .private_segment_fixed_size: 0
    .sgpr_count:     39
    .sgpr_spill_count: 0
    .symbol:         _ZL23rocblas_trmm_lTx_kernelILi16ELb1E19rocblas_complex_numIdES1_KS1_S1_Ev13rocblas_fill_17rocblas_diagonal_iiT2_lPT3_llS7_llPT4_lli.kd
    .uniform_work_group_size: 1
    .uses_dynamic_stack: false
    .vgpr_count:     56
    .vgpr_spill_count: 0
    .wavefront_size: 32
  - .args:
      - .offset:         0
        .size:           4
        .value_kind:     by_value
      - .offset:         4
        .size:           4
        .value_kind:     by_value
      - .offset:         8
        .size:           4
        .value_kind:     by_value
      - .offset:         12
        .size:           4
        .value_kind:     by_value
      - .address_space:  global
        .offset:         16
        .size:           8
        .value_kind:     global_buffer
      - .offset:         24
        .size:           8
        .value_kind:     by_value
      - .address_space:  global
        .offset:         32
        .size:           8
        .value_kind:     global_buffer
      - .offset:         40
        .size:           8
        .value_kind:     by_value
      - .offset:         48
        .size:           8
        .value_kind:     by_value
      - .address_space:  global
        .offset:         56
        .size:           8
        .value_kind:     global_buffer
      - .offset:         64
        .size:           8
        .value_kind:     by_value
      - .offset:         72
        .size:           8
        .value_kind:     by_value
      - .address_space:  global
        .offset:         80
        .size:           8
        .value_kind:     global_buffer
      - .offset:         88
        .size:           8
        .value_kind:     by_value
      - .offset:         96
        .size:           8
        .value_kind:     by_value
      - .offset:         104
        .size:           4
        .value_kind:     by_value
    .group_segment_fixed_size: 8192
    .kernarg_segment_align: 8
    .kernarg_segment_size: 108
    .language:       OpenCL C
    .language_version:
      - 2
      - 0
    .max_flat_workgroup_size: 256
    .name:           _ZL23rocblas_trmm_rNx_kernelILi16E19rocblas_complex_numIdEPKS1_S2_S1_Ev13rocblas_fill_17rocblas_diagonal_iiT1_lPT2_llS8_llPT3_lli
    .private_segment_fixed_size: 0
    .sgpr_count:     38
    .sgpr_spill_count: 0
    .symbol:         _ZL23rocblas_trmm_rNx_kernelILi16E19rocblas_complex_numIdEPKS1_S2_S1_Ev13rocblas_fill_17rocblas_diagonal_iiT1_lPT2_llS8_llPT3_lli.kd
    .uniform_work_group_size: 1
    .uses_dynamic_stack: false
    .vgpr_count:     58
    .vgpr_spill_count: 0
    .wavefront_size: 32
  - .args:
      - .offset:         0
        .size:           4
        .value_kind:     by_value
      - .offset:         4
        .size:           4
        .value_kind:     by_value
      - .offset:         8
        .size:           4
        .value_kind:     by_value
      - .offset:         12
        .size:           4
        .value_kind:     by_value
      - .offset:         16
        .size:           16
        .value_kind:     by_value
      - .offset:         32
        .size:           8
        .value_kind:     by_value
      - .address_space:  global
        .offset:         40
        .size:           8
        .value_kind:     global_buffer
      - .offset:         48
        .size:           8
        .value_kind:     by_value
      - .offset:         56
        .size:           8
        .value_kind:     by_value
      - .address_space:  global
        .offset:         64
        .size:           8
        .value_kind:     global_buffer
      - .offset:         72
        .size:           8
        .value_kind:     by_value
      - .offset:         80
        .size:           8
        .value_kind:     by_value
      - .address_space:  global
        .offset:         88
        .size:           8
        .value_kind:     global_buffer
      - .offset:         96
        .size:           8
        .value_kind:     by_value
      - .offset:         104
        .size:           8
        .value_kind:     by_value
      - .offset:         112
        .size:           4
        .value_kind:     by_value
    .group_segment_fixed_size: 8192
    .kernarg_segment_align: 8
    .kernarg_segment_size: 116
    .language:       OpenCL C
    .language_version:
      - 2
      - 0
    .max_flat_workgroup_size: 256
    .name:           _ZL23rocblas_trmm_rNx_kernelILi16E19rocblas_complex_numIdES1_KS1_S1_Ev13rocblas_fill_17rocblas_diagonal_iiT1_lPT2_llS7_llPT3_lli
    .private_segment_fixed_size: 0
    .sgpr_count:     37
    .sgpr_spill_count: 0
    .symbol:         _ZL23rocblas_trmm_rNx_kernelILi16E19rocblas_complex_numIdES1_KS1_S1_Ev13rocblas_fill_17rocblas_diagonal_iiT1_lPT2_llS7_llPT3_lli.kd
    .uniform_work_group_size: 1
    .uses_dynamic_stack: false
    .vgpr_count:     54
    .vgpr_spill_count: 0
    .wavefront_size: 32
  - .args:
      - .offset:         0
        .size:           4
        .value_kind:     by_value
      - .offset:         4
        .size:           4
        .value_kind:     by_value
      - .offset:         8
        .size:           4
        .value_kind:     by_value
      - .offset:         12
        .size:           4
        .value_kind:     by_value
      - .address_space:  global
        .offset:         16
        .size:           8
        .value_kind:     global_buffer
      - .offset:         24
        .size:           8
        .value_kind:     by_value
      - .address_space:  global
        .offset:         32
        .size:           8
        .value_kind:     global_buffer
      - .offset:         40
        .size:           8
        .value_kind:     by_value
      - .offset:         48
        .size:           8
        .value_kind:     by_value
      - .address_space:  global
        .offset:         56
        .size:           8
        .value_kind:     global_buffer
      - .offset:         64
        .size:           8
        .value_kind:     by_value
      - .offset:         72
        .size:           8
        .value_kind:     by_value
      - .address_space:  global
        .offset:         80
        .size:           8
        .value_kind:     global_buffer
      - .offset:         88
        .size:           8
        .value_kind:     by_value
      - .offset:         96
        .size:           8
        .value_kind:     by_value
      - .offset:         104
        .size:           4
        .value_kind:     by_value
    .group_segment_fixed_size: 8192
    .kernarg_segment_align: 8
    .kernarg_segment_size: 108
    .language:       OpenCL C
    .language_version:
      - 2
      - 0
    .max_flat_workgroup_size: 256
    .name:           _ZL23rocblas_trmm_rTx_kernelILi16ELb0E19rocblas_complex_numIdEPKS1_S2_S1_Ev13rocblas_fill_17rocblas_diagonal_iiT2_lPT3_llS8_llPT4_lli
    .private_segment_fixed_size: 0
    .sgpr_count:     38
    .sgpr_spill_count: 0
    .symbol:         _ZL23rocblas_trmm_rTx_kernelILi16ELb0E19rocblas_complex_numIdEPKS1_S2_S1_Ev13rocblas_fill_17rocblas_diagonal_iiT2_lPT3_llS8_llPT4_lli.kd
    .uniform_work_group_size: 1
    .uses_dynamic_stack: false
    .vgpr_count:     58
    .vgpr_spill_count: 0
    .wavefront_size: 32
  - .args:
      - .offset:         0
        .size:           4
        .value_kind:     by_value
      - .offset:         4
        .size:           4
        .value_kind:     by_value
      - .offset:         8
        .size:           4
        .value_kind:     by_value
      - .offset:         12
        .size:           4
        .value_kind:     by_value
      - .offset:         16
        .size:           16
        .value_kind:     by_value
      - .offset:         32
        .size:           8
        .value_kind:     by_value
      - .address_space:  global
        .offset:         40
        .size:           8
        .value_kind:     global_buffer
      - .offset:         48
        .size:           8
        .value_kind:     by_value
      - .offset:         56
        .size:           8
        .value_kind:     by_value
      - .address_space:  global
        .offset:         64
        .size:           8
        .value_kind:     global_buffer
      - .offset:         72
        .size:           8
        .value_kind:     by_value
      - .offset:         80
        .size:           8
        .value_kind:     by_value
      - .address_space:  global
        .offset:         88
        .size:           8
        .value_kind:     global_buffer
      - .offset:         96
        .size:           8
        .value_kind:     by_value
      - .offset:         104
        .size:           8
        .value_kind:     by_value
      - .offset:         112
        .size:           4
        .value_kind:     by_value
    .group_segment_fixed_size: 8192
    .kernarg_segment_align: 8
    .kernarg_segment_size: 116
    .language:       OpenCL C
    .language_version:
      - 2
      - 0
    .max_flat_workgroup_size: 256
    .name:           _ZL23rocblas_trmm_rTx_kernelILi16ELb0E19rocblas_complex_numIdES1_KS1_S1_Ev13rocblas_fill_17rocblas_diagonal_iiT2_lPT3_llS7_llPT4_lli
    .private_segment_fixed_size: 0
    .sgpr_count:     37
    .sgpr_spill_count: 0
    .symbol:         _ZL23rocblas_trmm_rTx_kernelILi16ELb0E19rocblas_complex_numIdES1_KS1_S1_Ev13rocblas_fill_17rocblas_diagonal_iiT2_lPT3_llS7_llPT4_lli.kd
    .uniform_work_group_size: 1
    .uses_dynamic_stack: false
    .vgpr_count:     54
    .vgpr_spill_count: 0
    .wavefront_size: 32
  - .args:
      - .offset:         0
        .size:           4
        .value_kind:     by_value
      - .offset:         4
        .size:           4
        .value_kind:     by_value
      - .offset:         8
        .size:           4
        .value_kind:     by_value
      - .offset:         12
        .size:           4
        .value_kind:     by_value
      - .address_space:  global
        .offset:         16
        .size:           8
        .value_kind:     global_buffer
      - .offset:         24
        .size:           8
        .value_kind:     by_value
      - .address_space:  global
        .offset:         32
        .size:           8
        .value_kind:     global_buffer
      - .offset:         40
        .size:           8
        .value_kind:     by_value
      - .offset:         48
        .size:           8
        .value_kind:     by_value
      - .address_space:  global
        .offset:         56
        .size:           8
        .value_kind:     global_buffer
      - .offset:         64
        .size:           8
        .value_kind:     by_value
      - .offset:         72
        .size:           8
        .value_kind:     by_value
      - .address_space:  global
        .offset:         80
        .size:           8
        .value_kind:     global_buffer
      - .offset:         88
        .size:           8
        .value_kind:     by_value
      - .offset:         96
        .size:           8
        .value_kind:     by_value
      - .offset:         104
        .size:           4
        .value_kind:     by_value
    .group_segment_fixed_size: 8192
    .kernarg_segment_align: 8
    .kernarg_segment_size: 108
    .language:       OpenCL C
    .language_version:
      - 2
      - 0
    .max_flat_workgroup_size: 256
    .name:           _ZL23rocblas_trmm_rTx_kernelILi16ELb1E19rocblas_complex_numIdEPKS1_S2_S1_Ev13rocblas_fill_17rocblas_diagonal_iiT2_lPT3_llS8_llPT4_lli
    .private_segment_fixed_size: 0
    .sgpr_count:     38
    .sgpr_spill_count: 0
    .symbol:         _ZL23rocblas_trmm_rTx_kernelILi16ELb1E19rocblas_complex_numIdEPKS1_S2_S1_Ev13rocblas_fill_17rocblas_diagonal_iiT2_lPT3_llS8_llPT4_lli.kd
    .uniform_work_group_size: 1
    .uses_dynamic_stack: false
    .vgpr_count:     58
    .vgpr_spill_count: 0
    .wavefront_size: 32
  - .args:
      - .offset:         0
        .size:           4
        .value_kind:     by_value
      - .offset:         4
        .size:           4
        .value_kind:     by_value
      - .offset:         8
        .size:           4
        .value_kind:     by_value
      - .offset:         12
        .size:           4
        .value_kind:     by_value
      - .offset:         16
        .size:           16
        .value_kind:     by_value
      - .offset:         32
        .size:           8
        .value_kind:     by_value
      - .address_space:  global
        .offset:         40
        .size:           8
        .value_kind:     global_buffer
      - .offset:         48
        .size:           8
        .value_kind:     by_value
      - .offset:         56
        .size:           8
        .value_kind:     by_value
      - .address_space:  global
        .offset:         64
        .size:           8
        .value_kind:     global_buffer
      - .offset:         72
        .size:           8
        .value_kind:     by_value
      - .offset:         80
        .size:           8
        .value_kind:     by_value
      - .address_space:  global
        .offset:         88
        .size:           8
        .value_kind:     global_buffer
      - .offset:         96
        .size:           8
        .value_kind:     by_value
      - .offset:         104
        .size:           8
        .value_kind:     by_value
      - .offset:         112
        .size:           4
        .value_kind:     by_value
    .group_segment_fixed_size: 8192
    .kernarg_segment_align: 8
    .kernarg_segment_size: 116
    .language:       OpenCL C
    .language_version:
      - 2
      - 0
    .max_flat_workgroup_size: 256
    .name:           _ZL23rocblas_trmm_rTx_kernelILi16ELb1E19rocblas_complex_numIdES1_KS1_S1_Ev13rocblas_fill_17rocblas_diagonal_iiT2_lPT3_llS7_llPT4_lli
    .private_segment_fixed_size: 0
    .sgpr_count:     37
    .sgpr_spill_count: 0
    .symbol:         _ZL23rocblas_trmm_rTx_kernelILi16ELb1E19rocblas_complex_numIdES1_KS1_S1_Ev13rocblas_fill_17rocblas_diagonal_iiT2_lPT3_llS7_llPT4_lli.kd
    .uniform_work_group_size: 1
    .uses_dynamic_stack: false
    .vgpr_count:     54
    .vgpr_spill_count: 0
    .wavefront_size: 32
  - .args:
      - .offset:         0
        .size:           4
        .value_kind:     by_value
      - .offset:         4
        .size:           4
        .value_kind:     by_value
      - .offset:         8
        .size:           4
        .value_kind:     by_value
      - .offset:         12
        .size:           4
        .value_kind:     by_value
      - .address_space:  global
        .offset:         16
        .size:           8
        .value_kind:     global_buffer
      - .offset:         24
        .size:           8
        .value_kind:     by_value
      - .address_space:  global
        .offset:         32
        .size:           8
        .value_kind:     global_buffer
      - .offset:         40
        .size:           8
        .value_kind:     by_value
      - .offset:         48
        .size:           8
        .value_kind:     by_value
      - .address_space:  global
        .offset:         56
        .size:           8
        .value_kind:     global_buffer
      - .offset:         64
        .size:           8
        .value_kind:     by_value
      - .offset:         72
        .size:           8
        .value_kind:     by_value
      - .address_space:  global
        .offset:         80
        .size:           8
        .value_kind:     global_buffer
      - .offset:         88
        .size:           8
        .value_kind:     by_value
      - .offset:         96
        .size:           8
        .value_kind:     by_value
      - .offset:         104
        .size:           4
        .value_kind:     by_value
    .group_segment_fixed_size: 8192
    .kernarg_segment_align: 8
    .kernarg_segment_size: 108
    .language:       OpenCL C
    .language_version:
      - 2
      - 0
    .max_flat_workgroup_size: 1024
    .name:           _ZL23rocblas_trmm_lNx_kernelILi32EfPKfKS1_KPfEv13rocblas_fill_17rocblas_diagonal_iiT1_lPT2_llS9_llPT3_lli
    .private_segment_fixed_size: 0
    .sgpr_count:     40
    .sgpr_spill_count: 0
    .symbol:         _ZL23rocblas_trmm_lNx_kernelILi32EfPKfKS1_KPfEv13rocblas_fill_17rocblas_diagonal_iiT1_lPT2_llS9_llPT3_lli.kd
    .uniform_work_group_size: 1
    .uses_dynamic_stack: false
    .vgpr_count:     40
    .vgpr_spill_count: 0
    .wavefront_size: 32
  - .args:
      - .offset:         0
        .size:           4
        .value_kind:     by_value
      - .offset:         4
        .size:           4
        .value_kind:     by_value
      - .offset:         8
        .size:           4
        .value_kind:     by_value
      - .offset:         12
        .size:           4
        .value_kind:     by_value
      - .offset:         16
        .size:           4
        .value_kind:     by_value
      - .offset:         24
        .size:           8
        .value_kind:     by_value
      - .address_space:  global
        .offset:         32
        .size:           8
        .value_kind:     global_buffer
      - .offset:         40
        .size:           8
        .value_kind:     by_value
      - .offset:         48
        .size:           8
        .value_kind:     by_value
      - .address_space:  global
        .offset:         56
        .size:           8
        .value_kind:     global_buffer
      - .offset:         64
        .size:           8
        .value_kind:     by_value
      - .offset:         72
        .size:           8
        .value_kind:     by_value
      - .address_space:  global
        .offset:         80
        .size:           8
        .value_kind:     global_buffer
      - .offset:         88
        .size:           8
        .value_kind:     by_value
      - .offset:         96
        .size:           8
        .value_kind:     by_value
      - .offset:         104
        .size:           4
        .value_kind:     by_value
    .group_segment_fixed_size: 8192
    .kernarg_segment_align: 8
    .kernarg_segment_size: 108
    .language:       OpenCL C
    .language_version:
      - 2
      - 0
    .max_flat_workgroup_size: 1024
    .name:           _ZL23rocblas_trmm_lNx_kernelILi32EffKPKfKPfEv13rocblas_fill_17rocblas_diagonal_iiT1_lPT2_llS9_llPT3_lli
    .private_segment_fixed_size: 0
    .sgpr_count:     40
    .sgpr_spill_count: 0
    .symbol:         _ZL23rocblas_trmm_lNx_kernelILi32EffKPKfKPfEv13rocblas_fill_17rocblas_diagonal_iiT1_lPT2_llS9_llPT3_lli.kd
    .uniform_work_group_size: 1
    .uses_dynamic_stack: false
    .vgpr_count:     39
    .vgpr_spill_count: 0
    .wavefront_size: 32
  - .args:
      - .offset:         0
        .size:           4
        .value_kind:     by_value
      - .offset:         4
        .size:           4
        .value_kind:     by_value
      - .offset:         8
        .size:           4
        .value_kind:     by_value
      - .offset:         12
        .size:           4
        .value_kind:     by_value
      - .address_space:  global
        .offset:         16
        .size:           8
        .value_kind:     global_buffer
      - .offset:         24
        .size:           8
        .value_kind:     by_value
      - .address_space:  global
        .offset:         32
        .size:           8
        .value_kind:     global_buffer
      - .offset:         40
        .size:           8
        .value_kind:     by_value
      - .offset:         48
        .size:           8
        .value_kind:     by_value
      - .address_space:  global
        .offset:         56
        .size:           8
        .value_kind:     global_buffer
      - .offset:         64
        .size:           8
        .value_kind:     by_value
      - .offset:         72
        .size:           8
        .value_kind:     by_value
      - .address_space:  global
        .offset:         80
        .size:           8
        .value_kind:     global_buffer
      - .offset:         88
        .size:           8
        .value_kind:     by_value
      - .offset:         96
        .size:           8
        .value_kind:     by_value
      - .offset:         104
        .size:           4
        .value_kind:     by_value
    .group_segment_fixed_size: 8192
    .kernarg_segment_align: 8
    .kernarg_segment_size: 108
    .language:       OpenCL C
    .language_version:
      - 2
      - 0
    .max_flat_workgroup_size: 1024
    .name:           _ZL23rocblas_trmm_lTx_kernelILi32ELb0EfPKfKS1_KPfEv13rocblas_fill_17rocblas_diagonal_iiT2_lPT3_llS9_llPT4_lli
    .private_segment_fixed_size: 0
    .sgpr_count:     40
    .sgpr_spill_count: 0
    .symbol:         _ZL23rocblas_trmm_lTx_kernelILi32ELb0EfPKfKS1_KPfEv13rocblas_fill_17rocblas_diagonal_iiT2_lPT3_llS9_llPT4_lli.kd
    .uniform_work_group_size: 1
    .uses_dynamic_stack: false
    .vgpr_count:     41
    .vgpr_spill_count: 0
    .wavefront_size: 32
  - .args:
      - .offset:         0
        .size:           4
        .value_kind:     by_value
      - .offset:         4
        .size:           4
        .value_kind:     by_value
      - .offset:         8
        .size:           4
        .value_kind:     by_value
      - .offset:         12
        .size:           4
        .value_kind:     by_value
      - .offset:         16
        .size:           4
        .value_kind:     by_value
      - .offset:         24
        .size:           8
        .value_kind:     by_value
      - .address_space:  global
        .offset:         32
        .size:           8
        .value_kind:     global_buffer
      - .offset:         40
        .size:           8
        .value_kind:     by_value
      - .offset:         48
        .size:           8
        .value_kind:     by_value
      - .address_space:  global
        .offset:         56
        .size:           8
        .value_kind:     global_buffer
      - .offset:         64
        .size:           8
        .value_kind:     by_value
      - .offset:         72
        .size:           8
        .value_kind:     by_value
      - .address_space:  global
        .offset:         80
        .size:           8
        .value_kind:     global_buffer
      - .offset:         88
        .size:           8
        .value_kind:     by_value
      - .offset:         96
        .size:           8
        .value_kind:     by_value
      - .offset:         104
        .size:           4
        .value_kind:     by_value
    .group_segment_fixed_size: 8192
    .kernarg_segment_align: 8
    .kernarg_segment_size: 108
    .language:       OpenCL C
    .language_version:
      - 2
      - 0
    .max_flat_workgroup_size: 1024
    .name:           _ZL23rocblas_trmm_lTx_kernelILi32ELb0EffKPKfKPfEv13rocblas_fill_17rocblas_diagonal_iiT2_lPT3_llS9_llPT4_lli
    .private_segment_fixed_size: 0
    .sgpr_count:     37
    .sgpr_spill_count: 0
    .symbol:         _ZL23rocblas_trmm_lTx_kernelILi32ELb0EffKPKfKPfEv13rocblas_fill_17rocblas_diagonal_iiT2_lPT3_llS9_llPT4_lli.kd
    .uniform_work_group_size: 1
    .uses_dynamic_stack: false
    .vgpr_count:     40
    .vgpr_spill_count: 0
    .wavefront_size: 32
  - .args:
      - .offset:         0
        .size:           4
        .value_kind:     by_value
      - .offset:         4
        .size:           4
        .value_kind:     by_value
      - .offset:         8
        .size:           4
        .value_kind:     by_value
      - .offset:         12
        .size:           4
        .value_kind:     by_value
      - .address_space:  global
        .offset:         16
        .size:           8
        .value_kind:     global_buffer
      - .offset:         24
        .size:           8
        .value_kind:     by_value
      - .address_space:  global
        .offset:         32
        .size:           8
        .value_kind:     global_buffer
      - .offset:         40
        .size:           8
        .value_kind:     by_value
      - .offset:         48
        .size:           8
        .value_kind:     by_value
      - .address_space:  global
        .offset:         56
        .size:           8
        .value_kind:     global_buffer
      - .offset:         64
        .size:           8
        .value_kind:     by_value
      - .offset:         72
        .size:           8
        .value_kind:     by_value
      - .address_space:  global
        .offset:         80
        .size:           8
        .value_kind:     global_buffer
      - .offset:         88
        .size:           8
        .value_kind:     by_value
      - .offset:         96
        .size:           8
        .value_kind:     by_value
      - .offset:         104
        .size:           4
        .value_kind:     by_value
    .group_segment_fixed_size: 8192
    .kernarg_segment_align: 8
    .kernarg_segment_size: 108
    .language:       OpenCL C
    .language_version:
      - 2
      - 0
    .max_flat_workgroup_size: 1024
    .name:           _ZL23rocblas_trmm_lTx_kernelILi32ELb1EfPKfKS1_KPfEv13rocblas_fill_17rocblas_diagonal_iiT2_lPT3_llS9_llPT4_lli
    .private_segment_fixed_size: 0
    .sgpr_count:     40
    .sgpr_spill_count: 0
    .symbol:         _ZL23rocblas_trmm_lTx_kernelILi32ELb1EfPKfKS1_KPfEv13rocblas_fill_17rocblas_diagonal_iiT2_lPT3_llS9_llPT4_lli.kd
    .uniform_work_group_size: 1
    .uses_dynamic_stack: false
    .vgpr_count:     41
    .vgpr_spill_count: 0
    .wavefront_size: 32
  - .args:
      - .offset:         0
        .size:           4
        .value_kind:     by_value
      - .offset:         4
        .size:           4
        .value_kind:     by_value
      - .offset:         8
        .size:           4
        .value_kind:     by_value
      - .offset:         12
        .size:           4
        .value_kind:     by_value
      - .offset:         16
        .size:           4
        .value_kind:     by_value
      - .offset:         24
        .size:           8
        .value_kind:     by_value
      - .address_space:  global
        .offset:         32
        .size:           8
        .value_kind:     global_buffer
      - .offset:         40
        .size:           8
        .value_kind:     by_value
      - .offset:         48
        .size:           8
        .value_kind:     by_value
      - .address_space:  global
        .offset:         56
        .size:           8
        .value_kind:     global_buffer
      - .offset:         64
        .size:           8
        .value_kind:     by_value
      - .offset:         72
        .size:           8
        .value_kind:     by_value
      - .address_space:  global
        .offset:         80
        .size:           8
        .value_kind:     global_buffer
      - .offset:         88
        .size:           8
        .value_kind:     by_value
      - .offset:         96
        .size:           8
        .value_kind:     by_value
      - .offset:         104
        .size:           4
        .value_kind:     by_value
    .group_segment_fixed_size: 8192
    .kernarg_segment_align: 8
    .kernarg_segment_size: 108
    .language:       OpenCL C
    .language_version:
      - 2
      - 0
    .max_flat_workgroup_size: 1024
    .name:           _ZL23rocblas_trmm_lTx_kernelILi32ELb1EffKPKfKPfEv13rocblas_fill_17rocblas_diagonal_iiT2_lPT3_llS9_llPT4_lli
    .private_segment_fixed_size: 0
    .sgpr_count:     37
    .sgpr_spill_count: 0
    .symbol:         _ZL23rocblas_trmm_lTx_kernelILi32ELb1EffKPKfKPfEv13rocblas_fill_17rocblas_diagonal_iiT2_lPT3_llS9_llPT4_lli.kd
    .uniform_work_group_size: 1
    .uses_dynamic_stack: false
    .vgpr_count:     40
    .vgpr_spill_count: 0
    .wavefront_size: 32
  - .args:
      - .offset:         0
        .size:           4
        .value_kind:     by_value
      - .offset:         4
        .size:           4
        .value_kind:     by_value
      - .offset:         8
        .size:           4
        .value_kind:     by_value
      - .offset:         12
        .size:           4
        .value_kind:     by_value
      - .address_space:  global
        .offset:         16
        .size:           8
        .value_kind:     global_buffer
      - .offset:         24
        .size:           8
        .value_kind:     by_value
      - .address_space:  global
        .offset:         32
        .size:           8
        .value_kind:     global_buffer
      - .offset:         40
        .size:           8
        .value_kind:     by_value
      - .offset:         48
        .size:           8
        .value_kind:     by_value
      - .address_space:  global
        .offset:         56
        .size:           8
        .value_kind:     global_buffer
      - .offset:         64
        .size:           8
        .value_kind:     by_value
      - .offset:         72
        .size:           8
        .value_kind:     by_value
      - .address_space:  global
        .offset:         80
        .size:           8
        .value_kind:     global_buffer
      - .offset:         88
        .size:           8
        .value_kind:     by_value
      - .offset:         96
        .size:           8
        .value_kind:     by_value
      - .offset:         104
        .size:           4
        .value_kind:     by_value
    .group_segment_fixed_size: 8192
    .kernarg_segment_align: 8
    .kernarg_segment_size: 108
    .language:       OpenCL C
    .language_version:
      - 2
      - 0
    .max_flat_workgroup_size: 1024
    .name:           _ZL23rocblas_trmm_rNx_kernelILi32EfPKfKS1_KPfEv13rocblas_fill_17rocblas_diagonal_iiT1_lPT2_llS9_llPT3_lli
    .private_segment_fixed_size: 0
    .sgpr_count:     38
    .sgpr_spill_count: 0
    .symbol:         _ZL23rocblas_trmm_rNx_kernelILi32EfPKfKS1_KPfEv13rocblas_fill_17rocblas_diagonal_iiT1_lPT2_llS9_llPT3_lli.kd
    .uniform_work_group_size: 1
    .uses_dynamic_stack: false
    .vgpr_count:     40
    .vgpr_spill_count: 0
    .wavefront_size: 32
  - .args:
      - .offset:         0
        .size:           4
        .value_kind:     by_value
      - .offset:         4
        .size:           4
        .value_kind:     by_value
      - .offset:         8
        .size:           4
        .value_kind:     by_value
      - .offset:         12
        .size:           4
        .value_kind:     by_value
      - .offset:         16
        .size:           4
        .value_kind:     by_value
      - .offset:         24
        .size:           8
        .value_kind:     by_value
      - .address_space:  global
        .offset:         32
        .size:           8
        .value_kind:     global_buffer
      - .offset:         40
        .size:           8
        .value_kind:     by_value
      - .offset:         48
        .size:           8
        .value_kind:     by_value
      - .address_space:  global
        .offset:         56
        .size:           8
        .value_kind:     global_buffer
      - .offset:         64
        .size:           8
        .value_kind:     by_value
      - .offset:         72
        .size:           8
        .value_kind:     by_value
      - .address_space:  global
        .offset:         80
        .size:           8
        .value_kind:     global_buffer
      - .offset:         88
        .size:           8
        .value_kind:     by_value
      - .offset:         96
        .size:           8
        .value_kind:     by_value
      - .offset:         104
        .size:           4
        .value_kind:     by_value
    .group_segment_fixed_size: 8192
    .kernarg_segment_align: 8
    .kernarg_segment_size: 108
    .language:       OpenCL C
    .language_version:
      - 2
      - 0
    .max_flat_workgroup_size: 1024
    .name:           _ZL23rocblas_trmm_rNx_kernelILi32EffKPKfKPfEv13rocblas_fill_17rocblas_diagonal_iiT1_lPT2_llS9_llPT3_lli
    .private_segment_fixed_size: 0
    .sgpr_count:     34
    .sgpr_spill_count: 0
    .symbol:         _ZL23rocblas_trmm_rNx_kernelILi32EffKPKfKPfEv13rocblas_fill_17rocblas_diagonal_iiT1_lPT2_llS9_llPT3_lli.kd
    .uniform_work_group_size: 1
    .uses_dynamic_stack: false
    .vgpr_count:     39
    .vgpr_spill_count: 0
    .wavefront_size: 32
  - .args:
      - .offset:         0
        .size:           4
        .value_kind:     by_value
      - .offset:         4
        .size:           4
        .value_kind:     by_value
      - .offset:         8
        .size:           4
        .value_kind:     by_value
      - .offset:         12
        .size:           4
        .value_kind:     by_value
      - .address_space:  global
        .offset:         16
        .size:           8
        .value_kind:     global_buffer
      - .offset:         24
        .size:           8
        .value_kind:     by_value
      - .address_space:  global
        .offset:         32
        .size:           8
        .value_kind:     global_buffer
      - .offset:         40
        .size:           8
        .value_kind:     by_value
      - .offset:         48
        .size:           8
        .value_kind:     by_value
      - .address_space:  global
        .offset:         56
        .size:           8
        .value_kind:     global_buffer
      - .offset:         64
        .size:           8
        .value_kind:     by_value
      - .offset:         72
        .size:           8
        .value_kind:     by_value
      - .address_space:  global
        .offset:         80
        .size:           8
        .value_kind:     global_buffer
      - .offset:         88
        .size:           8
        .value_kind:     by_value
      - .offset:         96
        .size:           8
        .value_kind:     by_value
      - .offset:         104
        .size:           4
        .value_kind:     by_value
    .group_segment_fixed_size: 8192
    .kernarg_segment_align: 8
    .kernarg_segment_size: 108
    .language:       OpenCL C
    .language_version:
      - 2
      - 0
    .max_flat_workgroup_size: 1024
    .name:           _ZL23rocblas_trmm_rTx_kernelILi32ELb0EfPKfKS1_KPfEv13rocblas_fill_17rocblas_diagonal_iiT2_lPT3_llS9_llPT4_lli
    .private_segment_fixed_size: 0
    .sgpr_count:     38
    .sgpr_spill_count: 0
    .symbol:         _ZL23rocblas_trmm_rTx_kernelILi32ELb0EfPKfKS1_KPfEv13rocblas_fill_17rocblas_diagonal_iiT2_lPT3_llS9_llPT4_lli.kd
    .uniform_work_group_size: 1
    .uses_dynamic_stack: false
    .vgpr_count:     39
    .vgpr_spill_count: 0
    .wavefront_size: 32
  - .args:
      - .offset:         0
        .size:           4
        .value_kind:     by_value
      - .offset:         4
        .size:           4
        .value_kind:     by_value
      - .offset:         8
        .size:           4
        .value_kind:     by_value
      - .offset:         12
        .size:           4
        .value_kind:     by_value
      - .offset:         16
        .size:           4
        .value_kind:     by_value
      - .offset:         24
        .size:           8
        .value_kind:     by_value
      - .address_space:  global
        .offset:         32
        .size:           8
        .value_kind:     global_buffer
      - .offset:         40
        .size:           8
        .value_kind:     by_value
      - .offset:         48
        .size:           8
        .value_kind:     by_value
      - .address_space:  global
        .offset:         56
        .size:           8
        .value_kind:     global_buffer
      - .offset:         64
        .size:           8
        .value_kind:     by_value
      - .offset:         72
        .size:           8
        .value_kind:     by_value
      - .address_space:  global
        .offset:         80
        .size:           8
        .value_kind:     global_buffer
      - .offset:         88
        .size:           8
        .value_kind:     by_value
      - .offset:         96
        .size:           8
        .value_kind:     by_value
      - .offset:         104
        .size:           4
        .value_kind:     by_value
    .group_segment_fixed_size: 8192
    .kernarg_segment_align: 8
    .kernarg_segment_size: 108
    .language:       OpenCL C
    .language_version:
      - 2
      - 0
    .max_flat_workgroup_size: 1024
    .name:           _ZL23rocblas_trmm_rTx_kernelILi32ELb0EffKPKfKPfEv13rocblas_fill_17rocblas_diagonal_iiT2_lPT3_llS9_llPT4_lli
    .private_segment_fixed_size: 0
    .sgpr_count:     34
    .sgpr_spill_count: 0
    .symbol:         _ZL23rocblas_trmm_rTx_kernelILi32ELb0EffKPKfKPfEv13rocblas_fill_17rocblas_diagonal_iiT2_lPT3_llS9_llPT4_lli.kd
    .uniform_work_group_size: 1
    .uses_dynamic_stack: false
    .vgpr_count:     38
    .vgpr_spill_count: 0
    .wavefront_size: 32
  - .args:
      - .offset:         0
        .size:           4
        .value_kind:     by_value
      - .offset:         4
        .size:           4
        .value_kind:     by_value
      - .offset:         8
        .size:           4
        .value_kind:     by_value
      - .offset:         12
        .size:           4
        .value_kind:     by_value
      - .address_space:  global
        .offset:         16
        .size:           8
        .value_kind:     global_buffer
      - .offset:         24
        .size:           8
        .value_kind:     by_value
      - .address_space:  global
        .offset:         32
        .size:           8
        .value_kind:     global_buffer
      - .offset:         40
        .size:           8
        .value_kind:     by_value
      - .offset:         48
        .size:           8
        .value_kind:     by_value
      - .address_space:  global
        .offset:         56
        .size:           8
        .value_kind:     global_buffer
      - .offset:         64
        .size:           8
        .value_kind:     by_value
      - .offset:         72
        .size:           8
        .value_kind:     by_value
      - .address_space:  global
        .offset:         80
        .size:           8
        .value_kind:     global_buffer
      - .offset:         88
        .size:           8
        .value_kind:     by_value
      - .offset:         96
        .size:           8
        .value_kind:     by_value
      - .offset:         104
        .size:           4
        .value_kind:     by_value
    .group_segment_fixed_size: 8192
    .kernarg_segment_align: 8
    .kernarg_segment_size: 108
    .language:       OpenCL C
    .language_version:
      - 2
      - 0
    .max_flat_workgroup_size: 1024
    .name:           _ZL23rocblas_trmm_rTx_kernelILi32ELb1EfPKfKS1_KPfEv13rocblas_fill_17rocblas_diagonal_iiT2_lPT3_llS9_llPT4_lli
    .private_segment_fixed_size: 0
    .sgpr_count:     38
    .sgpr_spill_count: 0
    .symbol:         _ZL23rocblas_trmm_rTx_kernelILi32ELb1EfPKfKS1_KPfEv13rocblas_fill_17rocblas_diagonal_iiT2_lPT3_llS9_llPT4_lli.kd
    .uniform_work_group_size: 1
    .uses_dynamic_stack: false
    .vgpr_count:     39
    .vgpr_spill_count: 0
    .wavefront_size: 32
  - .args:
      - .offset:         0
        .size:           4
        .value_kind:     by_value
      - .offset:         4
        .size:           4
        .value_kind:     by_value
      - .offset:         8
        .size:           4
        .value_kind:     by_value
      - .offset:         12
        .size:           4
        .value_kind:     by_value
      - .offset:         16
        .size:           4
        .value_kind:     by_value
      - .offset:         24
        .size:           8
        .value_kind:     by_value
      - .address_space:  global
        .offset:         32
        .size:           8
        .value_kind:     global_buffer
      - .offset:         40
        .size:           8
        .value_kind:     by_value
      - .offset:         48
        .size:           8
        .value_kind:     by_value
      - .address_space:  global
        .offset:         56
        .size:           8
        .value_kind:     global_buffer
      - .offset:         64
        .size:           8
        .value_kind:     by_value
      - .offset:         72
        .size:           8
        .value_kind:     by_value
      - .address_space:  global
        .offset:         80
        .size:           8
        .value_kind:     global_buffer
      - .offset:         88
        .size:           8
        .value_kind:     by_value
      - .offset:         96
        .size:           8
        .value_kind:     by_value
      - .offset:         104
        .size:           4
        .value_kind:     by_value
    .group_segment_fixed_size: 8192
    .kernarg_segment_align: 8
    .kernarg_segment_size: 108
    .language:       OpenCL C
    .language_version:
      - 2
      - 0
    .max_flat_workgroup_size: 1024
    .name:           _ZL23rocblas_trmm_rTx_kernelILi32ELb1EffKPKfKPfEv13rocblas_fill_17rocblas_diagonal_iiT2_lPT3_llS9_llPT4_lli
    .private_segment_fixed_size: 0
    .sgpr_count:     34
    .sgpr_spill_count: 0
    .symbol:         _ZL23rocblas_trmm_rTx_kernelILi32ELb1EffKPKfKPfEv13rocblas_fill_17rocblas_diagonal_iiT2_lPT3_llS9_llPT4_lli.kd
    .uniform_work_group_size: 1
    .uses_dynamic_stack: false
    .vgpr_count:     38
    .vgpr_spill_count: 0
    .wavefront_size: 32
  - .args:
      - .offset:         0
        .size:           4
        .value_kind:     by_value
      - .offset:         4
        .size:           4
        .value_kind:     by_value
      - .offset:         8
        .size:           4
        .value_kind:     by_value
      - .offset:         12
        .size:           4
        .value_kind:     by_value
      - .address_space:  global
        .offset:         16
        .size:           8
        .value_kind:     global_buffer
      - .offset:         24
        .size:           8
        .value_kind:     by_value
      - .address_space:  global
        .offset:         32
        .size:           8
        .value_kind:     global_buffer
      - .offset:         40
        .size:           8
        .value_kind:     by_value
      - .offset:         48
        .size:           8
        .value_kind:     by_value
      - .address_space:  global
        .offset:         56
        .size:           8
        .value_kind:     global_buffer
      - .offset:         64
        .size:           8
        .value_kind:     by_value
      - .offset:         72
        .size:           8
        .value_kind:     by_value
      - .address_space:  global
        .offset:         80
        .size:           8
        .value_kind:     global_buffer
      - .offset:         88
        .size:           8
        .value_kind:     by_value
      - .offset:         96
        .size:           8
        .value_kind:     by_value
      - .offset:         104
        .size:           4
        .value_kind:     by_value
    .group_segment_fixed_size: 16384
    .kernarg_segment_align: 8
    .kernarg_segment_size: 108
    .language:       OpenCL C
    .language_version:
      - 2
      - 0
    .max_flat_workgroup_size: 1024
    .name:           _ZL23rocblas_trmm_lNx_kernelILi32EdPKdKS1_KPdEv13rocblas_fill_17rocblas_diagonal_iiT1_lPT2_llS9_llPT3_lli
    .private_segment_fixed_size: 0
    .sgpr_count:     40
    .sgpr_spill_count: 0
    .symbol:         _ZL23rocblas_trmm_lNx_kernelILi32EdPKdKS1_KPdEv13rocblas_fill_17rocblas_diagonal_iiT1_lPT2_llS9_llPT3_lli.kd
    .uniform_work_group_size: 1
    .uses_dynamic_stack: false
    .vgpr_count:     38
    .vgpr_spill_count: 0
    .wavefront_size: 32
  - .args:
      - .offset:         0
        .size:           4
        .value_kind:     by_value
      - .offset:         4
        .size:           4
        .value_kind:     by_value
      - .offset:         8
        .size:           4
        .value_kind:     by_value
      - .offset:         12
        .size:           4
        .value_kind:     by_value
      - .offset:         16
        .size:           8
        .value_kind:     by_value
      - .offset:         24
        .size:           8
        .value_kind:     by_value
      - .address_space:  global
        .offset:         32
        .size:           8
        .value_kind:     global_buffer
      - .offset:         40
        .size:           8
        .value_kind:     by_value
      - .offset:         48
        .size:           8
        .value_kind:     by_value
      - .address_space:  global
        .offset:         56
        .size:           8
        .value_kind:     global_buffer
      - .offset:         64
        .size:           8
        .value_kind:     by_value
      - .offset:         72
        .size:           8
        .value_kind:     by_value
      - .address_space:  global
        .offset:         80
        .size:           8
        .value_kind:     global_buffer
      - .offset:         88
        .size:           8
        .value_kind:     by_value
      - .offset:         96
        .size:           8
        .value_kind:     by_value
      - .offset:         104
        .size:           4
        .value_kind:     by_value
    .group_segment_fixed_size: 16384
    .kernarg_segment_align: 8
    .kernarg_segment_size: 108
    .language:       OpenCL C
    .language_version:
      - 2
      - 0
    .max_flat_workgroup_size: 1024
    .name:           _ZL23rocblas_trmm_lNx_kernelILi32EddKPKdKPdEv13rocblas_fill_17rocblas_diagonal_iiT1_lPT2_llS9_llPT3_lli
    .private_segment_fixed_size: 0
    .sgpr_count:     40
    .sgpr_spill_count: 0
    .symbol:         _ZL23rocblas_trmm_lNx_kernelILi32EddKPKdKPdEv13rocblas_fill_17rocblas_diagonal_iiT1_lPT2_llS9_llPT3_lli.kd
    .uniform_work_group_size: 1
    .uses_dynamic_stack: false
    .vgpr_count:     36
    .vgpr_spill_count: 0
    .wavefront_size: 32
  - .args:
      - .offset:         0
        .size:           4
        .value_kind:     by_value
      - .offset:         4
        .size:           4
        .value_kind:     by_value
      - .offset:         8
        .size:           4
        .value_kind:     by_value
      - .offset:         12
        .size:           4
        .value_kind:     by_value
      - .address_space:  global
        .offset:         16
        .size:           8
        .value_kind:     global_buffer
      - .offset:         24
        .size:           8
        .value_kind:     by_value
      - .address_space:  global
        .offset:         32
        .size:           8
        .value_kind:     global_buffer
      - .offset:         40
        .size:           8
        .value_kind:     by_value
      - .offset:         48
        .size:           8
        .value_kind:     by_value
      - .address_space:  global
        .offset:         56
        .size:           8
        .value_kind:     global_buffer
      - .offset:         64
        .size:           8
        .value_kind:     by_value
      - .offset:         72
        .size:           8
        .value_kind:     by_value
      - .address_space:  global
        .offset:         80
        .size:           8
        .value_kind:     global_buffer
      - .offset:         88
        .size:           8
        .value_kind:     by_value
      - .offset:         96
        .size:           8
        .value_kind:     by_value
      - .offset:         104
        .size:           4
        .value_kind:     by_value
    .group_segment_fixed_size: 16384
    .kernarg_segment_align: 8
    .kernarg_segment_size: 108
    .language:       OpenCL C
    .language_version:
      - 2
      - 0
    .max_flat_workgroup_size: 1024
    .name:           _ZL23rocblas_trmm_lTx_kernelILi32ELb0EdPKdKS1_KPdEv13rocblas_fill_17rocblas_diagonal_iiT2_lPT3_llS9_llPT4_lli
    .private_segment_fixed_size: 0
    .sgpr_count:     40
    .sgpr_spill_count: 0
    .symbol:         _ZL23rocblas_trmm_lTx_kernelILi32ELb0EdPKdKS1_KPdEv13rocblas_fill_17rocblas_diagonal_iiT2_lPT3_llS9_llPT4_lli.kd
    .uniform_work_group_size: 1
    .uses_dynamic_stack: false
    .vgpr_count:     40
    .vgpr_spill_count: 0
    .wavefront_size: 32
  - .args:
      - .offset:         0
        .size:           4
        .value_kind:     by_value
      - .offset:         4
        .size:           4
        .value_kind:     by_value
      - .offset:         8
        .size:           4
        .value_kind:     by_value
      - .offset:         12
        .size:           4
        .value_kind:     by_value
      - .offset:         16
        .size:           8
        .value_kind:     by_value
      - .offset:         24
        .size:           8
        .value_kind:     by_value
      - .address_space:  global
        .offset:         32
        .size:           8
        .value_kind:     global_buffer
      - .offset:         40
        .size:           8
        .value_kind:     by_value
      - .offset:         48
        .size:           8
        .value_kind:     by_value
      - .address_space:  global
        .offset:         56
        .size:           8
        .value_kind:     global_buffer
      - .offset:         64
        .size:           8
        .value_kind:     by_value
      - .offset:         72
        .size:           8
        .value_kind:     by_value
      - .address_space:  global
        .offset:         80
        .size:           8
        .value_kind:     global_buffer
      - .offset:         88
        .size:           8
        .value_kind:     by_value
      - .offset:         96
        .size:           8
        .value_kind:     by_value
      - .offset:         104
        .size:           4
        .value_kind:     by_value
    .group_segment_fixed_size: 16384
    .kernarg_segment_align: 8
    .kernarg_segment_size: 108
    .language:       OpenCL C
    .language_version:
      - 2
      - 0
    .max_flat_workgroup_size: 1024
    .name:           _ZL23rocblas_trmm_lTx_kernelILi32ELb0EddKPKdKPdEv13rocblas_fill_17rocblas_diagonal_iiT2_lPT3_llS9_llPT4_lli
    .private_segment_fixed_size: 0
    .sgpr_count:     40
    .sgpr_spill_count: 0
    .symbol:         _ZL23rocblas_trmm_lTx_kernelILi32ELb0EddKPKdKPdEv13rocblas_fill_17rocblas_diagonal_iiT2_lPT3_llS9_llPT4_lli.kd
    .uniform_work_group_size: 1
    .uses_dynamic_stack: false
    .vgpr_count:     38
    .vgpr_spill_count: 0
    .wavefront_size: 32
  - .args:
      - .offset:         0
        .size:           4
        .value_kind:     by_value
      - .offset:         4
        .size:           4
        .value_kind:     by_value
      - .offset:         8
        .size:           4
        .value_kind:     by_value
      - .offset:         12
        .size:           4
        .value_kind:     by_value
      - .address_space:  global
        .offset:         16
        .size:           8
        .value_kind:     global_buffer
      - .offset:         24
        .size:           8
        .value_kind:     by_value
      - .address_space:  global
        .offset:         32
        .size:           8
        .value_kind:     global_buffer
      - .offset:         40
        .size:           8
        .value_kind:     by_value
      - .offset:         48
        .size:           8
        .value_kind:     by_value
      - .address_space:  global
        .offset:         56
        .size:           8
        .value_kind:     global_buffer
      - .offset:         64
        .size:           8
        .value_kind:     by_value
      - .offset:         72
        .size:           8
        .value_kind:     by_value
      - .address_space:  global
        .offset:         80
        .size:           8
        .value_kind:     global_buffer
      - .offset:         88
        .size:           8
        .value_kind:     by_value
      - .offset:         96
        .size:           8
        .value_kind:     by_value
      - .offset:         104
        .size:           4
        .value_kind:     by_value
    .group_segment_fixed_size: 16384
    .kernarg_segment_align: 8
    .kernarg_segment_size: 108
    .language:       OpenCL C
    .language_version:
      - 2
      - 0
    .max_flat_workgroup_size: 1024
    .name:           _ZL23rocblas_trmm_lTx_kernelILi32ELb1EdPKdKS1_KPdEv13rocblas_fill_17rocblas_diagonal_iiT2_lPT3_llS9_llPT4_lli
    .private_segment_fixed_size: 0
    .sgpr_count:     40
    .sgpr_spill_count: 0
    .symbol:         _ZL23rocblas_trmm_lTx_kernelILi32ELb1EdPKdKS1_KPdEv13rocblas_fill_17rocblas_diagonal_iiT2_lPT3_llS9_llPT4_lli.kd
    .uniform_work_group_size: 1
    .uses_dynamic_stack: false
    .vgpr_count:     40
    .vgpr_spill_count: 0
    .wavefront_size: 32
  - .args:
      - .offset:         0
        .size:           4
        .value_kind:     by_value
      - .offset:         4
        .size:           4
        .value_kind:     by_value
      - .offset:         8
        .size:           4
        .value_kind:     by_value
      - .offset:         12
        .size:           4
        .value_kind:     by_value
      - .offset:         16
        .size:           8
        .value_kind:     by_value
      - .offset:         24
        .size:           8
        .value_kind:     by_value
      - .address_space:  global
        .offset:         32
        .size:           8
        .value_kind:     global_buffer
      - .offset:         40
        .size:           8
        .value_kind:     by_value
      - .offset:         48
        .size:           8
        .value_kind:     by_value
      - .address_space:  global
        .offset:         56
        .size:           8
        .value_kind:     global_buffer
      - .offset:         64
        .size:           8
        .value_kind:     by_value
      - .offset:         72
        .size:           8
        .value_kind:     by_value
      - .address_space:  global
        .offset:         80
        .size:           8
        .value_kind:     global_buffer
      - .offset:         88
        .size:           8
        .value_kind:     by_value
      - .offset:         96
        .size:           8
        .value_kind:     by_value
      - .offset:         104
        .size:           4
        .value_kind:     by_value
    .group_segment_fixed_size: 16384
    .kernarg_segment_align: 8
    .kernarg_segment_size: 108
    .language:       OpenCL C
    .language_version:
      - 2
      - 0
    .max_flat_workgroup_size: 1024
    .name:           _ZL23rocblas_trmm_lTx_kernelILi32ELb1EddKPKdKPdEv13rocblas_fill_17rocblas_diagonal_iiT2_lPT3_llS9_llPT4_lli
    .private_segment_fixed_size: 0
    .sgpr_count:     40
    .sgpr_spill_count: 0
    .symbol:         _ZL23rocblas_trmm_lTx_kernelILi32ELb1EddKPKdKPdEv13rocblas_fill_17rocblas_diagonal_iiT2_lPT3_llS9_llPT4_lli.kd
    .uniform_work_group_size: 1
    .uses_dynamic_stack: false
    .vgpr_count:     38
    .vgpr_spill_count: 0
    .wavefront_size: 32
  - .args:
      - .offset:         0
        .size:           4
        .value_kind:     by_value
      - .offset:         4
        .size:           4
        .value_kind:     by_value
      - .offset:         8
        .size:           4
        .value_kind:     by_value
      - .offset:         12
        .size:           4
        .value_kind:     by_value
      - .address_space:  global
        .offset:         16
        .size:           8
        .value_kind:     global_buffer
      - .offset:         24
        .size:           8
        .value_kind:     by_value
      - .address_space:  global
        .offset:         32
        .size:           8
        .value_kind:     global_buffer
      - .offset:         40
        .size:           8
        .value_kind:     by_value
      - .offset:         48
        .size:           8
        .value_kind:     by_value
      - .address_space:  global
        .offset:         56
        .size:           8
        .value_kind:     global_buffer
      - .offset:         64
        .size:           8
        .value_kind:     by_value
      - .offset:         72
        .size:           8
        .value_kind:     by_value
      - .address_space:  global
        .offset:         80
        .size:           8
        .value_kind:     global_buffer
      - .offset:         88
        .size:           8
        .value_kind:     by_value
      - .offset:         96
        .size:           8
        .value_kind:     by_value
      - .offset:         104
        .size:           4
        .value_kind:     by_value
    .group_segment_fixed_size: 16384
    .kernarg_segment_align: 8
    .kernarg_segment_size: 108
    .language:       OpenCL C
    .language_version:
      - 2
      - 0
    .max_flat_workgroup_size: 1024
    .name:           _ZL23rocblas_trmm_rNx_kernelILi32EdPKdKS1_KPdEv13rocblas_fill_17rocblas_diagonal_iiT1_lPT2_llS9_llPT3_lli
    .private_segment_fixed_size: 0
    .sgpr_count:     38
    .sgpr_spill_count: 0
    .symbol:         _ZL23rocblas_trmm_rNx_kernelILi32EdPKdKS1_KPdEv13rocblas_fill_17rocblas_diagonal_iiT1_lPT2_llS9_llPT3_lli.kd
    .uniform_work_group_size: 1
    .uses_dynamic_stack: false
    .vgpr_count:     38
    .vgpr_spill_count: 0
    .wavefront_size: 32
  - .args:
      - .offset:         0
        .size:           4
        .value_kind:     by_value
      - .offset:         4
        .size:           4
        .value_kind:     by_value
      - .offset:         8
        .size:           4
        .value_kind:     by_value
      - .offset:         12
        .size:           4
        .value_kind:     by_value
      - .offset:         16
        .size:           8
        .value_kind:     by_value
      - .offset:         24
        .size:           8
        .value_kind:     by_value
      - .address_space:  global
        .offset:         32
        .size:           8
        .value_kind:     global_buffer
      - .offset:         40
        .size:           8
        .value_kind:     by_value
      - .offset:         48
        .size:           8
        .value_kind:     by_value
      - .address_space:  global
        .offset:         56
        .size:           8
        .value_kind:     global_buffer
      - .offset:         64
        .size:           8
        .value_kind:     by_value
      - .offset:         72
        .size:           8
        .value_kind:     by_value
      - .address_space:  global
        .offset:         80
        .size:           8
        .value_kind:     global_buffer
      - .offset:         88
        .size:           8
        .value_kind:     by_value
      - .offset:         96
        .size:           8
        .value_kind:     by_value
      - .offset:         104
        .size:           4
        .value_kind:     by_value
    .group_segment_fixed_size: 16384
    .kernarg_segment_align: 8
    .kernarg_segment_size: 108
    .language:       OpenCL C
    .language_version:
      - 2
      - 0
    .max_flat_workgroup_size: 1024
    .name:           _ZL23rocblas_trmm_rNx_kernelILi32EddKPKdKPdEv13rocblas_fill_17rocblas_diagonal_iiT1_lPT2_llS9_llPT3_lli
    .private_segment_fixed_size: 0
    .sgpr_count:     38
    .sgpr_spill_count: 0
    .symbol:         _ZL23rocblas_trmm_rNx_kernelILi32EddKPKdKPdEv13rocblas_fill_17rocblas_diagonal_iiT1_lPT2_llS9_llPT3_lli.kd
    .uniform_work_group_size: 1
    .uses_dynamic_stack: false
    .vgpr_count:     36
    .vgpr_spill_count: 0
    .wavefront_size: 32
  - .args:
      - .offset:         0
        .size:           4
        .value_kind:     by_value
      - .offset:         4
        .size:           4
        .value_kind:     by_value
      - .offset:         8
        .size:           4
        .value_kind:     by_value
      - .offset:         12
        .size:           4
        .value_kind:     by_value
      - .address_space:  global
        .offset:         16
        .size:           8
        .value_kind:     global_buffer
      - .offset:         24
        .size:           8
        .value_kind:     by_value
      - .address_space:  global
        .offset:         32
        .size:           8
        .value_kind:     global_buffer
      - .offset:         40
        .size:           8
        .value_kind:     by_value
      - .offset:         48
        .size:           8
        .value_kind:     by_value
      - .address_space:  global
        .offset:         56
        .size:           8
        .value_kind:     global_buffer
      - .offset:         64
        .size:           8
        .value_kind:     by_value
      - .offset:         72
        .size:           8
        .value_kind:     by_value
      - .address_space:  global
        .offset:         80
        .size:           8
        .value_kind:     global_buffer
      - .offset:         88
        .size:           8
        .value_kind:     by_value
      - .offset:         96
        .size:           8
        .value_kind:     by_value
      - .offset:         104
        .size:           4
        .value_kind:     by_value
    .group_segment_fixed_size: 16384
    .kernarg_segment_align: 8
    .kernarg_segment_size: 108
    .language:       OpenCL C
    .language_version:
      - 2
      - 0
    .max_flat_workgroup_size: 1024
    .name:           _ZL23rocblas_trmm_rTx_kernelILi32ELb0EdPKdKS1_KPdEv13rocblas_fill_17rocblas_diagonal_iiT2_lPT3_llS9_llPT4_lli
    .private_segment_fixed_size: 0
    .sgpr_count:     38
    .sgpr_spill_count: 0
    .symbol:         _ZL23rocblas_trmm_rTx_kernelILi32ELb0EdPKdKS1_KPdEv13rocblas_fill_17rocblas_diagonal_iiT2_lPT3_llS9_llPT4_lli.kd
    .uniform_work_group_size: 1
    .uses_dynamic_stack: false
    .vgpr_count:     36
    .vgpr_spill_count: 0
    .wavefront_size: 32
  - .args:
      - .offset:         0
        .size:           4
        .value_kind:     by_value
      - .offset:         4
        .size:           4
        .value_kind:     by_value
      - .offset:         8
        .size:           4
        .value_kind:     by_value
      - .offset:         12
        .size:           4
        .value_kind:     by_value
      - .offset:         16
        .size:           8
        .value_kind:     by_value
      - .offset:         24
        .size:           8
        .value_kind:     by_value
      - .address_space:  global
        .offset:         32
        .size:           8
        .value_kind:     global_buffer
      - .offset:         40
        .size:           8
        .value_kind:     by_value
      - .offset:         48
        .size:           8
        .value_kind:     by_value
      - .address_space:  global
        .offset:         56
        .size:           8
        .value_kind:     global_buffer
      - .offset:         64
        .size:           8
        .value_kind:     by_value
      - .offset:         72
        .size:           8
        .value_kind:     by_value
      - .address_space:  global
        .offset:         80
        .size:           8
        .value_kind:     global_buffer
      - .offset:         88
        .size:           8
        .value_kind:     by_value
      - .offset:         96
        .size:           8
        .value_kind:     by_value
      - .offset:         104
        .size:           4
        .value_kind:     by_value
    .group_segment_fixed_size: 16384
    .kernarg_segment_align: 8
    .kernarg_segment_size: 108
    .language:       OpenCL C
    .language_version:
      - 2
      - 0
    .max_flat_workgroup_size: 1024
    .name:           _ZL23rocblas_trmm_rTx_kernelILi32ELb0EddKPKdKPdEv13rocblas_fill_17rocblas_diagonal_iiT2_lPT3_llS9_llPT4_lli
    .private_segment_fixed_size: 0
    .sgpr_count:     37
    .sgpr_spill_count: 0
    .symbol:         _ZL23rocblas_trmm_rTx_kernelILi32ELb0EddKPKdKPdEv13rocblas_fill_17rocblas_diagonal_iiT2_lPT3_llS9_llPT4_lli.kd
    .uniform_work_group_size: 1
    .uses_dynamic_stack: false
    .vgpr_count:     34
    .vgpr_spill_count: 0
    .wavefront_size: 32
  - .args:
      - .offset:         0
        .size:           4
        .value_kind:     by_value
      - .offset:         4
        .size:           4
        .value_kind:     by_value
      - .offset:         8
        .size:           4
        .value_kind:     by_value
      - .offset:         12
        .size:           4
        .value_kind:     by_value
      - .address_space:  global
        .offset:         16
        .size:           8
        .value_kind:     global_buffer
      - .offset:         24
        .size:           8
        .value_kind:     by_value
      - .address_space:  global
        .offset:         32
        .size:           8
        .value_kind:     global_buffer
      - .offset:         40
        .size:           8
        .value_kind:     by_value
      - .offset:         48
        .size:           8
        .value_kind:     by_value
      - .address_space:  global
        .offset:         56
        .size:           8
        .value_kind:     global_buffer
      - .offset:         64
        .size:           8
        .value_kind:     by_value
      - .offset:         72
        .size:           8
        .value_kind:     by_value
      - .address_space:  global
        .offset:         80
        .size:           8
        .value_kind:     global_buffer
      - .offset:         88
        .size:           8
        .value_kind:     by_value
      - .offset:         96
        .size:           8
        .value_kind:     by_value
      - .offset:         104
        .size:           4
        .value_kind:     by_value
    .group_segment_fixed_size: 16384
    .kernarg_segment_align: 8
    .kernarg_segment_size: 108
    .language:       OpenCL C
    .language_version:
      - 2
      - 0
    .max_flat_workgroup_size: 1024
    .name:           _ZL23rocblas_trmm_rTx_kernelILi32ELb1EdPKdKS1_KPdEv13rocblas_fill_17rocblas_diagonal_iiT2_lPT3_llS9_llPT4_lli
    .private_segment_fixed_size: 0
    .sgpr_count:     38
    .sgpr_spill_count: 0
    .symbol:         _ZL23rocblas_trmm_rTx_kernelILi32ELb1EdPKdKS1_KPdEv13rocblas_fill_17rocblas_diagonal_iiT2_lPT3_llS9_llPT4_lli.kd
    .uniform_work_group_size: 1
    .uses_dynamic_stack: false
    .vgpr_count:     36
    .vgpr_spill_count: 0
    .wavefront_size: 32
  - .args:
      - .offset:         0
        .size:           4
        .value_kind:     by_value
      - .offset:         4
        .size:           4
        .value_kind:     by_value
      - .offset:         8
        .size:           4
        .value_kind:     by_value
      - .offset:         12
        .size:           4
        .value_kind:     by_value
      - .offset:         16
        .size:           8
        .value_kind:     by_value
      - .offset:         24
        .size:           8
        .value_kind:     by_value
      - .address_space:  global
        .offset:         32
        .size:           8
        .value_kind:     global_buffer
      - .offset:         40
        .size:           8
        .value_kind:     by_value
      - .offset:         48
        .size:           8
        .value_kind:     by_value
      - .address_space:  global
        .offset:         56
        .size:           8
        .value_kind:     global_buffer
      - .offset:         64
        .size:           8
        .value_kind:     by_value
      - .offset:         72
        .size:           8
        .value_kind:     by_value
      - .address_space:  global
        .offset:         80
        .size:           8
        .value_kind:     global_buffer
      - .offset:         88
        .size:           8
        .value_kind:     by_value
      - .offset:         96
        .size:           8
        .value_kind:     by_value
      - .offset:         104
        .size:           4
        .value_kind:     by_value
    .group_segment_fixed_size: 16384
    .kernarg_segment_align: 8
    .kernarg_segment_size: 108
    .language:       OpenCL C
    .language_version:
      - 2
      - 0
    .max_flat_workgroup_size: 1024
    .name:           _ZL23rocblas_trmm_rTx_kernelILi32ELb1EddKPKdKPdEv13rocblas_fill_17rocblas_diagonal_iiT2_lPT3_llS9_llPT4_lli
    .private_segment_fixed_size: 0
    .sgpr_count:     37
    .sgpr_spill_count: 0
    .symbol:         _ZL23rocblas_trmm_rTx_kernelILi32ELb1EddKPKdKPdEv13rocblas_fill_17rocblas_diagonal_iiT2_lPT3_llS9_llPT4_lli.kd
    .uniform_work_group_size: 1
    .uses_dynamic_stack: false
    .vgpr_count:     34
    .vgpr_spill_count: 0
    .wavefront_size: 32
  - .args:
      - .offset:         0
        .size:           4
        .value_kind:     by_value
      - .offset:         4
        .size:           4
        .value_kind:     by_value
      - .offset:         8
        .size:           4
        .value_kind:     by_value
      - .offset:         12
        .size:           4
        .value_kind:     by_value
      - .address_space:  global
        .offset:         16
        .size:           8
        .value_kind:     global_buffer
      - .offset:         24
        .size:           8
        .value_kind:     by_value
      - .address_space:  global
        .offset:         32
        .size:           8
        .value_kind:     global_buffer
      - .offset:         40
        .size:           8
        .value_kind:     by_value
      - .offset:         48
        .size:           8
        .value_kind:     by_value
      - .address_space:  global
        .offset:         56
        .size:           8
        .value_kind:     global_buffer
      - .offset:         64
        .size:           8
        .value_kind:     by_value
      - .offset:         72
        .size:           8
        .value_kind:     by_value
      - .address_space:  global
        .offset:         80
        .size:           8
        .value_kind:     global_buffer
      - .offset:         88
        .size:           8
        .value_kind:     by_value
      - .offset:         96
        .size:           8
        .value_kind:     by_value
      - .offset:         104
        .size:           4
        .value_kind:     by_value
    .group_segment_fixed_size: 4096
    .kernarg_segment_align: 8
    .kernarg_segment_size: 108
    .language:       OpenCL C
    .language_version:
      - 2
      - 0
    .max_flat_workgroup_size: 256
    .name:           _ZL23rocblas_trmm_lNx_kernelILi16E19rocblas_complex_numIfEPKS1_KS3_KPS1_Ev13rocblas_fill_17rocblas_diagonal_iiT1_lPT2_llSB_llPT3_lli
    .private_segment_fixed_size: 0
    .sgpr_count:     40
    .sgpr_spill_count: 0
    .symbol:         _ZL23rocblas_trmm_lNx_kernelILi16E19rocblas_complex_numIfEPKS1_KS3_KPS1_Ev13rocblas_fill_17rocblas_diagonal_iiT1_lPT2_llSB_llPT3_lli.kd
    .uniform_work_group_size: 1
    .uses_dynamic_stack: false
    .vgpr_count:     74
    .vgpr_spill_count: 0
    .wavefront_size: 32
  - .args:
      - .offset:         0
        .size:           4
        .value_kind:     by_value
      - .offset:         4
        .size:           4
        .value_kind:     by_value
      - .offset:         8
        .size:           4
        .value_kind:     by_value
      - .offset:         12
        .size:           4
        .value_kind:     by_value
      - .offset:         16
        .size:           8
        .value_kind:     by_value
      - .offset:         24
        .size:           8
        .value_kind:     by_value
      - .address_space:  global
        .offset:         32
        .size:           8
        .value_kind:     global_buffer
      - .offset:         40
        .size:           8
        .value_kind:     by_value
      - .offset:         48
        .size:           8
        .value_kind:     by_value
      - .address_space:  global
        .offset:         56
        .size:           8
        .value_kind:     global_buffer
      - .offset:         64
        .size:           8
        .value_kind:     by_value
      - .offset:         72
        .size:           8
        .value_kind:     by_value
      - .address_space:  global
        .offset:         80
        .size:           8
        .value_kind:     global_buffer
      - .offset:         88
        .size:           8
        .value_kind:     by_value
      - .offset:         96
        .size:           8
        .value_kind:     by_value
      - .offset:         104
        .size:           4
        .value_kind:     by_value
    .group_segment_fixed_size: 4096
    .kernarg_segment_align: 8
    .kernarg_segment_size: 108
    .language:       OpenCL C
    .language_version:
      - 2
      - 0
    .max_flat_workgroup_size: 256
    .name:           _ZL23rocblas_trmm_lNx_kernelILi16E19rocblas_complex_numIfES1_KPKS1_KPS1_Ev13rocblas_fill_17rocblas_diagonal_iiT1_lPT2_llSB_llPT3_lli
    .private_segment_fixed_size: 0
    .sgpr_count:     40
    .sgpr_spill_count: 0
    .symbol:         _ZL23rocblas_trmm_lNx_kernelILi16E19rocblas_complex_numIfES1_KPKS1_KPS1_Ev13rocblas_fill_17rocblas_diagonal_iiT1_lPT2_llSB_llPT3_lli.kd
    .uniform_work_group_size: 1
    .uses_dynamic_stack: false
    .vgpr_count:     84
    .vgpr_spill_count: 0
    .wavefront_size: 32
  - .args:
      - .offset:         0
        .size:           4
        .value_kind:     by_value
      - .offset:         4
        .size:           4
        .value_kind:     by_value
      - .offset:         8
        .size:           4
        .value_kind:     by_value
      - .offset:         12
        .size:           4
        .value_kind:     by_value
      - .address_space:  global
        .offset:         16
        .size:           8
        .value_kind:     global_buffer
      - .offset:         24
        .size:           8
        .value_kind:     by_value
      - .address_space:  global
        .offset:         32
        .size:           8
        .value_kind:     global_buffer
      - .offset:         40
        .size:           8
        .value_kind:     by_value
      - .offset:         48
        .size:           8
        .value_kind:     by_value
      - .address_space:  global
        .offset:         56
        .size:           8
        .value_kind:     global_buffer
      - .offset:         64
        .size:           8
        .value_kind:     by_value
      - .offset:         72
        .size:           8
        .value_kind:     by_value
      - .address_space:  global
        .offset:         80
        .size:           8
        .value_kind:     global_buffer
      - .offset:         88
        .size:           8
        .value_kind:     by_value
      - .offset:         96
        .size:           8
        .value_kind:     by_value
      - .offset:         104
        .size:           4
        .value_kind:     by_value
    .group_segment_fixed_size: 4096
    .kernarg_segment_align: 8
    .kernarg_segment_size: 108
    .language:       OpenCL C
    .language_version:
      - 2
      - 0
    .max_flat_workgroup_size: 256
    .name:           _ZL23rocblas_trmm_lTx_kernelILi16ELb0E19rocblas_complex_numIfEPKS1_KS3_KPS1_Ev13rocblas_fill_17rocblas_diagonal_iiT2_lPT3_llSB_llPT4_lli
    .private_segment_fixed_size: 0
    .sgpr_count:     42
    .sgpr_spill_count: 0
    .symbol:         _ZL23rocblas_trmm_lTx_kernelILi16ELb0E19rocblas_complex_numIfEPKS1_KS3_KPS1_Ev13rocblas_fill_17rocblas_diagonal_iiT2_lPT3_llSB_llPT4_lli.kd
    .uniform_work_group_size: 1
    .uses_dynamic_stack: false
    .vgpr_count:     85
    .vgpr_spill_count: 0
    .wavefront_size: 32
  - .args:
      - .offset:         0
        .size:           4
        .value_kind:     by_value
      - .offset:         4
        .size:           4
        .value_kind:     by_value
      - .offset:         8
        .size:           4
        .value_kind:     by_value
      - .offset:         12
        .size:           4
        .value_kind:     by_value
      - .offset:         16
        .size:           8
        .value_kind:     by_value
      - .offset:         24
        .size:           8
        .value_kind:     by_value
      - .address_space:  global
        .offset:         32
        .size:           8
        .value_kind:     global_buffer
      - .offset:         40
        .size:           8
        .value_kind:     by_value
      - .offset:         48
        .size:           8
        .value_kind:     by_value
      - .address_space:  global
        .offset:         56
        .size:           8
        .value_kind:     global_buffer
      - .offset:         64
        .size:           8
        .value_kind:     by_value
      - .offset:         72
        .size:           8
        .value_kind:     by_value
      - .address_space:  global
        .offset:         80
        .size:           8
        .value_kind:     global_buffer
      - .offset:         88
        .size:           8
        .value_kind:     by_value
      - .offset:         96
        .size:           8
        .value_kind:     by_value
      - .offset:         104
        .size:           4
        .value_kind:     by_value
    .group_segment_fixed_size: 4096
    .kernarg_segment_align: 8
    .kernarg_segment_size: 108
    .language:       OpenCL C
    .language_version:
      - 2
      - 0
    .max_flat_workgroup_size: 256
    .name:           _ZL23rocblas_trmm_lTx_kernelILi16ELb0E19rocblas_complex_numIfES1_KPKS1_KPS1_Ev13rocblas_fill_17rocblas_diagonal_iiT2_lPT3_llSB_llPT4_lli
    .private_segment_fixed_size: 0
    .sgpr_count:     38
    .sgpr_spill_count: 0
    .symbol:         _ZL23rocblas_trmm_lTx_kernelILi16ELb0E19rocblas_complex_numIfES1_KPKS1_KPS1_Ev13rocblas_fill_17rocblas_diagonal_iiT2_lPT3_llSB_llPT4_lli.kd
    .uniform_work_group_size: 1
    .uses_dynamic_stack: false
    .vgpr_count:     85
    .vgpr_spill_count: 0
    .wavefront_size: 32
  - .args:
      - .offset:         0
        .size:           4
        .value_kind:     by_value
      - .offset:         4
        .size:           4
        .value_kind:     by_value
      - .offset:         8
        .size:           4
        .value_kind:     by_value
      - .offset:         12
        .size:           4
        .value_kind:     by_value
      - .address_space:  global
        .offset:         16
        .size:           8
        .value_kind:     global_buffer
      - .offset:         24
        .size:           8
        .value_kind:     by_value
      - .address_space:  global
        .offset:         32
        .size:           8
        .value_kind:     global_buffer
      - .offset:         40
        .size:           8
        .value_kind:     by_value
      - .offset:         48
        .size:           8
        .value_kind:     by_value
      - .address_space:  global
        .offset:         56
        .size:           8
        .value_kind:     global_buffer
      - .offset:         64
        .size:           8
        .value_kind:     by_value
      - .offset:         72
        .size:           8
        .value_kind:     by_value
      - .address_space:  global
        .offset:         80
        .size:           8
        .value_kind:     global_buffer
      - .offset:         88
        .size:           8
        .value_kind:     by_value
      - .offset:         96
        .size:           8
        .value_kind:     by_value
      - .offset:         104
        .size:           4
        .value_kind:     by_value
    .group_segment_fixed_size: 4096
    .kernarg_segment_align: 8
    .kernarg_segment_size: 108
    .language:       OpenCL C
    .language_version:
      - 2
      - 0
    .max_flat_workgroup_size: 256
    .name:           _ZL23rocblas_trmm_lTx_kernelILi16ELb1E19rocblas_complex_numIfEPKS1_KS3_KPS1_Ev13rocblas_fill_17rocblas_diagonal_iiT2_lPT3_llSB_llPT4_lli
    .private_segment_fixed_size: 0
    .sgpr_count:     42
    .sgpr_spill_count: 0
    .symbol:         _ZL23rocblas_trmm_lTx_kernelILi16ELb1E19rocblas_complex_numIfEPKS1_KS3_KPS1_Ev13rocblas_fill_17rocblas_diagonal_iiT2_lPT3_llSB_llPT4_lli.kd
    .uniform_work_group_size: 1
    .uses_dynamic_stack: false
    .vgpr_count:     85
    .vgpr_spill_count: 0
    .wavefront_size: 32
  - .args:
      - .offset:         0
        .size:           4
        .value_kind:     by_value
      - .offset:         4
        .size:           4
        .value_kind:     by_value
      - .offset:         8
        .size:           4
        .value_kind:     by_value
      - .offset:         12
        .size:           4
        .value_kind:     by_value
      - .offset:         16
        .size:           8
        .value_kind:     by_value
      - .offset:         24
        .size:           8
        .value_kind:     by_value
      - .address_space:  global
        .offset:         32
        .size:           8
        .value_kind:     global_buffer
      - .offset:         40
        .size:           8
        .value_kind:     by_value
      - .offset:         48
        .size:           8
        .value_kind:     by_value
      - .address_space:  global
        .offset:         56
        .size:           8
        .value_kind:     global_buffer
      - .offset:         64
        .size:           8
        .value_kind:     by_value
      - .offset:         72
        .size:           8
        .value_kind:     by_value
      - .address_space:  global
        .offset:         80
        .size:           8
        .value_kind:     global_buffer
      - .offset:         88
        .size:           8
        .value_kind:     by_value
      - .offset:         96
        .size:           8
        .value_kind:     by_value
      - .offset:         104
        .size:           4
        .value_kind:     by_value
    .group_segment_fixed_size: 4096
    .kernarg_segment_align: 8
    .kernarg_segment_size: 108
    .language:       OpenCL C
    .language_version:
      - 2
      - 0
    .max_flat_workgroup_size: 256
    .name:           _ZL23rocblas_trmm_lTx_kernelILi16ELb1E19rocblas_complex_numIfES1_KPKS1_KPS1_Ev13rocblas_fill_17rocblas_diagonal_iiT2_lPT3_llSB_llPT4_lli
    .private_segment_fixed_size: 0
    .sgpr_count:     38
    .sgpr_spill_count: 0
    .symbol:         _ZL23rocblas_trmm_lTx_kernelILi16ELb1E19rocblas_complex_numIfES1_KPKS1_KPS1_Ev13rocblas_fill_17rocblas_diagonal_iiT2_lPT3_llSB_llPT4_lli.kd
    .uniform_work_group_size: 1
    .uses_dynamic_stack: false
    .vgpr_count:     85
    .vgpr_spill_count: 0
    .wavefront_size: 32
  - .args:
      - .offset:         0
        .size:           4
        .value_kind:     by_value
      - .offset:         4
        .size:           4
        .value_kind:     by_value
      - .offset:         8
        .size:           4
        .value_kind:     by_value
      - .offset:         12
        .size:           4
        .value_kind:     by_value
      - .address_space:  global
        .offset:         16
        .size:           8
        .value_kind:     global_buffer
      - .offset:         24
        .size:           8
        .value_kind:     by_value
      - .address_space:  global
        .offset:         32
        .size:           8
        .value_kind:     global_buffer
      - .offset:         40
        .size:           8
        .value_kind:     by_value
      - .offset:         48
        .size:           8
        .value_kind:     by_value
      - .address_space:  global
        .offset:         56
        .size:           8
        .value_kind:     global_buffer
      - .offset:         64
        .size:           8
        .value_kind:     by_value
      - .offset:         72
        .size:           8
        .value_kind:     by_value
      - .address_space:  global
        .offset:         80
        .size:           8
        .value_kind:     global_buffer
      - .offset:         88
        .size:           8
        .value_kind:     by_value
      - .offset:         96
        .size:           8
        .value_kind:     by_value
      - .offset:         104
        .size:           4
        .value_kind:     by_value
    .group_segment_fixed_size: 4096
    .kernarg_segment_align: 8
    .kernarg_segment_size: 108
    .language:       OpenCL C
    .language_version:
      - 2
      - 0
    .max_flat_workgroup_size: 256
    .name:           _ZL23rocblas_trmm_rNx_kernelILi16E19rocblas_complex_numIfEPKS1_KS3_KPS1_Ev13rocblas_fill_17rocblas_diagonal_iiT1_lPT2_llSB_llPT3_lli
    .private_segment_fixed_size: 0
    .sgpr_count:     38
    .sgpr_spill_count: 0
    .symbol:         _ZL23rocblas_trmm_rNx_kernelILi16E19rocblas_complex_numIfEPKS1_KS3_KPS1_Ev13rocblas_fill_17rocblas_diagonal_iiT1_lPT2_llSB_llPT3_lli.kd
    .uniform_work_group_size: 1
    .uses_dynamic_stack: false
    .vgpr_count:     74
    .vgpr_spill_count: 0
    .wavefront_size: 32
  - .args:
      - .offset:         0
        .size:           4
        .value_kind:     by_value
      - .offset:         4
        .size:           4
        .value_kind:     by_value
      - .offset:         8
        .size:           4
        .value_kind:     by_value
      - .offset:         12
        .size:           4
        .value_kind:     by_value
      - .offset:         16
        .size:           8
        .value_kind:     by_value
      - .offset:         24
        .size:           8
        .value_kind:     by_value
      - .address_space:  global
        .offset:         32
        .size:           8
        .value_kind:     global_buffer
      - .offset:         40
        .size:           8
        .value_kind:     by_value
      - .offset:         48
        .size:           8
        .value_kind:     by_value
      - .address_space:  global
        .offset:         56
        .size:           8
        .value_kind:     global_buffer
      - .offset:         64
        .size:           8
        .value_kind:     by_value
      - .offset:         72
        .size:           8
        .value_kind:     by_value
      - .address_space:  global
        .offset:         80
        .size:           8
        .value_kind:     global_buffer
      - .offset:         88
        .size:           8
        .value_kind:     by_value
      - .offset:         96
        .size:           8
        .value_kind:     by_value
      - .offset:         104
        .size:           4
        .value_kind:     by_value
    .group_segment_fixed_size: 4096
    .kernarg_segment_align: 8
    .kernarg_segment_size: 108
    .language:       OpenCL C
    .language_version:
      - 2
      - 0
    .max_flat_workgroup_size: 256
    .name:           _ZL23rocblas_trmm_rNx_kernelILi16E19rocblas_complex_numIfES1_KPKS1_KPS1_Ev13rocblas_fill_17rocblas_diagonal_iiT1_lPT2_llSB_llPT3_lli
    .private_segment_fixed_size: 0
    .sgpr_count:     36
    .sgpr_spill_count: 0
    .symbol:         _ZL23rocblas_trmm_rNx_kernelILi16E19rocblas_complex_numIfES1_KPKS1_KPS1_Ev13rocblas_fill_17rocblas_diagonal_iiT1_lPT2_llSB_llPT3_lli.kd
    .uniform_work_group_size: 1
    .uses_dynamic_stack: false
    .vgpr_count:     84
    .vgpr_spill_count: 0
    .wavefront_size: 32
  - .args:
      - .offset:         0
        .size:           4
        .value_kind:     by_value
      - .offset:         4
        .size:           4
        .value_kind:     by_value
      - .offset:         8
        .size:           4
        .value_kind:     by_value
      - .offset:         12
        .size:           4
        .value_kind:     by_value
      - .address_space:  global
        .offset:         16
        .size:           8
        .value_kind:     global_buffer
      - .offset:         24
        .size:           8
        .value_kind:     by_value
      - .address_space:  global
        .offset:         32
        .size:           8
        .value_kind:     global_buffer
      - .offset:         40
        .size:           8
        .value_kind:     by_value
      - .offset:         48
        .size:           8
        .value_kind:     by_value
      - .address_space:  global
        .offset:         56
        .size:           8
        .value_kind:     global_buffer
      - .offset:         64
        .size:           8
        .value_kind:     by_value
      - .offset:         72
        .size:           8
        .value_kind:     by_value
      - .address_space:  global
        .offset:         80
        .size:           8
        .value_kind:     global_buffer
      - .offset:         88
        .size:           8
        .value_kind:     by_value
      - .offset:         96
        .size:           8
        .value_kind:     by_value
      - .offset:         104
        .size:           4
        .value_kind:     by_value
    .group_segment_fixed_size: 4096
    .kernarg_segment_align: 8
    .kernarg_segment_size: 108
    .language:       OpenCL C
    .language_version:
      - 2
      - 0
    .max_flat_workgroup_size: 256
    .name:           _ZL23rocblas_trmm_rTx_kernelILi16ELb0E19rocblas_complex_numIfEPKS1_KS3_KPS1_Ev13rocblas_fill_17rocblas_diagonal_iiT2_lPT3_llSB_llPT4_lli
    .private_segment_fixed_size: 0
    .sgpr_count:     38
    .sgpr_spill_count: 0
    .symbol:         _ZL23rocblas_trmm_rTx_kernelILi16ELb0E19rocblas_complex_numIfEPKS1_KS3_KPS1_Ev13rocblas_fill_17rocblas_diagonal_iiT2_lPT3_llSB_llPT4_lli.kd
    .uniform_work_group_size: 1
    .uses_dynamic_stack: false
    .vgpr_count:     73
    .vgpr_spill_count: 0
    .wavefront_size: 32
  - .args:
      - .offset:         0
        .size:           4
        .value_kind:     by_value
      - .offset:         4
        .size:           4
        .value_kind:     by_value
      - .offset:         8
        .size:           4
        .value_kind:     by_value
      - .offset:         12
        .size:           4
        .value_kind:     by_value
      - .offset:         16
        .size:           8
        .value_kind:     by_value
      - .offset:         24
        .size:           8
        .value_kind:     by_value
      - .address_space:  global
        .offset:         32
        .size:           8
        .value_kind:     global_buffer
      - .offset:         40
        .size:           8
        .value_kind:     by_value
      - .offset:         48
        .size:           8
        .value_kind:     by_value
      - .address_space:  global
        .offset:         56
        .size:           8
        .value_kind:     global_buffer
      - .offset:         64
        .size:           8
        .value_kind:     by_value
      - .offset:         72
        .size:           8
        .value_kind:     by_value
      - .address_space:  global
        .offset:         80
        .size:           8
        .value_kind:     global_buffer
      - .offset:         88
        .size:           8
        .value_kind:     by_value
      - .offset:         96
        .size:           8
        .value_kind:     by_value
      - .offset:         104
        .size:           4
        .value_kind:     by_value
    .group_segment_fixed_size: 4096
    .kernarg_segment_align: 8
    .kernarg_segment_size: 108
    .language:       OpenCL C
    .language_version:
      - 2
      - 0
    .max_flat_workgroup_size: 256
    .name:           _ZL23rocblas_trmm_rTx_kernelILi16ELb0E19rocblas_complex_numIfES1_KPKS1_KPS1_Ev13rocblas_fill_17rocblas_diagonal_iiT2_lPT3_llSB_llPT4_lli
    .private_segment_fixed_size: 0
    .sgpr_count:     36
    .sgpr_spill_count: 0
    .symbol:         _ZL23rocblas_trmm_rTx_kernelILi16ELb0E19rocblas_complex_numIfES1_KPKS1_KPS1_Ev13rocblas_fill_17rocblas_diagonal_iiT2_lPT3_llSB_llPT4_lli.kd
    .uniform_work_group_size: 1
    .uses_dynamic_stack: false
    .vgpr_count:     84
    .vgpr_spill_count: 0
    .wavefront_size: 32
  - .args:
      - .offset:         0
        .size:           4
        .value_kind:     by_value
      - .offset:         4
        .size:           4
        .value_kind:     by_value
      - .offset:         8
        .size:           4
        .value_kind:     by_value
      - .offset:         12
        .size:           4
        .value_kind:     by_value
      - .address_space:  global
        .offset:         16
        .size:           8
        .value_kind:     global_buffer
      - .offset:         24
        .size:           8
        .value_kind:     by_value
      - .address_space:  global
        .offset:         32
        .size:           8
        .value_kind:     global_buffer
      - .offset:         40
        .size:           8
        .value_kind:     by_value
      - .offset:         48
        .size:           8
        .value_kind:     by_value
      - .address_space:  global
        .offset:         56
        .size:           8
        .value_kind:     global_buffer
      - .offset:         64
        .size:           8
        .value_kind:     by_value
      - .offset:         72
        .size:           8
        .value_kind:     by_value
      - .address_space:  global
        .offset:         80
        .size:           8
        .value_kind:     global_buffer
      - .offset:         88
        .size:           8
        .value_kind:     by_value
      - .offset:         96
        .size:           8
        .value_kind:     by_value
      - .offset:         104
        .size:           4
        .value_kind:     by_value
    .group_segment_fixed_size: 4096
    .kernarg_segment_align: 8
    .kernarg_segment_size: 108
    .language:       OpenCL C
    .language_version:
      - 2
      - 0
    .max_flat_workgroup_size: 256
    .name:           _ZL23rocblas_trmm_rTx_kernelILi16ELb1E19rocblas_complex_numIfEPKS1_KS3_KPS1_Ev13rocblas_fill_17rocblas_diagonal_iiT2_lPT3_llSB_llPT4_lli
    .private_segment_fixed_size: 0
    .sgpr_count:     38
    .sgpr_spill_count: 0
    .symbol:         _ZL23rocblas_trmm_rTx_kernelILi16ELb1E19rocblas_complex_numIfEPKS1_KS3_KPS1_Ev13rocblas_fill_17rocblas_diagonal_iiT2_lPT3_llSB_llPT4_lli.kd
    .uniform_work_group_size: 1
    .uses_dynamic_stack: false
    .vgpr_count:     73
    .vgpr_spill_count: 0
    .wavefront_size: 32
  - .args:
      - .offset:         0
        .size:           4
        .value_kind:     by_value
      - .offset:         4
        .size:           4
        .value_kind:     by_value
      - .offset:         8
        .size:           4
        .value_kind:     by_value
      - .offset:         12
        .size:           4
        .value_kind:     by_value
      - .offset:         16
        .size:           8
        .value_kind:     by_value
      - .offset:         24
        .size:           8
        .value_kind:     by_value
      - .address_space:  global
        .offset:         32
        .size:           8
        .value_kind:     global_buffer
      - .offset:         40
        .size:           8
        .value_kind:     by_value
      - .offset:         48
        .size:           8
        .value_kind:     by_value
      - .address_space:  global
        .offset:         56
        .size:           8
        .value_kind:     global_buffer
      - .offset:         64
        .size:           8
        .value_kind:     by_value
      - .offset:         72
        .size:           8
        .value_kind:     by_value
      - .address_space:  global
        .offset:         80
        .size:           8
        .value_kind:     global_buffer
      - .offset:         88
        .size:           8
        .value_kind:     by_value
      - .offset:         96
        .size:           8
        .value_kind:     by_value
      - .offset:         104
        .size:           4
        .value_kind:     by_value
    .group_segment_fixed_size: 4096
    .kernarg_segment_align: 8
    .kernarg_segment_size: 108
    .language:       OpenCL C
    .language_version:
      - 2
      - 0
    .max_flat_workgroup_size: 256
    .name:           _ZL23rocblas_trmm_rTx_kernelILi16ELb1E19rocblas_complex_numIfES1_KPKS1_KPS1_Ev13rocblas_fill_17rocblas_diagonal_iiT2_lPT3_llSB_llPT4_lli
    .private_segment_fixed_size: 0
    .sgpr_count:     36
    .sgpr_spill_count: 0
    .symbol:         _ZL23rocblas_trmm_rTx_kernelILi16ELb1E19rocblas_complex_numIfES1_KPKS1_KPS1_Ev13rocblas_fill_17rocblas_diagonal_iiT2_lPT3_llSB_llPT4_lli.kd
    .uniform_work_group_size: 1
    .uses_dynamic_stack: false
    .vgpr_count:     84
    .vgpr_spill_count: 0
    .wavefront_size: 32
  - .args:
      - .offset:         0
        .size:           4
        .value_kind:     by_value
      - .offset:         4
        .size:           4
        .value_kind:     by_value
      - .offset:         8
        .size:           4
        .value_kind:     by_value
      - .offset:         12
        .size:           4
        .value_kind:     by_value
      - .address_space:  global
        .offset:         16
        .size:           8
        .value_kind:     global_buffer
      - .offset:         24
        .size:           8
        .value_kind:     by_value
      - .address_space:  global
        .offset:         32
        .size:           8
        .value_kind:     global_buffer
      - .offset:         40
        .size:           8
        .value_kind:     by_value
      - .offset:         48
        .size:           8
        .value_kind:     by_value
      - .address_space:  global
        .offset:         56
        .size:           8
        .value_kind:     global_buffer
      - .offset:         64
        .size:           8
        .value_kind:     by_value
      - .offset:         72
        .size:           8
        .value_kind:     by_value
      - .address_space:  global
        .offset:         80
        .size:           8
        .value_kind:     global_buffer
      - .offset:         88
        .size:           8
        .value_kind:     by_value
      - .offset:         96
        .size:           8
        .value_kind:     by_value
      - .offset:         104
        .size:           4
        .value_kind:     by_value
    .group_segment_fixed_size: 8192
    .kernarg_segment_align: 8
    .kernarg_segment_size: 108
    .language:       OpenCL C
    .language_version:
      - 2
      - 0
    .max_flat_workgroup_size: 256
    .name:           _ZL23rocblas_trmm_lNx_kernelILi16E19rocblas_complex_numIdEPKS1_KS3_KPS1_Ev13rocblas_fill_17rocblas_diagonal_iiT1_lPT2_llSB_llPT3_lli
    .private_segment_fixed_size: 0
    .sgpr_count:     42
    .sgpr_spill_count: 0
    .symbol:         _ZL23rocblas_trmm_lNx_kernelILi16E19rocblas_complex_numIdEPKS1_KS3_KPS1_Ev13rocblas_fill_17rocblas_diagonal_iiT1_lPT2_llSB_llPT3_lli.kd
    .uniform_work_group_size: 1
    .uses_dynamic_stack: false
    .vgpr_count:     62
    .vgpr_spill_count: 0
    .wavefront_size: 32
  - .args:
      - .offset:         0
        .size:           4
        .value_kind:     by_value
      - .offset:         4
        .size:           4
        .value_kind:     by_value
      - .offset:         8
        .size:           4
        .value_kind:     by_value
      - .offset:         12
        .size:           4
        .value_kind:     by_value
      - .offset:         16
        .size:           16
        .value_kind:     by_value
      - .offset:         32
        .size:           8
        .value_kind:     by_value
      - .address_space:  global
        .offset:         40
        .size:           8
        .value_kind:     global_buffer
      - .offset:         48
        .size:           8
        .value_kind:     by_value
      - .offset:         56
        .size:           8
        .value_kind:     by_value
      - .address_space:  global
        .offset:         64
        .size:           8
        .value_kind:     global_buffer
      - .offset:         72
        .size:           8
        .value_kind:     by_value
      - .offset:         80
        .size:           8
        .value_kind:     by_value
      - .address_space:  global
        .offset:         88
        .size:           8
        .value_kind:     global_buffer
      - .offset:         96
        .size:           8
        .value_kind:     by_value
      - .offset:         104
        .size:           8
        .value_kind:     by_value
      - .offset:         112
        .size:           4
        .value_kind:     by_value
    .group_segment_fixed_size: 8192
    .kernarg_segment_align: 8
    .kernarg_segment_size: 116
    .language:       OpenCL C
    .language_version:
      - 2
      - 0
    .max_flat_workgroup_size: 256
    .name:           _ZL23rocblas_trmm_lNx_kernelILi16E19rocblas_complex_numIdES1_KPKS1_KPS1_Ev13rocblas_fill_17rocblas_diagonal_iiT1_lPT2_llSB_llPT3_lli
    .private_segment_fixed_size: 0
    .sgpr_count:     43
    .sgpr_spill_count: 0
    .symbol:         _ZL23rocblas_trmm_lNx_kernelILi16E19rocblas_complex_numIdES1_KPKS1_KPS1_Ev13rocblas_fill_17rocblas_diagonal_iiT1_lPT2_llSB_llPT3_lli.kd
    .uniform_work_group_size: 1
    .uses_dynamic_stack: false
    .vgpr_count:     58
    .vgpr_spill_count: 0
    .wavefront_size: 32
  - .args:
      - .offset:         0
        .size:           4
        .value_kind:     by_value
      - .offset:         4
        .size:           4
        .value_kind:     by_value
      - .offset:         8
        .size:           4
        .value_kind:     by_value
      - .offset:         12
        .size:           4
        .value_kind:     by_value
      - .address_space:  global
        .offset:         16
        .size:           8
        .value_kind:     global_buffer
      - .offset:         24
        .size:           8
        .value_kind:     by_value
      - .address_space:  global
        .offset:         32
        .size:           8
        .value_kind:     global_buffer
      - .offset:         40
        .size:           8
        .value_kind:     by_value
      - .offset:         48
        .size:           8
        .value_kind:     by_value
      - .address_space:  global
        .offset:         56
        .size:           8
        .value_kind:     global_buffer
      - .offset:         64
        .size:           8
        .value_kind:     by_value
      - .offset:         72
        .size:           8
        .value_kind:     by_value
      - .address_space:  global
        .offset:         80
        .size:           8
        .value_kind:     global_buffer
      - .offset:         88
        .size:           8
        .value_kind:     by_value
      - .offset:         96
        .size:           8
        .value_kind:     by_value
      - .offset:         104
        .size:           4
        .value_kind:     by_value
    .group_segment_fixed_size: 8192
    .kernarg_segment_align: 8
    .kernarg_segment_size: 108
    .language:       OpenCL C
    .language_version:
      - 2
      - 0
    .max_flat_workgroup_size: 256
    .name:           _ZL23rocblas_trmm_lTx_kernelILi16ELb0E19rocblas_complex_numIdEPKS1_KS3_KPS1_Ev13rocblas_fill_17rocblas_diagonal_iiT2_lPT3_llSB_llPT4_lli
    .private_segment_fixed_size: 0
    .sgpr_count:     42
    .sgpr_spill_count: 0
    .symbol:         _ZL23rocblas_trmm_lTx_kernelILi16ELb0E19rocblas_complex_numIdEPKS1_KS3_KPS1_Ev13rocblas_fill_17rocblas_diagonal_iiT2_lPT3_llSB_llPT4_lli.kd
    .uniform_work_group_size: 1
    .uses_dynamic_stack: false
    .vgpr_count:     64
    .vgpr_spill_count: 0
    .wavefront_size: 32
  - .args:
      - .offset:         0
        .size:           4
        .value_kind:     by_value
      - .offset:         4
        .size:           4
        .value_kind:     by_value
      - .offset:         8
        .size:           4
        .value_kind:     by_value
      - .offset:         12
        .size:           4
        .value_kind:     by_value
      - .offset:         16
        .size:           16
        .value_kind:     by_value
      - .offset:         32
        .size:           8
        .value_kind:     by_value
      - .address_space:  global
        .offset:         40
        .size:           8
        .value_kind:     global_buffer
      - .offset:         48
        .size:           8
        .value_kind:     by_value
      - .offset:         56
        .size:           8
        .value_kind:     by_value
      - .address_space:  global
        .offset:         64
        .size:           8
        .value_kind:     global_buffer
      - .offset:         72
        .size:           8
        .value_kind:     by_value
      - .offset:         80
        .size:           8
        .value_kind:     by_value
      - .address_space:  global
        .offset:         88
        .size:           8
        .value_kind:     global_buffer
      - .offset:         96
        .size:           8
        .value_kind:     by_value
      - .offset:         104
        .size:           8
        .value_kind:     by_value
      - .offset:         112
        .size:           4
        .value_kind:     by_value
    .group_segment_fixed_size: 8192
    .kernarg_segment_align: 8
    .kernarg_segment_size: 116
    .language:       OpenCL C
    .language_version:
      - 2
      - 0
    .max_flat_workgroup_size: 256
    .name:           _ZL23rocblas_trmm_lTx_kernelILi16ELb0E19rocblas_complex_numIdES1_KPKS1_KPS1_Ev13rocblas_fill_17rocblas_diagonal_iiT2_lPT3_llSB_llPT4_lli
    .private_segment_fixed_size: 0
    .sgpr_count:     44
    .sgpr_spill_count: 0
    .symbol:         _ZL23rocblas_trmm_lTx_kernelILi16ELb0E19rocblas_complex_numIdES1_KPKS1_KPS1_Ev13rocblas_fill_17rocblas_diagonal_iiT2_lPT3_llSB_llPT4_lli.kd
    .uniform_work_group_size: 1
    .uses_dynamic_stack: false
    .vgpr_count:     60
    .vgpr_spill_count: 0
    .wavefront_size: 32
  - .args:
      - .offset:         0
        .size:           4
        .value_kind:     by_value
      - .offset:         4
        .size:           4
        .value_kind:     by_value
      - .offset:         8
        .size:           4
        .value_kind:     by_value
      - .offset:         12
        .size:           4
        .value_kind:     by_value
      - .address_space:  global
        .offset:         16
        .size:           8
        .value_kind:     global_buffer
      - .offset:         24
        .size:           8
        .value_kind:     by_value
      - .address_space:  global
        .offset:         32
        .size:           8
        .value_kind:     global_buffer
      - .offset:         40
        .size:           8
        .value_kind:     by_value
      - .offset:         48
        .size:           8
        .value_kind:     by_value
      - .address_space:  global
        .offset:         56
        .size:           8
        .value_kind:     global_buffer
      - .offset:         64
        .size:           8
        .value_kind:     by_value
      - .offset:         72
        .size:           8
        .value_kind:     by_value
      - .address_space:  global
        .offset:         80
        .size:           8
        .value_kind:     global_buffer
      - .offset:         88
        .size:           8
        .value_kind:     by_value
      - .offset:         96
        .size:           8
        .value_kind:     by_value
      - .offset:         104
        .size:           4
        .value_kind:     by_value
    .group_segment_fixed_size: 8192
    .kernarg_segment_align: 8
    .kernarg_segment_size: 108
    .language:       OpenCL C
    .language_version:
      - 2
      - 0
    .max_flat_workgroup_size: 256
    .name:           _ZL23rocblas_trmm_lTx_kernelILi16ELb1E19rocblas_complex_numIdEPKS1_KS3_KPS1_Ev13rocblas_fill_17rocblas_diagonal_iiT2_lPT3_llSB_llPT4_lli
    .private_segment_fixed_size: 0
    .sgpr_count:     42
    .sgpr_spill_count: 0
    .symbol:         _ZL23rocblas_trmm_lTx_kernelILi16ELb1E19rocblas_complex_numIdEPKS1_KS3_KPS1_Ev13rocblas_fill_17rocblas_diagonal_iiT2_lPT3_llSB_llPT4_lli.kd
    .uniform_work_group_size: 1
    .uses_dynamic_stack: false
    .vgpr_count:     64
    .vgpr_spill_count: 0
    .wavefront_size: 32
  - .args:
      - .offset:         0
        .size:           4
        .value_kind:     by_value
      - .offset:         4
        .size:           4
        .value_kind:     by_value
      - .offset:         8
        .size:           4
        .value_kind:     by_value
      - .offset:         12
        .size:           4
        .value_kind:     by_value
      - .offset:         16
        .size:           16
        .value_kind:     by_value
      - .offset:         32
        .size:           8
        .value_kind:     by_value
      - .address_space:  global
        .offset:         40
        .size:           8
        .value_kind:     global_buffer
      - .offset:         48
        .size:           8
        .value_kind:     by_value
      - .offset:         56
        .size:           8
        .value_kind:     by_value
      - .address_space:  global
        .offset:         64
        .size:           8
        .value_kind:     global_buffer
      - .offset:         72
        .size:           8
        .value_kind:     by_value
      - .offset:         80
        .size:           8
        .value_kind:     by_value
      - .address_space:  global
        .offset:         88
        .size:           8
        .value_kind:     global_buffer
      - .offset:         96
        .size:           8
        .value_kind:     by_value
      - .offset:         104
        .size:           8
        .value_kind:     by_value
      - .offset:         112
        .size:           4
        .value_kind:     by_value
    .group_segment_fixed_size: 8192
    .kernarg_segment_align: 8
    .kernarg_segment_size: 116
    .language:       OpenCL C
    .language_version:
      - 2
      - 0
    .max_flat_workgroup_size: 256
    .name:           _ZL23rocblas_trmm_lTx_kernelILi16ELb1E19rocblas_complex_numIdES1_KPKS1_KPS1_Ev13rocblas_fill_17rocblas_diagonal_iiT2_lPT3_llSB_llPT4_lli
    .private_segment_fixed_size: 0
    .sgpr_count:     44
    .sgpr_spill_count: 0
    .symbol:         _ZL23rocblas_trmm_lTx_kernelILi16ELb1E19rocblas_complex_numIdES1_KPKS1_KPS1_Ev13rocblas_fill_17rocblas_diagonal_iiT2_lPT3_llSB_llPT4_lli.kd
    .uniform_work_group_size: 1
    .uses_dynamic_stack: false
    .vgpr_count:     60
    .vgpr_spill_count: 0
    .wavefront_size: 32
  - .args:
      - .offset:         0
        .size:           4
        .value_kind:     by_value
      - .offset:         4
        .size:           4
        .value_kind:     by_value
      - .offset:         8
        .size:           4
        .value_kind:     by_value
      - .offset:         12
        .size:           4
        .value_kind:     by_value
      - .address_space:  global
        .offset:         16
        .size:           8
        .value_kind:     global_buffer
      - .offset:         24
        .size:           8
        .value_kind:     by_value
      - .address_space:  global
        .offset:         32
        .size:           8
        .value_kind:     global_buffer
      - .offset:         40
        .size:           8
        .value_kind:     by_value
      - .offset:         48
        .size:           8
        .value_kind:     by_value
      - .address_space:  global
        .offset:         56
        .size:           8
        .value_kind:     global_buffer
      - .offset:         64
        .size:           8
        .value_kind:     by_value
      - .offset:         72
        .size:           8
        .value_kind:     by_value
      - .address_space:  global
        .offset:         80
        .size:           8
        .value_kind:     global_buffer
      - .offset:         88
        .size:           8
        .value_kind:     by_value
      - .offset:         96
        .size:           8
        .value_kind:     by_value
      - .offset:         104
        .size:           4
        .value_kind:     by_value
    .group_segment_fixed_size: 8192
    .kernarg_segment_align: 8
    .kernarg_segment_size: 108
    .language:       OpenCL C
    .language_version:
      - 2
      - 0
    .max_flat_workgroup_size: 256
    .name:           _ZL23rocblas_trmm_rNx_kernelILi16E19rocblas_complex_numIdEPKS1_KS3_KPS1_Ev13rocblas_fill_17rocblas_diagonal_iiT1_lPT2_llSB_llPT3_lli
    .private_segment_fixed_size: 0
    .sgpr_count:     42
    .sgpr_spill_count: 0
    .symbol:         _ZL23rocblas_trmm_rNx_kernelILi16E19rocblas_complex_numIdEPKS1_KS3_KPS1_Ev13rocblas_fill_17rocblas_diagonal_iiT1_lPT2_llSB_llPT3_lli.kd
    .uniform_work_group_size: 1
    .uses_dynamic_stack: false
    .vgpr_count:     62
    .vgpr_spill_count: 0
    .wavefront_size: 32
  - .args:
      - .offset:         0
        .size:           4
        .value_kind:     by_value
      - .offset:         4
        .size:           4
        .value_kind:     by_value
      - .offset:         8
        .size:           4
        .value_kind:     by_value
      - .offset:         12
        .size:           4
        .value_kind:     by_value
      - .offset:         16
        .size:           16
        .value_kind:     by_value
      - .offset:         32
        .size:           8
        .value_kind:     by_value
      - .address_space:  global
        .offset:         40
        .size:           8
        .value_kind:     global_buffer
      - .offset:         48
        .size:           8
        .value_kind:     by_value
      - .offset:         56
        .size:           8
        .value_kind:     by_value
      - .address_space:  global
        .offset:         64
        .size:           8
        .value_kind:     global_buffer
      - .offset:         72
        .size:           8
        .value_kind:     by_value
      - .offset:         80
        .size:           8
        .value_kind:     by_value
      - .address_space:  global
        .offset:         88
        .size:           8
        .value_kind:     global_buffer
      - .offset:         96
        .size:           8
        .value_kind:     by_value
      - .offset:         104
        .size:           8
        .value_kind:     by_value
      - .offset:         112
        .size:           4
        .value_kind:     by_value
    .group_segment_fixed_size: 8192
    .kernarg_segment_align: 8
    .kernarg_segment_size: 116
    .language:       OpenCL C
    .language_version:
      - 2
      - 0
    .max_flat_workgroup_size: 256
    .name:           _ZL23rocblas_trmm_rNx_kernelILi16E19rocblas_complex_numIdES1_KPKS1_KPS1_Ev13rocblas_fill_17rocblas_diagonal_iiT1_lPT2_llSB_llPT3_lli
    .private_segment_fixed_size: 0
    .sgpr_count:     42
    .sgpr_spill_count: 0
    .symbol:         _ZL23rocblas_trmm_rNx_kernelILi16E19rocblas_complex_numIdES1_KPKS1_KPS1_Ev13rocblas_fill_17rocblas_diagonal_iiT1_lPT2_llSB_llPT3_lli.kd
    .uniform_work_group_size: 1
    .uses_dynamic_stack: false
    .vgpr_count:     58
    .vgpr_spill_count: 0
    .wavefront_size: 32
  - .args:
      - .offset:         0
        .size:           4
        .value_kind:     by_value
      - .offset:         4
        .size:           4
        .value_kind:     by_value
      - .offset:         8
        .size:           4
        .value_kind:     by_value
      - .offset:         12
        .size:           4
        .value_kind:     by_value
      - .address_space:  global
        .offset:         16
        .size:           8
        .value_kind:     global_buffer
      - .offset:         24
        .size:           8
        .value_kind:     by_value
      - .address_space:  global
        .offset:         32
        .size:           8
        .value_kind:     global_buffer
      - .offset:         40
        .size:           8
        .value_kind:     by_value
      - .offset:         48
        .size:           8
        .value_kind:     by_value
      - .address_space:  global
        .offset:         56
        .size:           8
        .value_kind:     global_buffer
      - .offset:         64
        .size:           8
        .value_kind:     by_value
      - .offset:         72
        .size:           8
        .value_kind:     by_value
      - .address_space:  global
        .offset:         80
        .size:           8
        .value_kind:     global_buffer
      - .offset:         88
        .size:           8
        .value_kind:     by_value
      - .offset:         96
        .size:           8
        .value_kind:     by_value
      - .offset:         104
        .size:           4
        .value_kind:     by_value
    .group_segment_fixed_size: 8192
    .kernarg_segment_align: 8
    .kernarg_segment_size: 108
    .language:       OpenCL C
    .language_version:
      - 2
      - 0
    .max_flat_workgroup_size: 256
    .name:           _ZL23rocblas_trmm_rTx_kernelILi16ELb0E19rocblas_complex_numIdEPKS1_KS3_KPS1_Ev13rocblas_fill_17rocblas_diagonal_iiT2_lPT3_llSB_llPT4_lli
    .private_segment_fixed_size: 0
    .sgpr_count:     42
    .sgpr_spill_count: 0
    .symbol:         _ZL23rocblas_trmm_rTx_kernelILi16ELb0E19rocblas_complex_numIdEPKS1_KS3_KPS1_Ev13rocblas_fill_17rocblas_diagonal_iiT2_lPT3_llSB_llPT4_lli.kd
    .uniform_work_group_size: 1
    .uses_dynamic_stack: false
    .vgpr_count:     62
    .vgpr_spill_count: 0
    .wavefront_size: 32
  - .args:
      - .offset:         0
        .size:           4
        .value_kind:     by_value
      - .offset:         4
        .size:           4
        .value_kind:     by_value
      - .offset:         8
        .size:           4
        .value_kind:     by_value
      - .offset:         12
        .size:           4
        .value_kind:     by_value
      - .offset:         16
        .size:           16
        .value_kind:     by_value
      - .offset:         32
        .size:           8
        .value_kind:     by_value
      - .address_space:  global
        .offset:         40
        .size:           8
        .value_kind:     global_buffer
      - .offset:         48
        .size:           8
        .value_kind:     by_value
      - .offset:         56
        .size:           8
        .value_kind:     by_value
      - .address_space:  global
        .offset:         64
        .size:           8
        .value_kind:     global_buffer
      - .offset:         72
        .size:           8
        .value_kind:     by_value
      - .offset:         80
        .size:           8
        .value_kind:     by_value
      - .address_space:  global
        .offset:         88
        .size:           8
        .value_kind:     global_buffer
      - .offset:         96
        .size:           8
        .value_kind:     by_value
      - .offset:         104
        .size:           8
        .value_kind:     by_value
      - .offset:         112
        .size:           4
        .value_kind:     by_value
    .group_segment_fixed_size: 8192
    .kernarg_segment_align: 8
    .kernarg_segment_size: 116
    .language:       OpenCL C
    .language_version:
      - 2
      - 0
    .max_flat_workgroup_size: 256
    .name:           _ZL23rocblas_trmm_rTx_kernelILi16ELb0E19rocblas_complex_numIdES1_KPKS1_KPS1_Ev13rocblas_fill_17rocblas_diagonal_iiT2_lPT3_llSB_llPT4_lli
    .private_segment_fixed_size: 0
    .sgpr_count:     42
    .sgpr_spill_count: 0
    .symbol:         _ZL23rocblas_trmm_rTx_kernelILi16ELb0E19rocblas_complex_numIdES1_KPKS1_KPS1_Ev13rocblas_fill_17rocblas_diagonal_iiT2_lPT3_llSB_llPT4_lli.kd
    .uniform_work_group_size: 1
    .uses_dynamic_stack: false
    .vgpr_count:     58
    .vgpr_spill_count: 0
    .wavefront_size: 32
  - .args:
      - .offset:         0
        .size:           4
        .value_kind:     by_value
      - .offset:         4
        .size:           4
        .value_kind:     by_value
      - .offset:         8
        .size:           4
        .value_kind:     by_value
      - .offset:         12
        .size:           4
        .value_kind:     by_value
      - .address_space:  global
        .offset:         16
        .size:           8
        .value_kind:     global_buffer
      - .offset:         24
        .size:           8
        .value_kind:     by_value
      - .address_space:  global
        .offset:         32
        .size:           8
        .value_kind:     global_buffer
      - .offset:         40
        .size:           8
        .value_kind:     by_value
      - .offset:         48
        .size:           8
        .value_kind:     by_value
      - .address_space:  global
        .offset:         56
        .size:           8
        .value_kind:     global_buffer
      - .offset:         64
        .size:           8
        .value_kind:     by_value
      - .offset:         72
        .size:           8
        .value_kind:     by_value
      - .address_space:  global
        .offset:         80
        .size:           8
        .value_kind:     global_buffer
      - .offset:         88
        .size:           8
        .value_kind:     by_value
      - .offset:         96
        .size:           8
        .value_kind:     by_value
      - .offset:         104
        .size:           4
        .value_kind:     by_value
    .group_segment_fixed_size: 8192
    .kernarg_segment_align: 8
    .kernarg_segment_size: 108
    .language:       OpenCL C
    .language_version:
      - 2
      - 0
    .max_flat_workgroup_size: 256
    .name:           _ZL23rocblas_trmm_rTx_kernelILi16ELb1E19rocblas_complex_numIdEPKS1_KS3_KPS1_Ev13rocblas_fill_17rocblas_diagonal_iiT2_lPT3_llSB_llPT4_lli
    .private_segment_fixed_size: 0
    .sgpr_count:     42
    .sgpr_spill_count: 0
    .symbol:         _ZL23rocblas_trmm_rTx_kernelILi16ELb1E19rocblas_complex_numIdEPKS1_KS3_KPS1_Ev13rocblas_fill_17rocblas_diagonal_iiT2_lPT3_llSB_llPT4_lli.kd
    .uniform_work_group_size: 1
    .uses_dynamic_stack: false
    .vgpr_count:     62
    .vgpr_spill_count: 0
    .wavefront_size: 32
  - .args:
      - .offset:         0
        .size:           4
        .value_kind:     by_value
      - .offset:         4
        .size:           4
        .value_kind:     by_value
      - .offset:         8
        .size:           4
        .value_kind:     by_value
      - .offset:         12
        .size:           4
        .value_kind:     by_value
      - .offset:         16
        .size:           16
        .value_kind:     by_value
      - .offset:         32
        .size:           8
        .value_kind:     by_value
      - .address_space:  global
        .offset:         40
        .size:           8
        .value_kind:     global_buffer
      - .offset:         48
        .size:           8
        .value_kind:     by_value
      - .offset:         56
        .size:           8
        .value_kind:     by_value
      - .address_space:  global
        .offset:         64
        .size:           8
        .value_kind:     global_buffer
      - .offset:         72
        .size:           8
        .value_kind:     by_value
      - .offset:         80
        .size:           8
        .value_kind:     by_value
      - .address_space:  global
        .offset:         88
        .size:           8
        .value_kind:     global_buffer
      - .offset:         96
        .size:           8
        .value_kind:     by_value
      - .offset:         104
        .size:           8
        .value_kind:     by_value
      - .offset:         112
        .size:           4
        .value_kind:     by_value
    .group_segment_fixed_size: 8192
    .kernarg_segment_align: 8
    .kernarg_segment_size: 116
    .language:       OpenCL C
    .language_version:
      - 2
      - 0
    .max_flat_workgroup_size: 256
    .name:           _ZL23rocblas_trmm_rTx_kernelILi16ELb1E19rocblas_complex_numIdES1_KPKS1_KPS1_Ev13rocblas_fill_17rocblas_diagonal_iiT2_lPT3_llSB_llPT4_lli
    .private_segment_fixed_size: 0
    .sgpr_count:     42
    .sgpr_spill_count: 0
    .symbol:         _ZL23rocblas_trmm_rTx_kernelILi16ELb1E19rocblas_complex_numIdES1_KPKS1_KPS1_Ev13rocblas_fill_17rocblas_diagonal_iiT2_lPT3_llSB_llPT4_lli.kd
    .uniform_work_group_size: 1
    .uses_dynamic_stack: false
    .vgpr_count:     58
    .vgpr_spill_count: 0
    .wavefront_size: 32
  - .args:
      - .offset:         0
        .size:           4
        .value_kind:     by_value
      - .offset:         4
        .size:           4
        .value_kind:     by_value
      - .address_space:  global
        .offset:         8
        .size:           8
        .value_kind:     global_buffer
      - .offset:         16
        .size:           8
        .value_kind:     by_value
      - .address_space:  global
        .offset:         24
        .size:           8
        .value_kind:     global_buffer
      - .offset:         32
        .size:           8
        .value_kind:     by_value
      - .offset:         40
        .size:           8
        .value_kind:     by_value
      - .offset:         48
        .size:           4
        .value_kind:     by_value
      - .offset:         56
        .size:           4
        .value_kind:     hidden_block_count_x
      - .offset:         60
        .size:           4
        .value_kind:     hidden_block_count_y
      - .offset:         64
        .size:           4
        .value_kind:     hidden_block_count_z
      - .offset:         68
        .size:           2
        .value_kind:     hidden_group_size_x
      - .offset:         70
        .size:           2
        .value_kind:     hidden_group_size_y
      - .offset:         72
        .size:           2
        .value_kind:     hidden_group_size_z
      - .offset:         74
        .size:           2
        .value_kind:     hidden_remainder_x
      - .offset:         76
        .size:           2
        .value_kind:     hidden_remainder_y
      - .offset:         78
        .size:           2
        .value_kind:     hidden_remainder_z
      - .offset:         96
        .size:           8
        .value_kind:     hidden_global_offset_x
      - .offset:         104
        .size:           8
        .value_kind:     hidden_global_offset_y
      - .offset:         112
        .size:           8
        .value_kind:     hidden_global_offset_z
      - .offset:         120
        .size:           2
        .value_kind:     hidden_grid_dims
    .group_segment_fixed_size: 0
    .kernarg_segment_align: 8
    .kernarg_segment_size: 312
    .language:       OpenCL C
    .language_version:
      - 2
      - 0
    .max_flat_workgroup_size: 256
    .name:           _ZL44rocblas_set_matrix_zero_if_alpha_zero_kernelILi16ELi16EPKfPKPfEviiT1_lT2_lli
    .private_segment_fixed_size: 0
    .sgpr_count:     48
    .sgpr_spill_count: 0
    .symbol:         _ZL44rocblas_set_matrix_zero_if_alpha_zero_kernelILi16ELi16EPKfPKPfEviiT1_lT2_lli.kd
    .uniform_work_group_size: 1
    .uses_dynamic_stack: false
    .vgpr_count:     28
    .vgpr_spill_count: 0
    .wavefront_size: 32
  - .args:
      - .offset:         0
        .size:           4
        .value_kind:     by_value
      - .offset:         4
        .size:           4
        .value_kind:     by_value
      - .offset:         8
        .size:           4
        .value_kind:     by_value
      - .offset:         16
        .size:           8
        .value_kind:     by_value
      - .address_space:  global
        .offset:         24
        .size:           8
        .value_kind:     global_buffer
      - .offset:         32
        .size:           8
        .value_kind:     by_value
      - .offset:         40
        .size:           8
        .value_kind:     by_value
      - .offset:         48
        .size:           4
        .value_kind:     by_value
      - .offset:         56
        .size:           4
        .value_kind:     hidden_block_count_x
      - .offset:         60
        .size:           4
        .value_kind:     hidden_block_count_y
      - .offset:         64
        .size:           4
        .value_kind:     hidden_block_count_z
      - .offset:         68
        .size:           2
        .value_kind:     hidden_group_size_x
      - .offset:         70
        .size:           2
        .value_kind:     hidden_group_size_y
      - .offset:         72
        .size:           2
        .value_kind:     hidden_group_size_z
      - .offset:         74
        .size:           2
        .value_kind:     hidden_remainder_x
      - .offset:         76
        .size:           2
        .value_kind:     hidden_remainder_y
      - .offset:         78
        .size:           2
        .value_kind:     hidden_remainder_z
      - .offset:         96
        .size:           8
        .value_kind:     hidden_global_offset_x
      - .offset:         104
        .size:           8
        .value_kind:     hidden_global_offset_y
      - .offset:         112
        .size:           8
        .value_kind:     hidden_global_offset_z
      - .offset:         120
        .size:           2
        .value_kind:     hidden_grid_dims
    .group_segment_fixed_size: 0
    .kernarg_segment_align: 8
    .kernarg_segment_size: 312
    .language:       OpenCL C
    .language_version:
      - 2
      - 0
    .max_flat_workgroup_size: 256
    .name:           _ZL44rocblas_set_matrix_zero_if_alpha_zero_kernelILi16ELi16EfPKPfEviiT1_lT2_lli
    .private_segment_fixed_size: 0
    .sgpr_count:     44
    .sgpr_spill_count: 0
    .symbol:         _ZL44rocblas_set_matrix_zero_if_alpha_zero_kernelILi16ELi16EfPKPfEviiT1_lT2_lli.kd
    .uniform_work_group_size: 1
    .uses_dynamic_stack: false
    .vgpr_count:     28
    .vgpr_spill_count: 0
    .wavefront_size: 32
  - .args:
      - .offset:         0
        .size:           4
        .value_kind:     by_value
      - .offset:         4
        .size:           4
        .value_kind:     by_value
      - .address_space:  global
        .offset:         8
        .size:           8
        .value_kind:     global_buffer
      - .offset:         16
        .size:           8
        .value_kind:     by_value
      - .address_space:  global
        .offset:         24
        .size:           8
        .value_kind:     global_buffer
      - .offset:         32
        .size:           8
        .value_kind:     by_value
      - .offset:         40
        .size:           8
        .value_kind:     by_value
      - .offset:         48
        .size:           4
        .value_kind:     by_value
      - .offset:         56
        .size:           4
        .value_kind:     hidden_block_count_x
      - .offset:         60
        .size:           4
        .value_kind:     hidden_block_count_y
      - .offset:         64
        .size:           4
        .value_kind:     hidden_block_count_z
      - .offset:         68
        .size:           2
        .value_kind:     hidden_group_size_x
      - .offset:         70
        .size:           2
        .value_kind:     hidden_group_size_y
      - .offset:         72
        .size:           2
        .value_kind:     hidden_group_size_z
      - .offset:         74
        .size:           2
        .value_kind:     hidden_remainder_x
      - .offset:         76
        .size:           2
        .value_kind:     hidden_remainder_y
      - .offset:         78
        .size:           2
        .value_kind:     hidden_remainder_z
      - .offset:         96
        .size:           8
        .value_kind:     hidden_global_offset_x
      - .offset:         104
        .size:           8
        .value_kind:     hidden_global_offset_y
      - .offset:         112
        .size:           8
        .value_kind:     hidden_global_offset_z
      - .offset:         120
        .size:           2
        .value_kind:     hidden_grid_dims
    .group_segment_fixed_size: 0
    .kernarg_segment_align: 8
    .kernarg_segment_size: 312
    .language:       OpenCL C
    .language_version:
      - 2
      - 0
    .max_flat_workgroup_size: 256
    .name:           _ZL44rocblas_set_matrix_zero_if_alpha_zero_kernelILi16ELi16EPKfPfEviiT1_lT2_lli
    .private_segment_fixed_size: 0
    .sgpr_count:     48
    .sgpr_spill_count: 0
    .symbol:         _ZL44rocblas_set_matrix_zero_if_alpha_zero_kernelILi16ELi16EPKfPfEviiT1_lT2_lli.kd
    .uniform_work_group_size: 1
    .uses_dynamic_stack: false
    .vgpr_count:     26
    .vgpr_spill_count: 0
    .wavefront_size: 32
  - .args:
      - .offset:         0
        .size:           4
        .value_kind:     by_value
      - .offset:         4
        .size:           4
        .value_kind:     by_value
      - .offset:         8
        .size:           4
        .value_kind:     by_value
      - .offset:         16
        .size:           8
        .value_kind:     by_value
      - .address_space:  global
        .offset:         24
        .size:           8
        .value_kind:     global_buffer
      - .offset:         32
        .size:           8
        .value_kind:     by_value
      - .offset:         40
        .size:           8
        .value_kind:     by_value
      - .offset:         48
        .size:           4
        .value_kind:     by_value
      - .offset:         56
        .size:           4
        .value_kind:     hidden_block_count_x
      - .offset:         60
        .size:           4
        .value_kind:     hidden_block_count_y
      - .offset:         64
        .size:           4
        .value_kind:     hidden_block_count_z
      - .offset:         68
        .size:           2
        .value_kind:     hidden_group_size_x
      - .offset:         70
        .size:           2
        .value_kind:     hidden_group_size_y
      - .offset:         72
        .size:           2
        .value_kind:     hidden_group_size_z
      - .offset:         74
        .size:           2
        .value_kind:     hidden_remainder_x
      - .offset:         76
        .size:           2
        .value_kind:     hidden_remainder_y
      - .offset:         78
        .size:           2
        .value_kind:     hidden_remainder_z
      - .offset:         96
        .size:           8
        .value_kind:     hidden_global_offset_x
      - .offset:         104
        .size:           8
        .value_kind:     hidden_global_offset_y
      - .offset:         112
        .size:           8
        .value_kind:     hidden_global_offset_z
      - .offset:         120
        .size:           2
        .value_kind:     hidden_grid_dims
    .group_segment_fixed_size: 0
    .kernarg_segment_align: 8
    .kernarg_segment_size: 312
    .language:       OpenCL C
    .language_version:
      - 2
      - 0
    .max_flat_workgroup_size: 256
    .name:           _ZL44rocblas_set_matrix_zero_if_alpha_zero_kernelILi16ELi16EfPfEviiT1_lT2_lli
    .private_segment_fixed_size: 0
    .sgpr_count:     44
    .sgpr_spill_count: 0
    .symbol:         _ZL44rocblas_set_matrix_zero_if_alpha_zero_kernelILi16ELi16EfPfEviiT1_lT2_lli.kd
    .uniform_work_group_size: 1
    .uses_dynamic_stack: false
    .vgpr_count:     26
    .vgpr_spill_count: 0
    .wavefront_size: 32
  - .args:
      - .offset:         0
        .size:           4
        .value_kind:     by_value
      - .offset:         4
        .size:           4
        .value_kind:     by_value
      - .address_space:  global
        .offset:         8
        .size:           8
        .value_kind:     global_buffer
      - .offset:         16
        .size:           8
        .value_kind:     by_value
      - .address_space:  global
        .offset:         24
        .size:           8
        .value_kind:     global_buffer
      - .offset:         32
        .size:           8
        .value_kind:     by_value
      - .offset:         40
        .size:           8
        .value_kind:     by_value
      - .offset:         48
        .size:           4
        .value_kind:     by_value
      - .offset:         56
        .size:           4
        .value_kind:     hidden_block_count_x
      - .offset:         60
        .size:           4
        .value_kind:     hidden_block_count_y
      - .offset:         64
        .size:           4
        .value_kind:     hidden_block_count_z
      - .offset:         68
        .size:           2
        .value_kind:     hidden_group_size_x
      - .offset:         70
        .size:           2
        .value_kind:     hidden_group_size_y
      - .offset:         72
        .size:           2
        .value_kind:     hidden_group_size_z
      - .offset:         74
        .size:           2
        .value_kind:     hidden_remainder_x
      - .offset:         76
        .size:           2
        .value_kind:     hidden_remainder_y
      - .offset:         78
        .size:           2
        .value_kind:     hidden_remainder_z
      - .offset:         96
        .size:           8
        .value_kind:     hidden_global_offset_x
      - .offset:         104
        .size:           8
        .value_kind:     hidden_global_offset_y
      - .offset:         112
        .size:           8
        .value_kind:     hidden_global_offset_z
      - .offset:         120
        .size:           2
        .value_kind:     hidden_grid_dims
    .group_segment_fixed_size: 0
    .kernarg_segment_align: 8
    .kernarg_segment_size: 312
    .language:       OpenCL C
    .language_version:
      - 2
      - 0
    .max_flat_workgroup_size: 256
    .name:           _ZL44rocblas_set_matrix_zero_if_alpha_zero_kernelILi16ELi16EPKdPdEviiT1_lT2_lli
    .private_segment_fixed_size: 0
    .sgpr_count:     24
    .sgpr_spill_count: 0
    .symbol:         _ZL44rocblas_set_matrix_zero_if_alpha_zero_kernelILi16ELi16EPKdPdEviiT1_lT2_lli.kd
    .uniform_work_group_size: 1
    .uses_dynamic_stack: false
    .vgpr_count:     12
    .vgpr_spill_count: 0
    .wavefront_size: 32
  - .args:
      - .offset:         0
        .size:           4
        .value_kind:     by_value
      - .offset:         4
        .size:           4
        .value_kind:     by_value
      - .offset:         8
        .size:           8
        .value_kind:     by_value
      - .offset:         16
        .size:           8
        .value_kind:     by_value
      - .address_space:  global
        .offset:         24
        .size:           8
        .value_kind:     global_buffer
      - .offset:         32
        .size:           8
        .value_kind:     by_value
      - .offset:         40
        .size:           8
        .value_kind:     by_value
      - .offset:         48
        .size:           4
        .value_kind:     by_value
      - .offset:         56
        .size:           4
        .value_kind:     hidden_block_count_x
      - .offset:         60
        .size:           4
        .value_kind:     hidden_block_count_y
      - .offset:         64
        .size:           4
        .value_kind:     hidden_block_count_z
      - .offset:         68
        .size:           2
        .value_kind:     hidden_group_size_x
      - .offset:         70
        .size:           2
        .value_kind:     hidden_group_size_y
      - .offset:         72
        .size:           2
        .value_kind:     hidden_group_size_z
      - .offset:         74
        .size:           2
        .value_kind:     hidden_remainder_x
      - .offset:         76
        .size:           2
        .value_kind:     hidden_remainder_y
      - .offset:         78
        .size:           2
        .value_kind:     hidden_remainder_z
      - .offset:         96
        .size:           8
        .value_kind:     hidden_global_offset_x
      - .offset:         104
        .size:           8
        .value_kind:     hidden_global_offset_y
      - .offset:         112
        .size:           8
        .value_kind:     hidden_global_offset_z
      - .offset:         120
        .size:           2
        .value_kind:     hidden_grid_dims
    .group_segment_fixed_size: 0
    .kernarg_segment_align: 8
    .kernarg_segment_size: 312
    .language:       OpenCL C
    .language_version:
      - 2
      - 0
    .max_flat_workgroup_size: 256
    .name:           _ZL44rocblas_set_matrix_zero_if_alpha_zero_kernelILi16ELi16EdPdEviiT1_lT2_lli
    .private_segment_fixed_size: 0
    .sgpr_count:     22
    .sgpr_spill_count: 0
    .symbol:         _ZL44rocblas_set_matrix_zero_if_alpha_zero_kernelILi16ELi16EdPdEviiT1_lT2_lli.kd
    .uniform_work_group_size: 1
    .uses_dynamic_stack: false
    .vgpr_count:     10
    .vgpr_spill_count: 0
    .wavefront_size: 32
  - .args:
      - .offset:         0
        .size:           4
        .value_kind:     by_value
      - .offset:         4
        .size:           4
        .value_kind:     by_value
      - .address_space:  global
        .offset:         8
        .size:           8
        .value_kind:     global_buffer
      - .offset:         16
        .size:           8
        .value_kind:     by_value
      - .address_space:  global
        .offset:         24
        .size:           8
        .value_kind:     global_buffer
      - .offset:         32
        .size:           8
        .value_kind:     by_value
      - .offset:         40
        .size:           8
        .value_kind:     by_value
      - .offset:         48
        .size:           4
        .value_kind:     by_value
      - .offset:         56
        .size:           4
        .value_kind:     hidden_block_count_x
      - .offset:         60
        .size:           4
        .value_kind:     hidden_block_count_y
      - .offset:         64
        .size:           4
        .value_kind:     hidden_block_count_z
      - .offset:         68
        .size:           2
        .value_kind:     hidden_group_size_x
      - .offset:         70
        .size:           2
        .value_kind:     hidden_group_size_y
      - .offset:         72
        .size:           2
        .value_kind:     hidden_group_size_z
      - .offset:         74
        .size:           2
        .value_kind:     hidden_remainder_x
      - .offset:         76
        .size:           2
        .value_kind:     hidden_remainder_y
      - .offset:         78
        .size:           2
        .value_kind:     hidden_remainder_z
      - .offset:         96
        .size:           8
        .value_kind:     hidden_global_offset_x
      - .offset:         104
        .size:           8
        .value_kind:     hidden_global_offset_y
      - .offset:         112
        .size:           8
        .value_kind:     hidden_global_offset_z
      - .offset:         120
        .size:           2
        .value_kind:     hidden_grid_dims
    .group_segment_fixed_size: 0
    .kernarg_segment_align: 8
    .kernarg_segment_size: 312
    .language:       OpenCL C
    .language_version:
      - 2
      - 0
    .max_flat_workgroup_size: 256
    .name:           _ZL44rocblas_set_matrix_zero_if_alpha_zero_kernelILi16ELi16EPKdPKPdEviiT1_lT2_lli
    .private_segment_fixed_size: 0
    .sgpr_count:     24
    .sgpr_spill_count: 0
    .symbol:         _ZL44rocblas_set_matrix_zero_if_alpha_zero_kernelILi16ELi16EPKdPKPdEviiT1_lT2_lli.kd
    .uniform_work_group_size: 1
    .uses_dynamic_stack: false
    .vgpr_count:     12
    .vgpr_spill_count: 0
    .wavefront_size: 32
  - .args:
      - .offset:         0
        .size:           4
        .value_kind:     by_value
      - .offset:         4
        .size:           4
        .value_kind:     by_value
      - .offset:         8
        .size:           8
        .value_kind:     by_value
      - .offset:         16
        .size:           8
        .value_kind:     by_value
      - .address_space:  global
        .offset:         24
        .size:           8
        .value_kind:     global_buffer
      - .offset:         32
        .size:           8
        .value_kind:     by_value
      - .offset:         40
        .size:           8
        .value_kind:     by_value
      - .offset:         48
        .size:           4
        .value_kind:     by_value
      - .offset:         56
        .size:           4
        .value_kind:     hidden_block_count_x
      - .offset:         60
        .size:           4
        .value_kind:     hidden_block_count_y
      - .offset:         64
        .size:           4
        .value_kind:     hidden_block_count_z
      - .offset:         68
        .size:           2
        .value_kind:     hidden_group_size_x
      - .offset:         70
        .size:           2
        .value_kind:     hidden_group_size_y
      - .offset:         72
        .size:           2
        .value_kind:     hidden_group_size_z
      - .offset:         74
        .size:           2
        .value_kind:     hidden_remainder_x
      - .offset:         76
        .size:           2
        .value_kind:     hidden_remainder_y
      - .offset:         78
        .size:           2
        .value_kind:     hidden_remainder_z
      - .offset:         96
        .size:           8
        .value_kind:     hidden_global_offset_x
      - .offset:         104
        .size:           8
        .value_kind:     hidden_global_offset_y
      - .offset:         112
        .size:           8
        .value_kind:     hidden_global_offset_z
      - .offset:         120
        .size:           2
        .value_kind:     hidden_grid_dims
    .group_segment_fixed_size: 0
    .kernarg_segment_align: 8
    .kernarg_segment_size: 312
    .language:       OpenCL C
    .language_version:
      - 2
      - 0
    .max_flat_workgroup_size: 256
    .name:           _ZL44rocblas_set_matrix_zero_if_alpha_zero_kernelILi16ELi16EdPKPdEviiT1_lT2_lli
    .private_segment_fixed_size: 0
    .sgpr_count:     22
    .sgpr_spill_count: 0
    .symbol:         _ZL44rocblas_set_matrix_zero_if_alpha_zero_kernelILi16ELi16EdPKPdEviiT1_lT2_lli.kd
    .uniform_work_group_size: 1
    .uses_dynamic_stack: false
    .vgpr_count:     10
    .vgpr_spill_count: 0
    .wavefront_size: 32
  - .args:
      - .offset:         0
        .size:           4
        .value_kind:     by_value
      - .offset:         4
        .size:           4
        .value_kind:     by_value
      - .address_space:  global
        .offset:         8
        .size:           8
        .value_kind:     global_buffer
      - .offset:         16
        .size:           8
        .value_kind:     by_value
      - .address_space:  global
        .offset:         24
        .size:           8
        .value_kind:     global_buffer
      - .offset:         32
        .size:           8
        .value_kind:     by_value
      - .offset:         40
        .size:           8
        .value_kind:     by_value
      - .offset:         48
        .size:           4
        .value_kind:     by_value
      - .offset:         56
        .size:           4
        .value_kind:     hidden_block_count_x
      - .offset:         60
        .size:           4
        .value_kind:     hidden_block_count_y
      - .offset:         64
        .size:           4
        .value_kind:     hidden_block_count_z
      - .offset:         68
        .size:           2
        .value_kind:     hidden_group_size_x
      - .offset:         70
        .size:           2
        .value_kind:     hidden_group_size_y
      - .offset:         72
        .size:           2
        .value_kind:     hidden_group_size_z
      - .offset:         74
        .size:           2
        .value_kind:     hidden_remainder_x
      - .offset:         76
        .size:           2
        .value_kind:     hidden_remainder_y
      - .offset:         78
        .size:           2
        .value_kind:     hidden_remainder_z
      - .offset:         96
        .size:           8
        .value_kind:     hidden_global_offset_x
      - .offset:         104
        .size:           8
        .value_kind:     hidden_global_offset_y
      - .offset:         112
        .size:           8
        .value_kind:     hidden_global_offset_z
      - .offset:         120
        .size:           2
        .value_kind:     hidden_grid_dims
    .group_segment_fixed_size: 0
    .kernarg_segment_align: 8
    .kernarg_segment_size: 312
    .language:       OpenCL C
    .language_version:
      - 2
      - 0
    .max_flat_workgroup_size: 256
    .name:           _ZL44rocblas_set_matrix_zero_if_alpha_zero_kernelILi16ELi16EPK19rocblas_complex_numIfEPKPS1_EviiT1_lT2_lli
    .private_segment_fixed_size: 0
    .sgpr_count:     26
    .sgpr_spill_count: 0
    .symbol:         _ZL44rocblas_set_matrix_zero_if_alpha_zero_kernelILi16ELi16EPK19rocblas_complex_numIfEPKPS1_EviiT1_lT2_lli.kd
    .uniform_work_group_size: 1
    .uses_dynamic_stack: false
    .vgpr_count:     14
    .vgpr_spill_count: 0
    .wavefront_size: 32
  - .args:
      - .offset:         0
        .size:           4
        .value_kind:     by_value
      - .offset:         4
        .size:           4
        .value_kind:     by_value
      - .offset:         8
        .size:           8
        .value_kind:     by_value
      - .offset:         16
        .size:           8
        .value_kind:     by_value
      - .address_space:  global
        .offset:         24
        .size:           8
        .value_kind:     global_buffer
      - .offset:         32
        .size:           8
        .value_kind:     by_value
      - .offset:         40
        .size:           8
        .value_kind:     by_value
      - .offset:         48
        .size:           4
        .value_kind:     by_value
      - .offset:         56
        .size:           4
        .value_kind:     hidden_block_count_x
      - .offset:         60
        .size:           4
        .value_kind:     hidden_block_count_y
      - .offset:         64
        .size:           4
        .value_kind:     hidden_block_count_z
      - .offset:         68
        .size:           2
        .value_kind:     hidden_group_size_x
      - .offset:         70
        .size:           2
        .value_kind:     hidden_group_size_y
      - .offset:         72
        .size:           2
        .value_kind:     hidden_group_size_z
      - .offset:         74
        .size:           2
        .value_kind:     hidden_remainder_x
      - .offset:         76
        .size:           2
        .value_kind:     hidden_remainder_y
      - .offset:         78
        .size:           2
        .value_kind:     hidden_remainder_z
      - .offset:         96
        .size:           8
        .value_kind:     hidden_global_offset_x
      - .offset:         104
        .size:           8
        .value_kind:     hidden_global_offset_y
      - .offset:         112
        .size:           8
        .value_kind:     hidden_global_offset_z
      - .offset:         120
        .size:           2
        .value_kind:     hidden_grid_dims
    .group_segment_fixed_size: 0
    .kernarg_segment_align: 8
    .kernarg_segment_size: 312
    .language:       OpenCL C
    .language_version:
      - 2
      - 0
    .max_flat_workgroup_size: 256
    .name:           _ZL44rocblas_set_matrix_zero_if_alpha_zero_kernelILi16ELi16E19rocblas_complex_numIfEPKPS1_EviiT1_lT2_lli
    .private_segment_fixed_size: 0
    .sgpr_count:     23
    .sgpr_spill_count: 0
    .symbol:         _ZL44rocblas_set_matrix_zero_if_alpha_zero_kernelILi16ELi16E19rocblas_complex_numIfEPKPS1_EviiT1_lT2_lli.kd
    .uniform_work_group_size: 1
    .uses_dynamic_stack: false
    .vgpr_count:     14
    .vgpr_spill_count: 0
    .wavefront_size: 32
  - .args:
      - .offset:         0
        .size:           4
        .value_kind:     by_value
      - .offset:         4
        .size:           4
        .value_kind:     by_value
      - .address_space:  global
        .offset:         8
        .size:           8
        .value_kind:     global_buffer
      - .offset:         16
        .size:           8
        .value_kind:     by_value
      - .address_space:  global
        .offset:         24
        .size:           8
        .value_kind:     global_buffer
      - .offset:         32
        .size:           8
        .value_kind:     by_value
      - .offset:         40
        .size:           8
        .value_kind:     by_value
      - .offset:         48
        .size:           4
        .value_kind:     by_value
      - .offset:         56
        .size:           4
        .value_kind:     hidden_block_count_x
      - .offset:         60
        .size:           4
        .value_kind:     hidden_block_count_y
      - .offset:         64
        .size:           4
        .value_kind:     hidden_block_count_z
      - .offset:         68
        .size:           2
        .value_kind:     hidden_group_size_x
      - .offset:         70
        .size:           2
        .value_kind:     hidden_group_size_y
      - .offset:         72
        .size:           2
        .value_kind:     hidden_group_size_z
      - .offset:         74
        .size:           2
        .value_kind:     hidden_remainder_x
      - .offset:         76
        .size:           2
        .value_kind:     hidden_remainder_y
      - .offset:         78
        .size:           2
        .value_kind:     hidden_remainder_z
      - .offset:         96
        .size:           8
        .value_kind:     hidden_global_offset_x
      - .offset:         104
        .size:           8
        .value_kind:     hidden_global_offset_y
      - .offset:         112
        .size:           8
        .value_kind:     hidden_global_offset_z
      - .offset:         120
        .size:           2
        .value_kind:     hidden_grid_dims
    .group_segment_fixed_size: 0
    .kernarg_segment_align: 8
    .kernarg_segment_size: 312
    .language:       OpenCL C
    .language_version:
      - 2
      - 0
    .max_flat_workgroup_size: 256
    .name:           _ZL44rocblas_set_matrix_zero_if_alpha_zero_kernelILi16ELi16EPK19rocblas_complex_numIfEPS1_EviiT1_lT2_lli
    .private_segment_fixed_size: 0
    .sgpr_count:     24
    .sgpr_spill_count: 0
    .symbol:         _ZL44rocblas_set_matrix_zero_if_alpha_zero_kernelILi16ELi16EPK19rocblas_complex_numIfEPS1_EviiT1_lT2_lli.kd
    .uniform_work_group_size: 1
    .uses_dynamic_stack: false
    .vgpr_count:     12
    .vgpr_spill_count: 0
    .wavefront_size: 32
  - .args:
      - .offset:         0
        .size:           4
        .value_kind:     by_value
      - .offset:         4
        .size:           4
        .value_kind:     by_value
      - .offset:         8
        .size:           8
        .value_kind:     by_value
      - .offset:         16
        .size:           8
        .value_kind:     by_value
      - .address_space:  global
        .offset:         24
        .size:           8
        .value_kind:     global_buffer
      - .offset:         32
        .size:           8
        .value_kind:     by_value
      - .offset:         40
        .size:           8
        .value_kind:     by_value
      - .offset:         48
        .size:           4
        .value_kind:     by_value
      - .offset:         56
        .size:           4
        .value_kind:     hidden_block_count_x
      - .offset:         60
        .size:           4
        .value_kind:     hidden_block_count_y
      - .offset:         64
        .size:           4
        .value_kind:     hidden_block_count_z
      - .offset:         68
        .size:           2
        .value_kind:     hidden_group_size_x
      - .offset:         70
        .size:           2
        .value_kind:     hidden_group_size_y
      - .offset:         72
        .size:           2
        .value_kind:     hidden_group_size_z
      - .offset:         74
        .size:           2
        .value_kind:     hidden_remainder_x
      - .offset:         76
        .size:           2
        .value_kind:     hidden_remainder_y
      - .offset:         78
        .size:           2
        .value_kind:     hidden_remainder_z
      - .offset:         96
        .size:           8
        .value_kind:     hidden_global_offset_x
      - .offset:         104
        .size:           8
        .value_kind:     hidden_global_offset_y
      - .offset:         112
        .size:           8
        .value_kind:     hidden_global_offset_z
      - .offset:         120
        .size:           2
        .value_kind:     hidden_grid_dims
    .group_segment_fixed_size: 0
    .kernarg_segment_align: 8
    .kernarg_segment_size: 312
    .language:       OpenCL C
    .language_version:
      - 2
      - 0
    .max_flat_workgroup_size: 256
    .name:           _ZL44rocblas_set_matrix_zero_if_alpha_zero_kernelILi16ELi16E19rocblas_complex_numIfEPS1_EviiT1_lT2_lli
    .private_segment_fixed_size: 0
    .sgpr_count:     22
    .sgpr_spill_count: 0
    .symbol:         _ZL44rocblas_set_matrix_zero_if_alpha_zero_kernelILi16ELi16E19rocblas_complex_numIfEPS1_EviiT1_lT2_lli.kd
    .uniform_work_group_size: 1
    .uses_dynamic_stack: false
    .vgpr_count:     10
    .vgpr_spill_count: 0
    .wavefront_size: 32
  - .args:
      - .offset:         0
        .size:           4
        .value_kind:     by_value
      - .offset:         4
        .size:           4
        .value_kind:     by_value
      - .address_space:  global
        .offset:         8
        .size:           8
        .value_kind:     global_buffer
      - .offset:         16
        .size:           8
        .value_kind:     by_value
      - .address_space:  global
        .offset:         24
        .size:           8
        .value_kind:     global_buffer
      - .offset:         32
        .size:           8
        .value_kind:     by_value
      - .offset:         40
        .size:           8
        .value_kind:     by_value
      - .offset:         48
        .size:           4
        .value_kind:     by_value
      - .offset:         56
        .size:           4
        .value_kind:     hidden_block_count_x
      - .offset:         60
        .size:           4
        .value_kind:     hidden_block_count_y
      - .offset:         64
        .size:           4
        .value_kind:     hidden_block_count_z
      - .offset:         68
        .size:           2
        .value_kind:     hidden_group_size_x
      - .offset:         70
        .size:           2
        .value_kind:     hidden_group_size_y
      - .offset:         72
        .size:           2
        .value_kind:     hidden_group_size_z
      - .offset:         74
        .size:           2
        .value_kind:     hidden_remainder_x
      - .offset:         76
        .size:           2
        .value_kind:     hidden_remainder_y
      - .offset:         78
        .size:           2
        .value_kind:     hidden_remainder_z
      - .offset:         96
        .size:           8
        .value_kind:     hidden_global_offset_x
      - .offset:         104
        .size:           8
        .value_kind:     hidden_global_offset_y
      - .offset:         112
        .size:           8
        .value_kind:     hidden_global_offset_z
      - .offset:         120
        .size:           2
        .value_kind:     hidden_grid_dims
    .group_segment_fixed_size: 0
    .kernarg_segment_align: 8
    .kernarg_segment_size: 312
    .language:       OpenCL C
    .language_version:
      - 2
      - 0
    .max_flat_workgroup_size: 256
    .name:           _ZL44rocblas_set_matrix_zero_if_alpha_zero_kernelILi16ELi16EPK19rocblas_complex_numIdEPKPS1_EviiT1_lT2_lli
    .private_segment_fixed_size: 0
    .sgpr_count:     24
    .sgpr_spill_count: 0
    .symbol:         _ZL44rocblas_set_matrix_zero_if_alpha_zero_kernelILi16ELi16EPK19rocblas_complex_numIdEPKPS1_EviiT1_lT2_lli.kd
    .uniform_work_group_size: 1
    .uses_dynamic_stack: false
    .vgpr_count:     12
    .vgpr_spill_count: 0
    .wavefront_size: 32
  - .args:
      - .offset:         0
        .size:           4
        .value_kind:     by_value
      - .offset:         4
        .size:           4
        .value_kind:     by_value
      - .offset:         8
        .size:           16
        .value_kind:     by_value
      - .offset:         24
        .size:           8
        .value_kind:     by_value
      - .address_space:  global
        .offset:         32
        .size:           8
        .value_kind:     global_buffer
      - .offset:         40
        .size:           8
        .value_kind:     by_value
      - .offset:         48
        .size:           8
        .value_kind:     by_value
      - .offset:         56
        .size:           4
        .value_kind:     by_value
      - .offset:         64
        .size:           4
        .value_kind:     hidden_block_count_x
      - .offset:         68
        .size:           4
        .value_kind:     hidden_block_count_y
      - .offset:         72
        .size:           4
        .value_kind:     hidden_block_count_z
      - .offset:         76
        .size:           2
        .value_kind:     hidden_group_size_x
      - .offset:         78
        .size:           2
        .value_kind:     hidden_group_size_y
      - .offset:         80
        .size:           2
        .value_kind:     hidden_group_size_z
      - .offset:         82
        .size:           2
        .value_kind:     hidden_remainder_x
      - .offset:         84
        .size:           2
        .value_kind:     hidden_remainder_y
      - .offset:         86
        .size:           2
        .value_kind:     hidden_remainder_z
      - .offset:         104
        .size:           8
        .value_kind:     hidden_global_offset_x
      - .offset:         112
        .size:           8
        .value_kind:     hidden_global_offset_y
      - .offset:         120
        .size:           8
        .value_kind:     hidden_global_offset_z
      - .offset:         128
        .size:           2
        .value_kind:     hidden_grid_dims
    .group_segment_fixed_size: 0
    .kernarg_segment_align: 8
    .kernarg_segment_size: 320
    .language:       OpenCL C
    .language_version:
      - 2
      - 0
    .max_flat_workgroup_size: 256
    .name:           _ZL44rocblas_set_matrix_zero_if_alpha_zero_kernelILi16ELi16E19rocblas_complex_numIdEPKPS1_EviiT1_lT2_lli
    .private_segment_fixed_size: 0
    .sgpr_count:     21
    .sgpr_spill_count: 0
    .symbol:         _ZL44rocblas_set_matrix_zero_if_alpha_zero_kernelILi16ELi16E19rocblas_complex_numIdEPKPS1_EviiT1_lT2_lli.kd
    .uniform_work_group_size: 1
    .uses_dynamic_stack: false
    .vgpr_count:     12
    .vgpr_spill_count: 0
    .wavefront_size: 32
  - .args:
      - .offset:         0
        .size:           4
        .value_kind:     by_value
      - .offset:         4
        .size:           4
        .value_kind:     by_value
      - .address_space:  global
        .offset:         8
        .size:           8
        .value_kind:     global_buffer
      - .offset:         16
        .size:           8
        .value_kind:     by_value
      - .address_space:  global
        .offset:         24
        .size:           8
        .value_kind:     global_buffer
      - .offset:         32
        .size:           8
        .value_kind:     by_value
      - .offset:         40
        .size:           8
        .value_kind:     by_value
      - .offset:         48
        .size:           4
        .value_kind:     by_value
      - .offset:         56
        .size:           4
        .value_kind:     hidden_block_count_x
      - .offset:         60
        .size:           4
        .value_kind:     hidden_block_count_y
      - .offset:         64
        .size:           4
        .value_kind:     hidden_block_count_z
      - .offset:         68
        .size:           2
        .value_kind:     hidden_group_size_x
      - .offset:         70
        .size:           2
        .value_kind:     hidden_group_size_y
      - .offset:         72
        .size:           2
        .value_kind:     hidden_group_size_z
      - .offset:         74
        .size:           2
        .value_kind:     hidden_remainder_x
      - .offset:         76
        .size:           2
        .value_kind:     hidden_remainder_y
      - .offset:         78
        .size:           2
        .value_kind:     hidden_remainder_z
      - .offset:         96
        .size:           8
        .value_kind:     hidden_global_offset_x
      - .offset:         104
        .size:           8
        .value_kind:     hidden_global_offset_y
      - .offset:         112
        .size:           8
        .value_kind:     hidden_global_offset_z
      - .offset:         120
        .size:           2
        .value_kind:     hidden_grid_dims
    .group_segment_fixed_size: 0
    .kernarg_segment_align: 8
    .kernarg_segment_size: 312
    .language:       OpenCL C
    .language_version:
      - 2
      - 0
    .max_flat_workgroup_size: 256
    .name:           _ZL44rocblas_set_matrix_zero_if_alpha_zero_kernelILi16ELi16EPK19rocblas_complex_numIdEPS1_EviiT1_lT2_lli
    .private_segment_fixed_size: 0
    .sgpr_count:     24
    .sgpr_spill_count: 0
    .symbol:         _ZL44rocblas_set_matrix_zero_if_alpha_zero_kernelILi16ELi16EPK19rocblas_complex_numIdEPS1_EviiT1_lT2_lli.kd
    .uniform_work_group_size: 1
    .uses_dynamic_stack: false
    .vgpr_count:     12
    .vgpr_spill_count: 0
    .wavefront_size: 32
  - .args:
      - .offset:         0
        .size:           4
        .value_kind:     by_value
      - .offset:         4
        .size:           4
        .value_kind:     by_value
      - .offset:         8
        .size:           16
        .value_kind:     by_value
      - .offset:         24
        .size:           8
        .value_kind:     by_value
      - .address_space:  global
        .offset:         32
        .size:           8
        .value_kind:     global_buffer
      - .offset:         40
        .size:           8
        .value_kind:     by_value
      - .offset:         48
        .size:           8
        .value_kind:     by_value
      - .offset:         56
        .size:           4
        .value_kind:     by_value
      - .offset:         64
        .size:           4
        .value_kind:     hidden_block_count_x
      - .offset:         68
        .size:           4
        .value_kind:     hidden_block_count_y
      - .offset:         72
        .size:           4
        .value_kind:     hidden_block_count_z
      - .offset:         76
        .size:           2
        .value_kind:     hidden_group_size_x
      - .offset:         78
        .size:           2
        .value_kind:     hidden_group_size_y
      - .offset:         80
        .size:           2
        .value_kind:     hidden_group_size_z
      - .offset:         82
        .size:           2
        .value_kind:     hidden_remainder_x
      - .offset:         84
        .size:           2
        .value_kind:     hidden_remainder_y
      - .offset:         86
        .size:           2
        .value_kind:     hidden_remainder_z
      - .offset:         104
        .size:           8
        .value_kind:     hidden_global_offset_x
      - .offset:         112
        .size:           8
        .value_kind:     hidden_global_offset_y
      - .offset:         120
        .size:           8
        .value_kind:     hidden_global_offset_z
      - .offset:         128
        .size:           2
        .value_kind:     hidden_grid_dims
    .group_segment_fixed_size: 0
    .kernarg_segment_align: 8
    .kernarg_segment_size: 320
    .language:       OpenCL C
    .language_version:
      - 2
      - 0
    .max_flat_workgroup_size: 256
    .name:           _ZL44rocblas_set_matrix_zero_if_alpha_zero_kernelILi16ELi16E19rocblas_complex_numIdEPS1_EviiT1_lT2_lli
    .private_segment_fixed_size: 0
    .sgpr_count:     21
    .sgpr_spill_count: 0
    .symbol:         _ZL44rocblas_set_matrix_zero_if_alpha_zero_kernelILi16ELi16E19rocblas_complex_numIdEPS1_EviiT1_lT2_lli.kd
    .uniform_work_group_size: 1
    .uses_dynamic_stack: false
    .vgpr_count:     12
    .vgpr_spill_count: 0
    .wavefront_size: 32
amdhsa.target:   amdgcn-amd-amdhsa--gfx1250
amdhsa.version:
  - 1
  - 2
...

	.end_amdgpu_metadata
